;; amdgpu-corpus repo=ROCm/rocSPARSE kind=compiled arch=gfx90a opt=O3
	.text
	.amdgcn_target "amdgcn-amd-amdhsa--gfx90a"
	.amdhsa_code_object_version 6
	.section	.text._ZN9rocsparseL25csrgemm_max_row_nnz_part1ILj256EiiEEvT1_PKT0_PS1_,"axG",@progbits,_ZN9rocsparseL25csrgemm_max_row_nnz_part1ILj256EiiEEvT1_PKT0_PS1_,comdat
	.globl	_ZN9rocsparseL25csrgemm_max_row_nnz_part1ILj256EiiEEvT1_PKT0_PS1_ ; -- Begin function _ZN9rocsparseL25csrgemm_max_row_nnz_part1ILj256EiiEEvT1_PKT0_PS1_
	.p2align	8
	.type	_ZN9rocsparseL25csrgemm_max_row_nnz_part1ILj256EiiEEvT1_PKT0_PS1_,@function
_ZN9rocsparseL25csrgemm_max_row_nnz_part1ILj256EiiEEvT1_PKT0_PS1_: ; @_ZN9rocsparseL25csrgemm_max_row_nnz_part1ILj256EiiEEvT1_PKT0_PS1_
; %bb.0:
	s_load_dword s7, s[4:5], 0x0
	s_load_dwordx2 s[0:1], s[4:5], 0x10
	v_lshl_or_b32 v2, s6, 8, v0
	v_mov_b32_e32 v4, 0
	s_waitcnt lgkmcnt(0)
	v_cmp_gt_i32_e32 vcc, s7, v2
	s_and_saveexec_b64 s[2:3], vcc
	s_cbranch_execz .LBB0_4
; %bb.1:
	s_load_dword s10, s[4:5], 0x18
	s_load_dwordx2 s[8:9], s[4:5], 0x8
	s_mov_b64 s[4:5], 0
	v_mov_b32_e32 v4, 0
	s_waitcnt lgkmcnt(0)
	s_lshl_b32 s10, s10, 8
	v_mov_b32_e32 v1, s9
.LBB0_2:                                ; =>This Inner Loop Header: Depth=1
	v_ashrrev_i32_e32 v3, 31, v2
	v_lshlrev_b64 v[6:7], 2, v[2:3]
	v_add_co_u32_e32 v6, vcc, s8, v6
	v_addc_co_u32_e32 v7, vcc, v1, v7, vcc
	global_load_dwordx2 v[6:7], v[6:7], off
	v_add_u32_e32 v2, s10, v2
	v_cmp_le_i32_e32 vcc, s7, v2
	s_or_b64 s[4:5], vcc, s[4:5]
	s_waitcnt vmcnt(0)
	v_sub_u32_e32 v3, v7, v6
	v_max_i32_e32 v4, v4, v3
	s_andn2_b64 exec, exec, s[4:5]
	s_cbranch_execnz .LBB0_2
; %bb.3:
	s_or_b64 exec, exec, s[4:5]
.LBB0_4:
	s_or_b64 exec, exec, s[2:3]
	s_movk_i32 s2, 0x80
	v_lshlrev_b32_e32 v1, 2, v0
	v_cmp_gt_u32_e32 vcc, s2, v0
	ds_write_b32 v1, v4
	s_waitcnt lgkmcnt(0)
	s_barrier
	s_and_saveexec_b64 s[2:3], vcc
	s_cbranch_execz .LBB0_6
; %bb.5:
	ds_read2st64_b32 v[2:3], v1 offset1:2
	s_waitcnt lgkmcnt(0)
	v_max_i32_e32 v2, v2, v3
	ds_write_b32 v1, v2
.LBB0_6:
	s_or_b64 exec, exec, s[2:3]
	v_cmp_gt_u32_e32 vcc, 64, v0
	s_waitcnt lgkmcnt(0)
	s_barrier
	s_and_saveexec_b64 s[2:3], vcc
	s_cbranch_execz .LBB0_8
; %bb.7:
	ds_read2st64_b32 v[2:3], v1 offset1:1
	s_waitcnt lgkmcnt(0)
	v_max_i32_e32 v2, v2, v3
	ds_write_b32 v1, v2
.LBB0_8:
	s_or_b64 exec, exec, s[2:3]
	v_cmp_gt_u32_e32 vcc, 32, v0
	s_waitcnt lgkmcnt(0)
	s_barrier
	s_and_saveexec_b64 s[2:3], vcc
	s_cbranch_execz .LBB0_10
; %bb.9:
	ds_read2_b32 v[2:3], v1 offset1:32
	s_waitcnt lgkmcnt(0)
	v_max_i32_e32 v2, v2, v3
	ds_write_b32 v1, v2
.LBB0_10:
	s_or_b64 exec, exec, s[2:3]
	v_cmp_gt_u32_e32 vcc, 16, v0
	s_waitcnt lgkmcnt(0)
	s_barrier
	s_and_saveexec_b64 s[2:3], vcc
	s_cbranch_execz .LBB0_12
; %bb.11:
	ds_read2_b32 v[2:3], v1 offset1:16
	s_waitcnt lgkmcnt(0)
	v_max_i32_e32 v2, v2, v3
	ds_write_b32 v1, v2
.LBB0_12:
	;; [unrolled: 12-line block ×5, first 2 shown]
	s_or_b64 exec, exec, s[2:3]
	v_cmp_eq_u32_e32 vcc, 0, v0
	s_waitcnt lgkmcnt(0)
	s_barrier
	s_and_saveexec_b64 s[2:3], vcc
	s_cbranch_execz .LBB0_20
; %bb.19:
	v_mov_b32_e32 v2, 0
	ds_read_b64 v[0:1], v2
	s_waitcnt lgkmcnt(0)
	v_max_i32_e32 v0, v0, v1
	ds_write_b32 v2, v0
.LBB0_20:
	s_or_b64 exec, exec, s[2:3]
	s_waitcnt lgkmcnt(0)
	s_barrier
	s_and_saveexec_b64 s[2:3], vcc
	s_cbranch_execz .LBB0_22
; %bb.21:
	v_mov_b32_e32 v0, 0
	ds_read_b32 v1, v0
	s_mov_b32 s7, 0
	s_lshl_b64 s[2:3], s[6:7], 2
	s_add_u32 s0, s0, s2
	s_addc_u32 s1, s1, s3
	s_waitcnt lgkmcnt(0)
	global_store_dword v0, v1, s[0:1]
.LBB0_22:
	s_endpgm
	.section	.rodata,"a",@progbits
	.p2align	6, 0x0
	.amdhsa_kernel _ZN9rocsparseL25csrgemm_max_row_nnz_part1ILj256EiiEEvT1_PKT0_PS1_
		.amdhsa_group_segment_fixed_size 1024
		.amdhsa_private_segment_fixed_size 0
		.amdhsa_kernarg_size 280
		.amdhsa_user_sgpr_count 6
		.amdhsa_user_sgpr_private_segment_buffer 1
		.amdhsa_user_sgpr_dispatch_ptr 0
		.amdhsa_user_sgpr_queue_ptr 0
		.amdhsa_user_sgpr_kernarg_segment_ptr 1
		.amdhsa_user_sgpr_dispatch_id 0
		.amdhsa_user_sgpr_flat_scratch_init 0
		.amdhsa_user_sgpr_kernarg_preload_length 0
		.amdhsa_user_sgpr_kernarg_preload_offset 0
		.amdhsa_user_sgpr_private_segment_size 0
		.amdhsa_uses_dynamic_stack 0
		.amdhsa_system_sgpr_private_segment_wavefront_offset 0
		.amdhsa_system_sgpr_workgroup_id_x 1
		.amdhsa_system_sgpr_workgroup_id_y 0
		.amdhsa_system_sgpr_workgroup_id_z 0
		.amdhsa_system_sgpr_workgroup_info 0
		.amdhsa_system_vgpr_workitem_id 0
		.amdhsa_next_free_vgpr 8
		.amdhsa_next_free_sgpr 11
		.amdhsa_accum_offset 8
		.amdhsa_reserve_vcc 1
		.amdhsa_reserve_flat_scratch 0
		.amdhsa_float_round_mode_32 0
		.amdhsa_float_round_mode_16_64 0
		.amdhsa_float_denorm_mode_32 3
		.amdhsa_float_denorm_mode_16_64 3
		.amdhsa_dx10_clamp 1
		.amdhsa_ieee_mode 1
		.amdhsa_fp16_overflow 0
		.amdhsa_tg_split 0
		.amdhsa_exception_fp_ieee_invalid_op 0
		.amdhsa_exception_fp_denorm_src 0
		.amdhsa_exception_fp_ieee_div_zero 0
		.amdhsa_exception_fp_ieee_overflow 0
		.amdhsa_exception_fp_ieee_underflow 0
		.amdhsa_exception_fp_ieee_inexact 0
		.amdhsa_exception_int_div_zero 0
	.end_amdhsa_kernel
	.section	.text._ZN9rocsparseL25csrgemm_max_row_nnz_part1ILj256EiiEEvT1_PKT0_PS1_,"axG",@progbits,_ZN9rocsparseL25csrgemm_max_row_nnz_part1ILj256EiiEEvT1_PKT0_PS1_,comdat
.Lfunc_end0:
	.size	_ZN9rocsparseL25csrgemm_max_row_nnz_part1ILj256EiiEEvT1_PKT0_PS1_, .Lfunc_end0-_ZN9rocsparseL25csrgemm_max_row_nnz_part1ILj256EiiEEvT1_PKT0_PS1_
                                        ; -- End function
	.section	.AMDGPU.csdata,"",@progbits
; Kernel info:
; codeLenInByte = 612
; NumSgprs: 15
; NumVgprs: 8
; NumAgprs: 0
; TotalNumVgprs: 8
; ScratchSize: 0
; MemoryBound: 0
; FloatMode: 240
; IeeeMode: 1
; LDSByteSize: 1024 bytes/workgroup (compile time only)
; SGPRBlocks: 1
; VGPRBlocks: 0
; NumSGPRsForWavesPerEU: 15
; NumVGPRsForWavesPerEU: 8
; AccumOffset: 8
; Occupancy: 8
; WaveLimiterHint : 0
; COMPUTE_PGM_RSRC2:SCRATCH_EN: 0
; COMPUTE_PGM_RSRC2:USER_SGPR: 6
; COMPUTE_PGM_RSRC2:TRAP_HANDLER: 0
; COMPUTE_PGM_RSRC2:TGID_X_EN: 1
; COMPUTE_PGM_RSRC2:TGID_Y_EN: 0
; COMPUTE_PGM_RSRC2:TGID_Z_EN: 0
; COMPUTE_PGM_RSRC2:TIDIG_COMP_CNT: 0
; COMPUTE_PGM_RSRC3_GFX90A:ACCUM_OFFSET: 1
; COMPUTE_PGM_RSRC3_GFX90A:TG_SPLIT: 0
	.section	.text._ZN9rocsparseL25csrgemm_max_row_nnz_part2ILj256EiEEvPT0_,"axG",@progbits,_ZN9rocsparseL25csrgemm_max_row_nnz_part2ILj256EiEEvPT0_,comdat
	.globl	_ZN9rocsparseL25csrgemm_max_row_nnz_part2ILj256EiEEvPT0_ ; -- Begin function _ZN9rocsparseL25csrgemm_max_row_nnz_part2ILj256EiEEvPT0_
	.p2align	8
	.type	_ZN9rocsparseL25csrgemm_max_row_nnz_part2ILj256EiEEvPT0_,@function
_ZN9rocsparseL25csrgemm_max_row_nnz_part2ILj256EiEEvPT0_: ; @_ZN9rocsparseL25csrgemm_max_row_nnz_part2ILj256EiEEvPT0_
; %bb.0:
	s_load_dwordx2 s[0:1], s[4:5], 0x0
	v_lshlrev_b32_e32 v1, 2, v0
	s_movk_i32 s2, 0x80
	v_cmp_gt_u32_e32 vcc, s2, v0
	s_waitcnt lgkmcnt(0)
	global_load_dword v2, v1, s[0:1]
	s_waitcnt vmcnt(0)
	ds_write_b32 v1, v2
	s_waitcnt lgkmcnt(0)
	s_barrier
	s_and_saveexec_b64 s[2:3], vcc
	s_cbranch_execz .LBB1_2
; %bb.1:
	ds_read2st64_b32 v[2:3], v1 offset1:2
	s_waitcnt lgkmcnt(0)
	v_max_i32_e32 v2, v2, v3
	ds_write_b32 v1, v2
.LBB1_2:
	s_or_b64 exec, exec, s[2:3]
	v_cmp_gt_u32_e32 vcc, 64, v0
	s_waitcnt lgkmcnt(0)
	s_barrier
	s_and_saveexec_b64 s[2:3], vcc
	s_cbranch_execz .LBB1_4
; %bb.3:
	ds_read2st64_b32 v[2:3], v1 offset1:1
	s_waitcnt lgkmcnt(0)
	v_max_i32_e32 v2, v2, v3
	ds_write_b32 v1, v2
.LBB1_4:
	s_or_b64 exec, exec, s[2:3]
	v_cmp_gt_u32_e32 vcc, 32, v0
	s_waitcnt lgkmcnt(0)
	s_barrier
	s_and_saveexec_b64 s[2:3], vcc
	s_cbranch_execz .LBB1_6
; %bb.5:
	ds_read2_b32 v[2:3], v1 offset1:32
	s_waitcnt lgkmcnt(0)
	v_max_i32_e32 v2, v2, v3
	ds_write_b32 v1, v2
.LBB1_6:
	s_or_b64 exec, exec, s[2:3]
	v_cmp_gt_u32_e32 vcc, 16, v0
	s_waitcnt lgkmcnt(0)
	s_barrier
	s_and_saveexec_b64 s[2:3], vcc
	s_cbranch_execz .LBB1_8
; %bb.7:
	ds_read2_b32 v[2:3], v1 offset1:16
	s_waitcnt lgkmcnt(0)
	v_max_i32_e32 v2, v2, v3
	ds_write_b32 v1, v2
.LBB1_8:
	s_or_b64 exec, exec, s[2:3]
	v_cmp_gt_u32_e32 vcc, 8, v0
	s_waitcnt lgkmcnt(0)
	s_barrier
	s_and_saveexec_b64 s[2:3], vcc
	s_cbranch_execz .LBB1_10
; %bb.9:
	ds_read2_b32 v[2:3], v1 offset1:8
	s_waitcnt lgkmcnt(0)
	v_max_i32_e32 v2, v2, v3
	ds_write_b32 v1, v2
.LBB1_10:
	s_or_b64 exec, exec, s[2:3]
	v_cmp_gt_u32_e32 vcc, 4, v0
	s_waitcnt lgkmcnt(0)
	s_barrier
	s_and_saveexec_b64 s[2:3], vcc
	s_cbranch_execz .LBB1_12
; %bb.11:
	ds_read2_b32 v[2:3], v1 offset1:4
	s_waitcnt lgkmcnt(0)
	v_max_i32_e32 v2, v2, v3
	ds_write_b32 v1, v2
.LBB1_12:
	s_or_b64 exec, exec, s[2:3]
	v_cmp_gt_u32_e32 vcc, 2, v0
	s_waitcnt lgkmcnt(0)
	s_barrier
	s_and_saveexec_b64 s[2:3], vcc
	s_cbranch_execz .LBB1_14
; %bb.13:
	ds_read2_b32 v[2:3], v1 offset1:2
	s_waitcnt lgkmcnt(0)
	v_max_i32_e32 v2, v2, v3
	ds_write_b32 v1, v2
.LBB1_14:
	s_or_b64 exec, exec, s[2:3]
	v_cmp_eq_u32_e32 vcc, 0, v0
	s_waitcnt lgkmcnt(0)
	s_barrier
	s_and_saveexec_b64 s[2:3], vcc
	s_cbranch_execz .LBB1_16
; %bb.15:
	v_mov_b32_e32 v2, 0
	ds_read_b64 v[0:1], v2
	s_waitcnt lgkmcnt(0)
	v_max_i32_e32 v0, v0, v1
	ds_write_b32 v2, v0
.LBB1_16:
	s_or_b64 exec, exec, s[2:3]
	s_waitcnt lgkmcnt(0)
	s_barrier
	s_and_saveexec_b64 s[2:3], vcc
	s_cbranch_execz .LBB1_18
; %bb.17:
	v_mov_b32_e32 v0, 0
	ds_read_b32 v1, v0
	s_waitcnt lgkmcnt(0)
	global_store_dword v0, v1, s[0:1]
.LBB1_18:
	s_endpgm
	.section	.rodata,"a",@progbits
	.p2align	6, 0x0
	.amdhsa_kernel _ZN9rocsparseL25csrgemm_max_row_nnz_part2ILj256EiEEvPT0_
		.amdhsa_group_segment_fixed_size 1024
		.amdhsa_private_segment_fixed_size 0
		.amdhsa_kernarg_size 8
		.amdhsa_user_sgpr_count 6
		.amdhsa_user_sgpr_private_segment_buffer 1
		.amdhsa_user_sgpr_dispatch_ptr 0
		.amdhsa_user_sgpr_queue_ptr 0
		.amdhsa_user_sgpr_kernarg_segment_ptr 1
		.amdhsa_user_sgpr_dispatch_id 0
		.amdhsa_user_sgpr_flat_scratch_init 0
		.amdhsa_user_sgpr_kernarg_preload_length 0
		.amdhsa_user_sgpr_kernarg_preload_offset 0
		.amdhsa_user_sgpr_private_segment_size 0
		.amdhsa_uses_dynamic_stack 0
		.amdhsa_system_sgpr_private_segment_wavefront_offset 0
		.amdhsa_system_sgpr_workgroup_id_x 1
		.amdhsa_system_sgpr_workgroup_id_y 0
		.amdhsa_system_sgpr_workgroup_id_z 0
		.amdhsa_system_sgpr_workgroup_info 0
		.amdhsa_system_vgpr_workitem_id 0
		.amdhsa_next_free_vgpr 4
		.amdhsa_next_free_sgpr 6
		.amdhsa_accum_offset 4
		.amdhsa_reserve_vcc 1
		.amdhsa_reserve_flat_scratch 0
		.amdhsa_float_round_mode_32 0
		.amdhsa_float_round_mode_16_64 0
		.amdhsa_float_denorm_mode_32 3
		.amdhsa_float_denorm_mode_16_64 3
		.amdhsa_dx10_clamp 1
		.amdhsa_ieee_mode 1
		.amdhsa_fp16_overflow 0
		.amdhsa_tg_split 0
		.amdhsa_exception_fp_ieee_invalid_op 0
		.amdhsa_exception_fp_denorm_src 0
		.amdhsa_exception_fp_ieee_div_zero 0
		.amdhsa_exception_fp_ieee_overflow 0
		.amdhsa_exception_fp_ieee_underflow 0
		.amdhsa_exception_fp_ieee_inexact 0
		.amdhsa_exception_int_div_zero 0
	.end_amdhsa_kernel
	.section	.text._ZN9rocsparseL25csrgemm_max_row_nnz_part2ILj256EiEEvPT0_,"axG",@progbits,_ZN9rocsparseL25csrgemm_max_row_nnz_part2ILj256EiEEvPT0_,comdat
.Lfunc_end1:
	.size	_ZN9rocsparseL25csrgemm_max_row_nnz_part2ILj256EiEEvPT0_, .Lfunc_end1-_ZN9rocsparseL25csrgemm_max_row_nnz_part2ILj256EiEEvPT0_
                                        ; -- End function
	.section	.AMDGPU.csdata,"",@progbits
; Kernel info:
; codeLenInByte = 472
; NumSgprs: 10
; NumVgprs: 4
; NumAgprs: 0
; TotalNumVgprs: 4
; ScratchSize: 0
; MemoryBound: 0
; FloatMode: 240
; IeeeMode: 1
; LDSByteSize: 1024 bytes/workgroup (compile time only)
; SGPRBlocks: 1
; VGPRBlocks: 0
; NumSGPRsForWavesPerEU: 10
; NumVGPRsForWavesPerEU: 4
; AccumOffset: 4
; Occupancy: 8
; WaveLimiterHint : 0
; COMPUTE_PGM_RSRC2:SCRATCH_EN: 0
; COMPUTE_PGM_RSRC2:USER_SGPR: 6
; COMPUTE_PGM_RSRC2:TRAP_HANDLER: 0
; COMPUTE_PGM_RSRC2:TGID_X_EN: 1
; COMPUTE_PGM_RSRC2:TGID_Y_EN: 0
; COMPUTE_PGM_RSRC2:TGID_Z_EN: 0
; COMPUTE_PGM_RSRC2:TIDIG_COMP_CNT: 0
; COMPUTE_PGM_RSRC3_GFX90A:ACCUM_OFFSET: 0
; COMPUTE_PGM_RSRC3_GFX90A:TG_SPLIT: 0
	.section	.text._ZN9rocsparseL26bsrgemm_group_reduce_part2ILj256ELj8ELj2EfiiEEvT4_PKT3_PS1_Pi,"axG",@progbits,_ZN9rocsparseL26bsrgemm_group_reduce_part2ILj256ELj8ELj2EfiiEEvT4_PKT3_PS1_Pi,comdat
	.globl	_ZN9rocsparseL26bsrgemm_group_reduce_part2ILj256ELj8ELj2EfiiEEvT4_PKT3_PS1_Pi ; -- Begin function _ZN9rocsparseL26bsrgemm_group_reduce_part2ILj256ELj8ELj2EfiiEEvT4_PKT3_PS1_Pi
	.p2align	8
	.type	_ZN9rocsparseL26bsrgemm_group_reduce_part2ILj256ELj8ELj2EfiiEEvT4_PKT3_PS1_Pi,@function
_ZN9rocsparseL26bsrgemm_group_reduce_part2ILj256ELj8ELj2EfiiEEvT4_PKT3_PS1_Pi: ; @_ZN9rocsparseL26bsrgemm_group_reduce_part2ILj256ELj8ELj2EfiiEEvT4_PKT3_PS1_Pi
; %bb.0:
	s_mov_b32 s8, 0
	s_load_dword s7, s[4:5], 0x0
	s_load_dwordx2 s[2:3], s[4:5], 0x10
	s_mov_b32 s9, s8
	s_mov_b32 s10, s8
	;; [unrolled: 1-line block ×3, first 2 shown]
	v_pk_mov_b32 v[2:3], s[8:9], s[8:9] op_sel:[0,1]
	v_lshlrev_b32_e32 v1, 5, v0
	v_pk_mov_b32 v[4:5], s[10:11], s[10:11] op_sel:[0,1]
	ds_write_b128 v1, v[2:5]
	ds_write_b128 v1, v[2:5] offset:16
	v_lshl_or_b32 v2, s6, 8, v0
	s_waitcnt lgkmcnt(0)
	v_cmp_gt_i32_e32 vcc, s7, v2
	s_and_saveexec_b64 s[8:9], vcc
	s_cbranch_execz .LBB2_31
; %bb.1:
	s_load_dword s0, s[4:5], 0x20
	s_load_dwordx2 s[10:11], s[4:5], 0x8
	s_load_dwordx2 s[12:13], s[4:5], 0x18
	s_mov_b64 s[4:5], 0
	s_movk_i32 s27, 0x100
	s_waitcnt lgkmcnt(0)
	s_lshl_b32 s26, s0, 8
	v_mov_b32_e32 v6, s11
	s_movk_i32 s11, 0x80
	s_movk_i32 s28, 0x200
	v_mov_b32_e32 v7, 7
	v_mov_b32_e32 v8, 6
	;; [unrolled: 1-line block ×8, first 2 shown]
	s_branch .LBB2_3
.LBB2_2:                                ;   in Loop: Header=BB2_3 Depth=1
	s_or_b64 exec, exec, s[0:1]
	v_add_u32_e32 v2, s26, v2
	v_cmp_le_i32_e32 vcc, s7, v2
	s_or_b64 s[4:5], vcc, s[4:5]
	s_andn2_b64 exec, exec, s[4:5]
	s_cbranch_execz .LBB2_31
.LBB2_3:                                ; =>This Inner Loop Header: Depth=1
	v_ashrrev_i32_e32 v3, 31, v2
	v_lshlrev_b64 v[4:5], 2, v[2:3]
	v_add_co_u32_e32 v16, vcc, s10, v4
	v_addc_co_u32_e32 v17, vcc, v6, v5, vcc
	global_load_dwordx2 v[16:17], v[16:17], off
	s_waitcnt vmcnt(0)
	v_sub_u32_e32 v3, v17, v16
	v_cmp_lt_i32_e32 vcc, 8, v3
	s_and_saveexec_b64 s[0:1], vcc
	s_xor_b64 s[14:15], exec, s[0:1]
	s_cbranch_execz .LBB2_29
; %bb.4:                                ;   in Loop: Header=BB2_3 Depth=1
	v_cmp_lt_u32_e32 vcc, 16, v3
	s_and_saveexec_b64 s[0:1], vcc
	s_xor_b64 s[16:17], exec, s[0:1]
	s_cbranch_execz .LBB2_26
; %bb.5:                                ;   in Loop: Header=BB2_3 Depth=1
	v_cmp_lt_u32_e32 vcc, 32, v3
	;; [unrolled: 5-line block ×6, first 2 shown]
	v_mov_b32_e32 v3, s13
	v_add_co_u32_e64 v4, s[0:1], s12, v4
	v_addc_co_u32_e64 v5, s[0:1], v3, v5, s[0:1]
	s_and_saveexec_b64 s[0:1], vcc
	s_xor_b64 s[0:1], exec, s[0:1]
	s_cbranch_execz .LBB2_11
; %bb.10:                               ;   in Loop: Header=BB2_3 Depth=1
	ds_read_b32 v3, v1 offset:28
	global_store_dword v[4:5], v7, off
                                        ; implicit-def: $vgpr4_vgpr5
	s_waitcnt lgkmcnt(0)
	v_add_u32_e32 v3, 1, v3
	ds_write_b32 v1, v3 offset:28
.LBB2_11:                               ;   in Loop: Header=BB2_3 Depth=1
	s_andn2_saveexec_b64 s[0:1], s[0:1]
	s_cbranch_execz .LBB2_13
; %bb.12:                               ;   in Loop: Header=BB2_3 Depth=1
	ds_read_b32 v3, v1 offset:24
	global_store_dword v[4:5], v8, off
	s_waitcnt lgkmcnt(0)
	v_add_u32_e32 v3, 1, v3
	ds_write_b32 v1, v3 offset:24
.LBB2_13:                               ;   in Loop: Header=BB2_3 Depth=1
	s_or_b64 exec, exec, s[0:1]
                                        ; implicit-def: $vgpr4_vgpr5
.LBB2_14:                               ;   in Loop: Header=BB2_3 Depth=1
	s_andn2_saveexec_b64 s[0:1], s[24:25]
	s_cbranch_execz .LBB2_16
; %bb.15:                               ;   in Loop: Header=BB2_3 Depth=1
	ds_read_b32 v3, v1 offset:20
	v_mov_b32_e32 v15, s13
	v_add_co_u32_e32 v4, vcc, s12, v4
	v_addc_co_u32_e32 v5, vcc, v15, v5, vcc
	s_waitcnt lgkmcnt(0)
	v_add_u32_e32 v3, 1, v3
	ds_write_b32 v1, v3 offset:20
	global_store_dword v[4:5], v9, off
.LBB2_16:                               ;   in Loop: Header=BB2_3 Depth=1
	s_or_b64 exec, exec, s[0:1]
                                        ; implicit-def: $vgpr4_vgpr5
.LBB2_17:                               ;   in Loop: Header=BB2_3 Depth=1
	s_andn2_saveexec_b64 s[0:1], s[22:23]
	s_cbranch_execz .LBB2_19
; %bb.18:                               ;   in Loop: Header=BB2_3 Depth=1
	ds_read_b32 v3, v1 offset:16
	v_mov_b32_e32 v15, s13
	v_add_co_u32_e32 v4, vcc, s12, v4
	v_addc_co_u32_e32 v5, vcc, v15, v5, vcc
	s_waitcnt lgkmcnt(0)
	v_add_u32_e32 v3, 1, v3
	ds_write_b32 v1, v3 offset:16
	global_store_dword v[4:5], v10, off
.LBB2_19:                               ;   in Loop: Header=BB2_3 Depth=1
	s_or_b64 exec, exec, s[0:1]
                                        ; implicit-def: $vgpr4_vgpr5
.LBB2_20:                               ;   in Loop: Header=BB2_3 Depth=1
	s_andn2_saveexec_b64 s[0:1], s[20:21]
	s_cbranch_execz .LBB2_22
; %bb.21:                               ;   in Loop: Header=BB2_3 Depth=1
	ds_read_b32 v3, v1 offset:12
	v_mov_b32_e32 v15, s13
	v_add_co_u32_e32 v4, vcc, s12, v4
	v_addc_co_u32_e32 v5, vcc, v15, v5, vcc
	s_waitcnt lgkmcnt(0)
	v_add_u32_e32 v3, 1, v3
	ds_write_b32 v1, v3 offset:12
	global_store_dword v[4:5], v11, off
.LBB2_22:                               ;   in Loop: Header=BB2_3 Depth=1
	s_or_b64 exec, exec, s[0:1]
                                        ; implicit-def: $vgpr4_vgpr5
.LBB2_23:                               ;   in Loop: Header=BB2_3 Depth=1
	s_andn2_saveexec_b64 s[0:1], s[18:19]
	s_cbranch_execz .LBB2_25
; %bb.24:                               ;   in Loop: Header=BB2_3 Depth=1
	ds_read_b32 v3, v1 offset:8
	v_mov_b32_e32 v15, s13
	v_add_co_u32_e32 v4, vcc, s12, v4
	v_addc_co_u32_e32 v5, vcc, v15, v5, vcc
	s_waitcnt lgkmcnt(0)
	v_add_u32_e32 v3, 1, v3
	ds_write_b32 v1, v3 offset:8
	global_store_dword v[4:5], v12, off
.LBB2_25:                               ;   in Loop: Header=BB2_3 Depth=1
	s_or_b64 exec, exec, s[0:1]
                                        ; implicit-def: $vgpr4_vgpr5
.LBB2_26:                               ;   in Loop: Header=BB2_3 Depth=1
	s_andn2_saveexec_b64 s[0:1], s[16:17]
	s_cbranch_execz .LBB2_28
; %bb.27:                               ;   in Loop: Header=BB2_3 Depth=1
	ds_read_b32 v3, v1 offset:4
	v_mov_b32_e32 v15, s13
	v_add_co_u32_e32 v4, vcc, s12, v4
	v_addc_co_u32_e32 v5, vcc, v15, v5, vcc
	s_waitcnt lgkmcnt(0)
	v_add_u32_e32 v3, 1, v3
	ds_write_b32 v1, v3 offset:4
	global_store_dword v[4:5], v13, off
.LBB2_28:                               ;   in Loop: Header=BB2_3 Depth=1
	s_or_b64 exec, exec, s[0:1]
                                        ; implicit-def: $vgpr4_vgpr5
.LBB2_29:                               ;   in Loop: Header=BB2_3 Depth=1
	s_andn2_saveexec_b64 s[0:1], s[14:15]
	s_cbranch_execz .LBB2_2
; %bb.30:                               ;   in Loop: Header=BB2_3 Depth=1
	ds_read_b32 v3, v1
	v_mov_b32_e32 v15, s13
	v_add_co_u32_e32 v4, vcc, s12, v4
	v_addc_co_u32_e32 v5, vcc, v15, v5, vcc
	s_waitcnt lgkmcnt(0)
	v_add_u32_e32 v3, 1, v3
	ds_write_b32 v1, v3
	global_store_dword v[4:5], v14, off
	s_branch .LBB2_2
.LBB2_31:
	s_or_b64 exec, exec, s[8:9]
	s_movk_i32 s0, 0x80
	v_cmp_gt_u32_e32 vcc, s0, v0
	s_waitcnt lgkmcnt(0)
	s_barrier
	s_barrier
	;; [unrolled: 1-line block ×3, first 2 shown]
	s_and_saveexec_b64 s[0:1], vcc
	s_cbranch_execz .LBB2_33
; %bb.32:
	ds_read_b128 v[2:5], v1 offset:4096
	ds_read_b128 v[6:9], v1
	ds_read_b128 v[10:13], v1 offset:16
	ds_read_b128 v[14:17], v1 offset:4112
	s_waitcnt lgkmcnt(2)
	v_add_u32_e32 v3, v7, v3
	v_add_u32_e32 v2, v6, v2
	v_add_u32_e32 v5, v9, v5
	v_add_u32_e32 v4, v8, v4
	ds_write_b128 v1, v[2:5]
	s_waitcnt lgkmcnt(1)
	v_add_u32_e32 v3, v11, v15
	v_add_u32_e32 v2, v10, v14
	v_add_u32_e32 v5, v13, v17
	v_add_u32_e32 v4, v12, v16
	ds_write_b128 v1, v[2:5] offset:16
.LBB2_33:
	s_or_b64 exec, exec, s[0:1]
	v_cmp_gt_u32_e32 vcc, 64, v0
	s_waitcnt lgkmcnt(0)
	s_barrier
	s_and_saveexec_b64 s[0:1], vcc
	s_cbranch_execz .LBB2_35
; %bb.34:
	ds_read_b128 v[2:5], v1 offset:2048
	ds_read_b128 v[6:9], v1
	ds_read_b128 v[10:13], v1 offset:16
	ds_read_b128 v[14:17], v1 offset:2064
	s_waitcnt lgkmcnt(2)
	v_add_u32_e32 v3, v7, v3
	v_add_u32_e32 v2, v6, v2
	v_add_u32_e32 v5, v9, v5
	v_add_u32_e32 v4, v8, v4
	ds_write_b128 v1, v[2:5]
	s_waitcnt lgkmcnt(1)
	v_add_u32_e32 v3, v11, v15
	v_add_u32_e32 v2, v10, v14
	v_add_u32_e32 v5, v13, v17
	v_add_u32_e32 v4, v12, v16
	ds_write_b128 v1, v[2:5] offset:16
.LBB2_35:
	s_or_b64 exec, exec, s[0:1]
	v_cmp_gt_u32_e32 vcc, 32, v0
	s_waitcnt lgkmcnt(0)
	s_barrier
	;; [unrolled: 24-line block ×4, first 2 shown]
	s_and_saveexec_b64 s[0:1], vcc
	s_cbranch_execz .LBB2_41
; %bb.40:
	ds_read_b128 v[2:5], v1 offset:256
	ds_read_b128 v[6:9], v1
	ds_read_b128 v[10:13], v1 offset:16
	ds_read_b128 v[14:17], v1 offset:272
	s_waitcnt lgkmcnt(2)
	v_add_u32_e32 v3, v7, v3
	v_add_u32_e32 v2, v6, v2
	;; [unrolled: 1-line block ×4, first 2 shown]
	ds_write_b128 v1, v[2:5]
	s_waitcnt lgkmcnt(1)
	v_add_u32_e32 v3, v11, v15
	v_add_u32_e32 v2, v10, v14
	;; [unrolled: 1-line block ×4, first 2 shown]
	ds_write_b128 v1, v[2:5] offset:16
.LBB2_41:
	s_or_b64 exec, exec, s[0:1]
	v_cmp_gt_u32_e64 s[0:1], 4, v0
	s_waitcnt lgkmcnt(0)
	s_barrier
	s_and_saveexec_b64 s[4:5], s[0:1]
	s_cbranch_execz .LBB2_43
; %bb.42:
	ds_read_b128 v[2:5], v1 offset:128
	ds_read_b128 v[6:9], v1
	ds_read_b128 v[10:13], v1 offset:16
	ds_read_b128 v[14:17], v1 offset:144
	s_waitcnt lgkmcnt(2)
	v_add_u32_e32 v3, v7, v3
	v_add_u32_e32 v2, v6, v2
	;; [unrolled: 1-line block ×4, first 2 shown]
	ds_write_b128 v1, v[2:5]
	s_waitcnt lgkmcnt(1)
	v_add_u32_e32 v3, v11, v15
	v_add_u32_e32 v2, v10, v14
	;; [unrolled: 1-line block ×4, first 2 shown]
	ds_write_b128 v1, v[2:5] offset:16
.LBB2_43:
	s_or_b64 exec, exec, s[4:5]
	v_cmp_gt_u32_e64 s[0:1], 2, v0
	s_waitcnt lgkmcnt(0)
	s_barrier
	s_and_saveexec_b64 s[4:5], s[0:1]
	s_cbranch_execz .LBB2_45
; %bb.44:
	ds_read_b128 v[2:5], v1 offset:64
	ds_read_b128 v[6:9], v1
	ds_read_b128 v[10:13], v1 offset:16
	ds_read_b128 v[14:17], v1 offset:80
	s_waitcnt lgkmcnt(2)
	v_add_u32_e32 v3, v7, v3
	v_add_u32_e32 v2, v6, v2
	;; [unrolled: 1-line block ×4, first 2 shown]
	ds_write_b128 v1, v[2:5]
	s_waitcnt lgkmcnt(1)
	v_add_u32_e32 v3, v11, v15
	v_add_u32_e32 v2, v10, v14
	;; [unrolled: 1-line block ×4, first 2 shown]
	ds_write_b128 v1, v[2:5] offset:16
.LBB2_45:
	s_or_b64 exec, exec, s[4:5]
	v_cmp_eq_u32_e64 s[0:1], 0, v0
	s_waitcnt lgkmcnt(0)
	s_barrier
	s_and_saveexec_b64 s[4:5], s[0:1]
	s_cbranch_execz .LBB2_47
; %bb.46:
	v_mov_b32_e32 v1, 0
	ds_read_b128 v[2:5], v1 offset:32
	ds_read_b128 v[6:9], v1
	ds_read_b128 v[10:13], v1 offset:16
	ds_read_b128 v[14:17], v1 offset:48
	s_waitcnt lgkmcnt(2)
	v_add_u32_e32 v3, v7, v3
	v_add_u32_e32 v2, v6, v2
	;; [unrolled: 1-line block ×4, first 2 shown]
	ds_write_b128 v1, v[2:5]
	s_waitcnt lgkmcnt(1)
	v_add_u32_e32 v3, v11, v15
	v_add_u32_e32 v2, v10, v14
	;; [unrolled: 1-line block ×4, first 2 shown]
	ds_write_b128 v1, v[2:5] offset:16
.LBB2_47:
	s_or_b64 exec, exec, s[4:5]
	s_waitcnt lgkmcnt(0)
	s_barrier
	s_and_saveexec_b64 s[0:1], vcc
	s_cbranch_execz .LBB2_49
; %bb.48:
	v_lshl_or_b32 v2, s6, 3, v0
	v_lshlrev_b32_e32 v0, 2, v0
	ds_read_b32 v4, v0
	v_mov_b32_e32 v3, 0
	v_lshlrev_b64 v[2:3], 2, v[2:3]
	v_mov_b32_e32 v1, s3
	v_add_co_u32_e32 v0, vcc, s2, v2
	v_addc_co_u32_e32 v1, vcc, v1, v3, vcc
	s_waitcnt lgkmcnt(0)
	global_store_dword v[0:1], v4, off
.LBB2_49:
	s_endpgm
	.section	.rodata,"a",@progbits
	.p2align	6, 0x0
	.amdhsa_kernel _ZN9rocsparseL26bsrgemm_group_reduce_part2ILj256ELj8ELj2EfiiEEvT4_PKT3_PS1_Pi
		.amdhsa_group_segment_fixed_size 8192
		.amdhsa_private_segment_fixed_size 0
		.amdhsa_kernarg_size 288
		.amdhsa_user_sgpr_count 6
		.amdhsa_user_sgpr_private_segment_buffer 1
		.amdhsa_user_sgpr_dispatch_ptr 0
		.amdhsa_user_sgpr_queue_ptr 0
		.amdhsa_user_sgpr_kernarg_segment_ptr 1
		.amdhsa_user_sgpr_dispatch_id 0
		.amdhsa_user_sgpr_flat_scratch_init 0
		.amdhsa_user_sgpr_kernarg_preload_length 0
		.amdhsa_user_sgpr_kernarg_preload_offset 0
		.amdhsa_user_sgpr_private_segment_size 0
		.amdhsa_uses_dynamic_stack 0
		.amdhsa_system_sgpr_private_segment_wavefront_offset 0
		.amdhsa_system_sgpr_workgroup_id_x 1
		.amdhsa_system_sgpr_workgroup_id_y 0
		.amdhsa_system_sgpr_workgroup_id_z 0
		.amdhsa_system_sgpr_workgroup_info 0
		.amdhsa_system_vgpr_workitem_id 0
		.amdhsa_next_free_vgpr 18
		.amdhsa_next_free_sgpr 29
		.amdhsa_accum_offset 20
		.amdhsa_reserve_vcc 1
		.amdhsa_reserve_flat_scratch 0
		.amdhsa_float_round_mode_32 0
		.amdhsa_float_round_mode_16_64 0
		.amdhsa_float_denorm_mode_32 3
		.amdhsa_float_denorm_mode_16_64 3
		.amdhsa_dx10_clamp 1
		.amdhsa_ieee_mode 1
		.amdhsa_fp16_overflow 0
		.amdhsa_tg_split 0
		.amdhsa_exception_fp_ieee_invalid_op 0
		.amdhsa_exception_fp_denorm_src 0
		.amdhsa_exception_fp_ieee_div_zero 0
		.amdhsa_exception_fp_ieee_overflow 0
		.amdhsa_exception_fp_ieee_underflow 0
		.amdhsa_exception_fp_ieee_inexact 0
		.amdhsa_exception_int_div_zero 0
	.end_amdhsa_kernel
	.section	.text._ZN9rocsparseL26bsrgemm_group_reduce_part2ILj256ELj8ELj2EfiiEEvT4_PKT3_PS1_Pi,"axG",@progbits,_ZN9rocsparseL26bsrgemm_group_reduce_part2ILj256ELj8ELj2EfiiEEvT4_PKT3_PS1_Pi,comdat
.Lfunc_end2:
	.size	_ZN9rocsparseL26bsrgemm_group_reduce_part2ILj256ELj8ELj2EfiiEEvT4_PKT3_PS1_Pi, .Lfunc_end2-_ZN9rocsparseL26bsrgemm_group_reduce_part2ILj256ELj8ELj2EfiiEEvT4_PKT3_PS1_Pi
                                        ; -- End function
	.section	.AMDGPU.csdata,"",@progbits
; Kernel info:
; codeLenInByte = 1788
; NumSgprs: 33
; NumVgprs: 18
; NumAgprs: 0
; TotalNumVgprs: 18
; ScratchSize: 0
; MemoryBound: 0
; FloatMode: 240
; IeeeMode: 1
; LDSByteSize: 8192 bytes/workgroup (compile time only)
; SGPRBlocks: 4
; VGPRBlocks: 2
; NumSGPRsForWavesPerEU: 33
; NumVGPRsForWavesPerEU: 18
; AccumOffset: 20
; Occupancy: 8
; WaveLimiterHint : 0
; COMPUTE_PGM_RSRC2:SCRATCH_EN: 0
; COMPUTE_PGM_RSRC2:USER_SGPR: 6
; COMPUTE_PGM_RSRC2:TRAP_HANDLER: 0
; COMPUTE_PGM_RSRC2:TGID_X_EN: 1
; COMPUTE_PGM_RSRC2:TGID_Y_EN: 0
; COMPUTE_PGM_RSRC2:TGID_Z_EN: 0
; COMPUTE_PGM_RSRC2:TIDIG_COMP_CNT: 0
; COMPUTE_PGM_RSRC3_GFX90A:ACCUM_OFFSET: 4
; COMPUTE_PGM_RSRC3_GFX90A:TG_SPLIT: 0
	.section	.text._ZN9rocsparseL26bsrgemm_group_reduce_part2ILj256ELj8ELj8EfiiEEvT4_PKT3_PS1_Pi,"axG",@progbits,_ZN9rocsparseL26bsrgemm_group_reduce_part2ILj256ELj8ELj8EfiiEEvT4_PKT3_PS1_Pi,comdat
	.globl	_ZN9rocsparseL26bsrgemm_group_reduce_part2ILj256ELj8ELj8EfiiEEvT4_PKT3_PS1_Pi ; -- Begin function _ZN9rocsparseL26bsrgemm_group_reduce_part2ILj256ELj8ELj8EfiiEEvT4_PKT3_PS1_Pi
	.p2align	8
	.type	_ZN9rocsparseL26bsrgemm_group_reduce_part2ILj256ELj8ELj8EfiiEEvT4_PKT3_PS1_Pi,@function
_ZN9rocsparseL26bsrgemm_group_reduce_part2ILj256ELj8ELj8EfiiEEvT4_PKT3_PS1_Pi: ; @_ZN9rocsparseL26bsrgemm_group_reduce_part2ILj256ELj8ELj8EfiiEEvT4_PKT3_PS1_Pi
; %bb.0:
	s_mov_b32 s8, 0
	s_load_dword s7, s[4:5], 0x0
	s_load_dwordx2 s[2:3], s[4:5], 0x10
	s_mov_b32 s9, s8
	s_mov_b32 s10, s8
	;; [unrolled: 1-line block ×3, first 2 shown]
	v_pk_mov_b32 v[2:3], s[8:9], s[8:9] op_sel:[0,1]
	v_lshlrev_b32_e32 v1, 5, v0
	v_pk_mov_b32 v[4:5], s[10:11], s[10:11] op_sel:[0,1]
	ds_write_b128 v1, v[2:5]
	ds_write_b128 v1, v[2:5] offset:16
	v_lshl_or_b32 v2, s6, 8, v0
	s_waitcnt lgkmcnt(0)
	v_cmp_gt_i32_e32 vcc, s7, v2
	s_and_saveexec_b64 s[8:9], vcc
	s_cbranch_execz .LBB3_31
; %bb.1:
	s_load_dword s0, s[4:5], 0x20
	s_load_dwordx2 s[10:11], s[4:5], 0x8
	s_load_dwordx2 s[12:13], s[4:5], 0x18
	s_mov_b64 s[4:5], 0
	s_movk_i32 s27, 0x100
	s_waitcnt lgkmcnt(0)
	s_lshl_b32 s26, s0, 8
	v_mov_b32_e32 v6, s11
	s_movk_i32 s11, 0x80
	s_movk_i32 s28, 0x200
	v_mov_b32_e32 v7, 7
	v_mov_b32_e32 v8, 6
	;; [unrolled: 1-line block ×8, first 2 shown]
	s_branch .LBB3_3
.LBB3_2:                                ;   in Loop: Header=BB3_3 Depth=1
	s_or_b64 exec, exec, s[0:1]
	v_add_u32_e32 v2, s26, v2
	v_cmp_le_i32_e32 vcc, s7, v2
	s_or_b64 s[4:5], vcc, s[4:5]
	s_andn2_b64 exec, exec, s[4:5]
	s_cbranch_execz .LBB3_31
.LBB3_3:                                ; =>This Inner Loop Header: Depth=1
	v_ashrrev_i32_e32 v3, 31, v2
	v_lshlrev_b64 v[4:5], 2, v[2:3]
	v_add_co_u32_e32 v16, vcc, s10, v4
	v_addc_co_u32_e32 v17, vcc, v6, v5, vcc
	global_load_dwordx2 v[16:17], v[16:17], off
	s_waitcnt vmcnt(0)
	v_sub_u32_e32 v3, v17, v16
	v_cmp_lt_i32_e32 vcc, 8, v3
	s_and_saveexec_b64 s[0:1], vcc
	s_xor_b64 s[14:15], exec, s[0:1]
	s_cbranch_execz .LBB3_29
; %bb.4:                                ;   in Loop: Header=BB3_3 Depth=1
	v_cmp_lt_u32_e32 vcc, 16, v3
	s_and_saveexec_b64 s[0:1], vcc
	s_xor_b64 s[16:17], exec, s[0:1]
	s_cbranch_execz .LBB3_26
; %bb.5:                                ;   in Loop: Header=BB3_3 Depth=1
	v_cmp_lt_u32_e32 vcc, 32, v3
	;; [unrolled: 5-line block ×6, first 2 shown]
	v_mov_b32_e32 v3, s13
	v_add_co_u32_e64 v4, s[0:1], s12, v4
	v_addc_co_u32_e64 v5, s[0:1], v3, v5, s[0:1]
	s_and_saveexec_b64 s[0:1], vcc
	s_xor_b64 s[0:1], exec, s[0:1]
	s_cbranch_execz .LBB3_11
; %bb.10:                               ;   in Loop: Header=BB3_3 Depth=1
	ds_read_b32 v3, v1 offset:28
	global_store_dword v[4:5], v7, off
                                        ; implicit-def: $vgpr4_vgpr5
	s_waitcnt lgkmcnt(0)
	v_add_u32_e32 v3, 1, v3
	ds_write_b32 v1, v3 offset:28
.LBB3_11:                               ;   in Loop: Header=BB3_3 Depth=1
	s_andn2_saveexec_b64 s[0:1], s[0:1]
	s_cbranch_execz .LBB3_13
; %bb.12:                               ;   in Loop: Header=BB3_3 Depth=1
	ds_read_b32 v3, v1 offset:24
	global_store_dword v[4:5], v8, off
	s_waitcnt lgkmcnt(0)
	v_add_u32_e32 v3, 1, v3
	ds_write_b32 v1, v3 offset:24
.LBB3_13:                               ;   in Loop: Header=BB3_3 Depth=1
	s_or_b64 exec, exec, s[0:1]
                                        ; implicit-def: $vgpr4_vgpr5
.LBB3_14:                               ;   in Loop: Header=BB3_3 Depth=1
	s_andn2_saveexec_b64 s[0:1], s[24:25]
	s_cbranch_execz .LBB3_16
; %bb.15:                               ;   in Loop: Header=BB3_3 Depth=1
	ds_read_b32 v3, v1 offset:20
	v_mov_b32_e32 v15, s13
	v_add_co_u32_e32 v4, vcc, s12, v4
	v_addc_co_u32_e32 v5, vcc, v15, v5, vcc
	s_waitcnt lgkmcnt(0)
	v_add_u32_e32 v3, 1, v3
	ds_write_b32 v1, v3 offset:20
	global_store_dword v[4:5], v9, off
.LBB3_16:                               ;   in Loop: Header=BB3_3 Depth=1
	s_or_b64 exec, exec, s[0:1]
                                        ; implicit-def: $vgpr4_vgpr5
.LBB3_17:                               ;   in Loop: Header=BB3_3 Depth=1
	s_andn2_saveexec_b64 s[0:1], s[22:23]
	s_cbranch_execz .LBB3_19
; %bb.18:                               ;   in Loop: Header=BB3_3 Depth=1
	ds_read_b32 v3, v1 offset:16
	v_mov_b32_e32 v15, s13
	v_add_co_u32_e32 v4, vcc, s12, v4
	v_addc_co_u32_e32 v5, vcc, v15, v5, vcc
	s_waitcnt lgkmcnt(0)
	v_add_u32_e32 v3, 1, v3
	ds_write_b32 v1, v3 offset:16
	global_store_dword v[4:5], v10, off
.LBB3_19:                               ;   in Loop: Header=BB3_3 Depth=1
	s_or_b64 exec, exec, s[0:1]
                                        ; implicit-def: $vgpr4_vgpr5
.LBB3_20:                               ;   in Loop: Header=BB3_3 Depth=1
	s_andn2_saveexec_b64 s[0:1], s[20:21]
	s_cbranch_execz .LBB3_22
; %bb.21:                               ;   in Loop: Header=BB3_3 Depth=1
	ds_read_b32 v3, v1 offset:12
	v_mov_b32_e32 v15, s13
	v_add_co_u32_e32 v4, vcc, s12, v4
	v_addc_co_u32_e32 v5, vcc, v15, v5, vcc
	s_waitcnt lgkmcnt(0)
	v_add_u32_e32 v3, 1, v3
	ds_write_b32 v1, v3 offset:12
	global_store_dword v[4:5], v11, off
.LBB3_22:                               ;   in Loop: Header=BB3_3 Depth=1
	s_or_b64 exec, exec, s[0:1]
                                        ; implicit-def: $vgpr4_vgpr5
.LBB3_23:                               ;   in Loop: Header=BB3_3 Depth=1
	s_andn2_saveexec_b64 s[0:1], s[18:19]
	s_cbranch_execz .LBB3_25
; %bb.24:                               ;   in Loop: Header=BB3_3 Depth=1
	ds_read_b32 v3, v1 offset:8
	v_mov_b32_e32 v15, s13
	v_add_co_u32_e32 v4, vcc, s12, v4
	v_addc_co_u32_e32 v5, vcc, v15, v5, vcc
	s_waitcnt lgkmcnt(0)
	v_add_u32_e32 v3, 1, v3
	ds_write_b32 v1, v3 offset:8
	global_store_dword v[4:5], v12, off
.LBB3_25:                               ;   in Loop: Header=BB3_3 Depth=1
	s_or_b64 exec, exec, s[0:1]
                                        ; implicit-def: $vgpr4_vgpr5
.LBB3_26:                               ;   in Loop: Header=BB3_3 Depth=1
	s_andn2_saveexec_b64 s[0:1], s[16:17]
	s_cbranch_execz .LBB3_28
; %bb.27:                               ;   in Loop: Header=BB3_3 Depth=1
	ds_read_b32 v3, v1 offset:4
	v_mov_b32_e32 v15, s13
	v_add_co_u32_e32 v4, vcc, s12, v4
	v_addc_co_u32_e32 v5, vcc, v15, v5, vcc
	s_waitcnt lgkmcnt(0)
	v_add_u32_e32 v3, 1, v3
	ds_write_b32 v1, v3 offset:4
	global_store_dword v[4:5], v13, off
.LBB3_28:                               ;   in Loop: Header=BB3_3 Depth=1
	s_or_b64 exec, exec, s[0:1]
                                        ; implicit-def: $vgpr4_vgpr5
.LBB3_29:                               ;   in Loop: Header=BB3_3 Depth=1
	s_andn2_saveexec_b64 s[0:1], s[14:15]
	s_cbranch_execz .LBB3_2
; %bb.30:                               ;   in Loop: Header=BB3_3 Depth=1
	ds_read_b32 v3, v1
	v_mov_b32_e32 v15, s13
	v_add_co_u32_e32 v4, vcc, s12, v4
	v_addc_co_u32_e32 v5, vcc, v15, v5, vcc
	s_waitcnt lgkmcnt(0)
	v_add_u32_e32 v3, 1, v3
	ds_write_b32 v1, v3
	global_store_dword v[4:5], v14, off
	s_branch .LBB3_2
.LBB3_31:
	s_or_b64 exec, exec, s[8:9]
	s_movk_i32 s0, 0x80
	v_cmp_gt_u32_e32 vcc, s0, v0
	s_waitcnt lgkmcnt(0)
	s_barrier
	s_barrier
	;; [unrolled: 1-line block ×3, first 2 shown]
	s_and_saveexec_b64 s[0:1], vcc
	s_cbranch_execz .LBB3_33
; %bb.32:
	ds_read_b128 v[2:5], v1 offset:4096
	ds_read_b128 v[6:9], v1
	ds_read_b128 v[10:13], v1 offset:16
	ds_read_b128 v[14:17], v1 offset:4112
	s_waitcnt lgkmcnt(2)
	v_add_u32_e32 v3, v7, v3
	v_add_u32_e32 v2, v6, v2
	v_add_u32_e32 v5, v9, v5
	v_add_u32_e32 v4, v8, v4
	ds_write_b128 v1, v[2:5]
	s_waitcnt lgkmcnt(1)
	v_add_u32_e32 v3, v11, v15
	v_add_u32_e32 v2, v10, v14
	v_add_u32_e32 v5, v13, v17
	v_add_u32_e32 v4, v12, v16
	ds_write_b128 v1, v[2:5] offset:16
.LBB3_33:
	s_or_b64 exec, exec, s[0:1]
	v_cmp_gt_u32_e32 vcc, 64, v0
	s_waitcnt lgkmcnt(0)
	s_barrier
	s_and_saveexec_b64 s[0:1], vcc
	s_cbranch_execz .LBB3_35
; %bb.34:
	ds_read_b128 v[2:5], v1 offset:2048
	ds_read_b128 v[6:9], v1
	ds_read_b128 v[10:13], v1 offset:16
	ds_read_b128 v[14:17], v1 offset:2064
	s_waitcnt lgkmcnt(2)
	v_add_u32_e32 v3, v7, v3
	v_add_u32_e32 v2, v6, v2
	v_add_u32_e32 v5, v9, v5
	v_add_u32_e32 v4, v8, v4
	ds_write_b128 v1, v[2:5]
	s_waitcnt lgkmcnt(1)
	v_add_u32_e32 v3, v11, v15
	v_add_u32_e32 v2, v10, v14
	v_add_u32_e32 v5, v13, v17
	v_add_u32_e32 v4, v12, v16
	ds_write_b128 v1, v[2:5] offset:16
.LBB3_35:
	s_or_b64 exec, exec, s[0:1]
	v_cmp_gt_u32_e32 vcc, 32, v0
	s_waitcnt lgkmcnt(0)
	s_barrier
	s_and_saveexec_b64 s[0:1], vcc
	s_cbranch_execz .LBB3_37
; %bb.36:
	ds_read_b128 v[2:5], v1 offset:1024
	ds_read_b128 v[6:9], v1
	ds_read_b128 v[10:13], v1 offset:16
	ds_read_b128 v[14:17], v1 offset:1040
	s_waitcnt lgkmcnt(2)
	v_add_u32_e32 v3, v7, v3
	v_add_u32_e32 v2, v6, v2
	v_add_u32_e32 v5, v9, v5
	v_add_u32_e32 v4, v8, v4
	ds_write_b128 v1, v[2:5]
	s_waitcnt lgkmcnt(1)
	v_add_u32_e32 v3, v11, v15
	v_add_u32_e32 v2, v10, v14
	v_add_u32_e32 v5, v13, v17
	v_add_u32_e32 v4, v12, v16
	ds_write_b128 v1, v[2:5] offset:16
.LBB3_37:
	s_or_b64 exec, exec, s[0:1]
	v_cmp_gt_u32_e32 vcc, 16, v0
	s_waitcnt lgkmcnt(0)
	s_barrier
	s_and_saveexec_b64 s[0:1], vcc
	s_cbranch_execz .LBB3_39
; %bb.38:
	ds_read_b128 v[2:5], v1 offset:512
	ds_read_b128 v[6:9], v1
	ds_read_b128 v[10:13], v1 offset:16
	ds_read_b128 v[14:17], v1 offset:528
	s_waitcnt lgkmcnt(2)
	v_add_u32_e32 v3, v7, v3
	v_add_u32_e32 v2, v6, v2
	v_add_u32_e32 v5, v9, v5
	v_add_u32_e32 v4, v8, v4
	ds_write_b128 v1, v[2:5]
	s_waitcnt lgkmcnt(1)
	v_add_u32_e32 v3, v11, v15
	v_add_u32_e32 v2, v10, v14
	v_add_u32_e32 v5, v13, v17
	v_add_u32_e32 v4, v12, v16
	ds_write_b128 v1, v[2:5] offset:16
.LBB3_39:
	s_or_b64 exec, exec, s[0:1]
	v_cmp_gt_u32_e32 vcc, 8, v0
	s_waitcnt lgkmcnt(0)
	s_barrier
	s_and_saveexec_b64 s[0:1], vcc
	s_cbranch_execz .LBB3_41
; %bb.40:
	ds_read_b128 v[2:5], v1 offset:256
	ds_read_b128 v[6:9], v1
	ds_read_b128 v[10:13], v1 offset:16
	ds_read_b128 v[14:17], v1 offset:272
	s_waitcnt lgkmcnt(2)
	v_add_u32_e32 v3, v7, v3
	v_add_u32_e32 v2, v6, v2
	;; [unrolled: 1-line block ×4, first 2 shown]
	ds_write_b128 v1, v[2:5]
	s_waitcnt lgkmcnt(1)
	v_add_u32_e32 v3, v11, v15
	v_add_u32_e32 v2, v10, v14
	;; [unrolled: 1-line block ×4, first 2 shown]
	ds_write_b128 v1, v[2:5] offset:16
.LBB3_41:
	s_or_b64 exec, exec, s[0:1]
	v_cmp_gt_u32_e64 s[0:1], 4, v0
	s_waitcnt lgkmcnt(0)
	s_barrier
	s_and_saveexec_b64 s[4:5], s[0:1]
	s_cbranch_execz .LBB3_43
; %bb.42:
	ds_read_b128 v[2:5], v1 offset:128
	ds_read_b128 v[6:9], v1
	ds_read_b128 v[10:13], v1 offset:16
	ds_read_b128 v[14:17], v1 offset:144
	s_waitcnt lgkmcnt(2)
	v_add_u32_e32 v3, v7, v3
	v_add_u32_e32 v2, v6, v2
	;; [unrolled: 1-line block ×4, first 2 shown]
	ds_write_b128 v1, v[2:5]
	s_waitcnt lgkmcnt(1)
	v_add_u32_e32 v3, v11, v15
	v_add_u32_e32 v2, v10, v14
	;; [unrolled: 1-line block ×4, first 2 shown]
	ds_write_b128 v1, v[2:5] offset:16
.LBB3_43:
	s_or_b64 exec, exec, s[4:5]
	v_cmp_gt_u32_e64 s[0:1], 2, v0
	s_waitcnt lgkmcnt(0)
	s_barrier
	s_and_saveexec_b64 s[4:5], s[0:1]
	s_cbranch_execz .LBB3_45
; %bb.44:
	ds_read_b128 v[2:5], v1 offset:64
	ds_read_b128 v[6:9], v1
	ds_read_b128 v[10:13], v1 offset:16
	ds_read_b128 v[14:17], v1 offset:80
	s_waitcnt lgkmcnt(2)
	v_add_u32_e32 v3, v7, v3
	v_add_u32_e32 v2, v6, v2
	;; [unrolled: 1-line block ×4, first 2 shown]
	ds_write_b128 v1, v[2:5]
	s_waitcnt lgkmcnt(1)
	v_add_u32_e32 v3, v11, v15
	v_add_u32_e32 v2, v10, v14
	;; [unrolled: 1-line block ×4, first 2 shown]
	ds_write_b128 v1, v[2:5] offset:16
.LBB3_45:
	s_or_b64 exec, exec, s[4:5]
	v_cmp_eq_u32_e64 s[0:1], 0, v0
	s_waitcnt lgkmcnt(0)
	s_barrier
	s_and_saveexec_b64 s[4:5], s[0:1]
	s_cbranch_execz .LBB3_47
; %bb.46:
	v_mov_b32_e32 v1, 0
	ds_read_b128 v[2:5], v1 offset:32
	ds_read_b128 v[6:9], v1
	ds_read_b128 v[10:13], v1 offset:16
	ds_read_b128 v[14:17], v1 offset:48
	s_waitcnt lgkmcnt(2)
	v_add_u32_e32 v3, v7, v3
	v_add_u32_e32 v2, v6, v2
	;; [unrolled: 1-line block ×4, first 2 shown]
	ds_write_b128 v1, v[2:5]
	s_waitcnt lgkmcnt(1)
	v_add_u32_e32 v3, v11, v15
	v_add_u32_e32 v2, v10, v14
	;; [unrolled: 1-line block ×4, first 2 shown]
	ds_write_b128 v1, v[2:5] offset:16
.LBB3_47:
	s_or_b64 exec, exec, s[4:5]
	s_waitcnt lgkmcnt(0)
	s_barrier
	s_and_saveexec_b64 s[0:1], vcc
	s_cbranch_execz .LBB3_49
; %bb.48:
	v_lshl_or_b32 v2, s6, 3, v0
	v_lshlrev_b32_e32 v0, 2, v0
	ds_read_b32 v4, v0
	v_mov_b32_e32 v3, 0
	v_lshlrev_b64 v[2:3], 2, v[2:3]
	v_mov_b32_e32 v1, s3
	v_add_co_u32_e32 v0, vcc, s2, v2
	v_addc_co_u32_e32 v1, vcc, v1, v3, vcc
	s_waitcnt lgkmcnt(0)
	global_store_dword v[0:1], v4, off
.LBB3_49:
	s_endpgm
	.section	.rodata,"a",@progbits
	.p2align	6, 0x0
	.amdhsa_kernel _ZN9rocsparseL26bsrgemm_group_reduce_part2ILj256ELj8ELj8EfiiEEvT4_PKT3_PS1_Pi
		.amdhsa_group_segment_fixed_size 8192
		.amdhsa_private_segment_fixed_size 0
		.amdhsa_kernarg_size 288
		.amdhsa_user_sgpr_count 6
		.amdhsa_user_sgpr_private_segment_buffer 1
		.amdhsa_user_sgpr_dispatch_ptr 0
		.amdhsa_user_sgpr_queue_ptr 0
		.amdhsa_user_sgpr_kernarg_segment_ptr 1
		.amdhsa_user_sgpr_dispatch_id 0
		.amdhsa_user_sgpr_flat_scratch_init 0
		.amdhsa_user_sgpr_kernarg_preload_length 0
		.amdhsa_user_sgpr_kernarg_preload_offset 0
		.amdhsa_user_sgpr_private_segment_size 0
		.amdhsa_uses_dynamic_stack 0
		.amdhsa_system_sgpr_private_segment_wavefront_offset 0
		.amdhsa_system_sgpr_workgroup_id_x 1
		.amdhsa_system_sgpr_workgroup_id_y 0
		.amdhsa_system_sgpr_workgroup_id_z 0
		.amdhsa_system_sgpr_workgroup_info 0
		.amdhsa_system_vgpr_workitem_id 0
		.amdhsa_next_free_vgpr 18
		.amdhsa_next_free_sgpr 29
		.amdhsa_accum_offset 20
		.amdhsa_reserve_vcc 1
		.amdhsa_reserve_flat_scratch 0
		.amdhsa_float_round_mode_32 0
		.amdhsa_float_round_mode_16_64 0
		.amdhsa_float_denorm_mode_32 3
		.amdhsa_float_denorm_mode_16_64 3
		.amdhsa_dx10_clamp 1
		.amdhsa_ieee_mode 1
		.amdhsa_fp16_overflow 0
		.amdhsa_tg_split 0
		.amdhsa_exception_fp_ieee_invalid_op 0
		.amdhsa_exception_fp_denorm_src 0
		.amdhsa_exception_fp_ieee_div_zero 0
		.amdhsa_exception_fp_ieee_overflow 0
		.amdhsa_exception_fp_ieee_underflow 0
		.amdhsa_exception_fp_ieee_inexact 0
		.amdhsa_exception_int_div_zero 0
	.end_amdhsa_kernel
	.section	.text._ZN9rocsparseL26bsrgemm_group_reduce_part2ILj256ELj8ELj8EfiiEEvT4_PKT3_PS1_Pi,"axG",@progbits,_ZN9rocsparseL26bsrgemm_group_reduce_part2ILj256ELj8ELj8EfiiEEvT4_PKT3_PS1_Pi,comdat
.Lfunc_end3:
	.size	_ZN9rocsparseL26bsrgemm_group_reduce_part2ILj256ELj8ELj8EfiiEEvT4_PKT3_PS1_Pi, .Lfunc_end3-_ZN9rocsparseL26bsrgemm_group_reduce_part2ILj256ELj8ELj8EfiiEEvT4_PKT3_PS1_Pi
                                        ; -- End function
	.section	.AMDGPU.csdata,"",@progbits
; Kernel info:
; codeLenInByte = 1788
; NumSgprs: 33
; NumVgprs: 18
; NumAgprs: 0
; TotalNumVgprs: 18
; ScratchSize: 0
; MemoryBound: 0
; FloatMode: 240
; IeeeMode: 1
; LDSByteSize: 8192 bytes/workgroup (compile time only)
; SGPRBlocks: 4
; VGPRBlocks: 2
; NumSGPRsForWavesPerEU: 33
; NumVGPRsForWavesPerEU: 18
; AccumOffset: 20
; Occupancy: 8
; WaveLimiterHint : 0
; COMPUTE_PGM_RSRC2:SCRATCH_EN: 0
; COMPUTE_PGM_RSRC2:USER_SGPR: 6
; COMPUTE_PGM_RSRC2:TRAP_HANDLER: 0
; COMPUTE_PGM_RSRC2:TGID_X_EN: 1
; COMPUTE_PGM_RSRC2:TGID_Y_EN: 0
; COMPUTE_PGM_RSRC2:TGID_Z_EN: 0
; COMPUTE_PGM_RSRC2:TIDIG_COMP_CNT: 0
; COMPUTE_PGM_RSRC3_GFX90A:ACCUM_OFFSET: 4
; COMPUTE_PGM_RSRC3_GFX90A:TG_SPLIT: 0
	.section	.text._ZN9rocsparseL26bsrgemm_group_reduce_part3ILj256ELj8EiEEvPT1_,"axG",@progbits,_ZN9rocsparseL26bsrgemm_group_reduce_part3ILj256ELj8EiEEvPT1_,comdat
	.globl	_ZN9rocsparseL26bsrgemm_group_reduce_part3ILj256ELj8EiEEvPT1_ ; -- Begin function _ZN9rocsparseL26bsrgemm_group_reduce_part3ILj256ELj8EiEEvPT1_
	.p2align	8
	.type	_ZN9rocsparseL26bsrgemm_group_reduce_part3ILj256ELj8EiEEvPT1_,@function
_ZN9rocsparseL26bsrgemm_group_reduce_part3ILj256ELj8EiEEvPT1_: ; @_ZN9rocsparseL26bsrgemm_group_reduce_part3ILj256ELj8EiEEvPT1_
; %bb.0:
	s_load_dwordx2 s[0:1], s[4:5], 0x0
	v_lshlrev_b32_e32 v1, 2, v0
	v_or_b32_e32 v4, 0x400, v0
	v_lshlrev_b32_e32 v2, 2, v4
	s_movk_i32 s2, 0x700
	s_waitcnt lgkmcnt(0)
	global_load_dword v5, v1, s[0:1]
	global_load_dword v6, v1, s[0:1] offset:1024
	global_load_dword v7, v1, s[0:1] offset:2048
	;; [unrolled: 1-line block ×3, first 2 shown]
	global_load_dword v9, v2, s[0:1]
	v_mov_b32_e32 v3, s1
	v_add_co_u32_e32 v2, vcc, s0, v1
	v_addc_co_u32_e32 v3, vcc, 0, v3, vcc
	v_cmp_gt_u32_e32 vcc, s2, v4
	s_waitcnt vmcnt(3)
	ds_write2st64_b32 v1, v5, v6 offset1:4
	s_waitcnt vmcnt(1)
	ds_write2st64_b32 v1, v7, v8 offset0:8 offset1:12
	s_waitcnt vmcnt(0)
	ds_write_b32 v1, v9 offset:4096
	s_and_saveexec_b64 s[2:3], vcc
	s_cbranch_execz .LBB4_4
; %bb.1:
	v_add_co_u32_e32 v4, vcc, 0x1000, v2
	v_addc_co_u32_e32 v5, vcc, 0, v3, vcc
	global_load_dword v4, v[4:5], off offset:1024
	s_movk_i32 s4, 0x200
	v_cmp_gt_u32_e32 vcc, s4, v0
	s_waitcnt vmcnt(0)
	ds_write_b32 v1, v4 offset:5120
	s_and_saveexec_b64 s[4:5], vcc
	s_xor_b64 s[4:5], exec, s[4:5]
	s_cbranch_execz .LBB4_4
; %bb.2:
	v_mov_b32_e32 v4, 0x1800
	v_lshl_or_b32 v4, v0, 2, v4
	global_load_dword v4, v4, s[0:1]
	s_movk_i32 s0, 0x100
	v_cmp_gt_u32_e32 vcc, s0, v0
	s_waitcnt vmcnt(0)
	ds_write_b32 v1, v4 offset:6144
	s_and_saveexec_b64 s[0:1], vcc
	s_xor_b64 s[0:1], exec, s[0:1]
	s_cbranch_execz .LBB4_4
; %bb.3:
	v_add_co_u32_e32 v4, vcc, 0x1000, v2
	v_addc_co_u32_e32 v5, vcc, 0, v3, vcc
	global_load_dword v4, v[4:5], off offset:3072
	s_waitcnt vmcnt(0)
	ds_write_b32 v1, v4 offset:7168
.LBB4_4:
	s_or_b64 exec, exec, s[2:3]
	s_movk_i32 s0, 0x80
	v_cmp_gt_u32_e32 vcc, s0, v0
	v_mad_u32_u24 v4, v0, 28, v1
	s_waitcnt lgkmcnt(0)
	s_barrier
	s_barrier
	;; [unrolled: 1-line block ×3, first 2 shown]
	s_and_saveexec_b64 s[0:1], vcc
	s_cbranch_execz .LBB4_6
; %bb.5:
	ds_read_b128 v[6:9], v4 offset:4096
	ds_read_b128 v[10:13], v4
	ds_read_b128 v[14:17], v4 offset:16
	ds_read_b128 v[18:21], v4 offset:4112
	s_waitcnt lgkmcnt(2)
	v_add_u32_e32 v7, v11, v7
	v_add_u32_e32 v6, v10, v6
	;; [unrolled: 1-line block ×4, first 2 shown]
	ds_write_b128 v4, v[6:9]
	s_waitcnt lgkmcnt(1)
	v_add_u32_e32 v7, v15, v19
	v_add_u32_e32 v6, v14, v18
	;; [unrolled: 1-line block ×4, first 2 shown]
	ds_write_b128 v4, v[6:9] offset:16
.LBB4_6:
	s_or_b64 exec, exec, s[0:1]
	v_cmp_gt_u32_e32 vcc, 64, v0
	s_waitcnt lgkmcnt(0)
	s_barrier
	s_and_saveexec_b64 s[0:1], vcc
	s_cbranch_execz .LBB4_8
; %bb.7:
	ds_read_b128 v[6:9], v4 offset:2048
	ds_read_b128 v[10:13], v4
	ds_read_b128 v[14:17], v4 offset:16
	ds_read_b128 v[18:21], v4 offset:2064
	s_waitcnt lgkmcnt(2)
	v_add_u32_e32 v7, v11, v7
	v_add_u32_e32 v6, v10, v6
	;; [unrolled: 1-line block ×4, first 2 shown]
	ds_write_b128 v4, v[6:9]
	s_waitcnt lgkmcnt(1)
	v_add_u32_e32 v7, v15, v19
	v_add_u32_e32 v6, v14, v18
	;; [unrolled: 1-line block ×4, first 2 shown]
	ds_write_b128 v4, v[6:9] offset:16
.LBB4_8:
	s_or_b64 exec, exec, s[0:1]
	v_cmp_gt_u32_e32 vcc, 32, v0
	v_lshlrev_b32_e32 v4, 5, v0
	s_waitcnt lgkmcnt(0)
	s_barrier
	s_and_saveexec_b64 s[0:1], vcc
	s_cbranch_execz .LBB4_10
; %bb.9:
	ds_read_b128 v[6:9], v4 offset:1024
	ds_read_b128 v[10:13], v4
	ds_read_b128 v[14:17], v4 offset:16
	ds_read_b128 v[18:21], v4 offset:1040
	s_waitcnt lgkmcnt(2)
	v_add_u32_e32 v7, v11, v7
	v_add_u32_e32 v6, v10, v6
	;; [unrolled: 1-line block ×4, first 2 shown]
	ds_write_b128 v4, v[6:9]
	s_waitcnt lgkmcnt(1)
	v_add_u32_e32 v7, v15, v19
	v_add_u32_e32 v6, v14, v18
	;; [unrolled: 1-line block ×4, first 2 shown]
	ds_write_b128 v4, v[6:9] offset:16
.LBB4_10:
	s_or_b64 exec, exec, s[0:1]
	v_cmp_gt_u32_e32 vcc, 16, v0
	s_waitcnt lgkmcnt(0)
	s_barrier
	s_and_saveexec_b64 s[0:1], vcc
	s_cbranch_execz .LBB4_12
; %bb.11:
	ds_read_b128 v[6:9], v4 offset:512
	ds_read_b128 v[10:13], v4
	ds_read_b128 v[14:17], v4 offset:16
	ds_read_b128 v[18:21], v4 offset:528
	s_waitcnt lgkmcnt(2)
	v_add_u32_e32 v7, v11, v7
	v_add_u32_e32 v6, v10, v6
	;; [unrolled: 1-line block ×4, first 2 shown]
	ds_write_b128 v4, v[6:9]
	s_waitcnt lgkmcnt(1)
	v_add_u32_e32 v7, v15, v19
	v_add_u32_e32 v6, v14, v18
	;; [unrolled: 1-line block ×4, first 2 shown]
	ds_write_b128 v4, v[6:9] offset:16
.LBB4_12:
	s_or_b64 exec, exec, s[0:1]
	v_cmp_gt_u32_e32 vcc, 8, v0
	s_waitcnt lgkmcnt(0)
	s_barrier
	s_and_saveexec_b64 s[0:1], vcc
	s_cbranch_execz .LBB4_14
; %bb.13:
	ds_read_b128 v[6:9], v4 offset:256
	ds_read_b128 v[10:13], v4
	ds_read_b128 v[14:17], v4 offset:16
	ds_read_b128 v[18:21], v4 offset:272
	s_waitcnt lgkmcnt(2)
	v_add_u32_e32 v7, v11, v7
	v_add_u32_e32 v6, v10, v6
	;; [unrolled: 1-line block ×4, first 2 shown]
	ds_write_b128 v4, v[6:9]
	s_waitcnt lgkmcnt(1)
	v_add_u32_e32 v7, v15, v19
	v_add_u32_e32 v6, v14, v18
	;; [unrolled: 1-line block ×4, first 2 shown]
	ds_write_b128 v4, v[6:9] offset:16
.LBB4_14:
	s_or_b64 exec, exec, s[0:1]
	v_cmp_gt_u32_e64 s[0:1], 4, v0
	s_waitcnt lgkmcnt(0)
	s_barrier
	s_and_saveexec_b64 s[2:3], s[0:1]
	s_cbranch_execz .LBB4_16
; %bb.15:
	ds_read_b128 v[6:9], v4 offset:128
	ds_read_b128 v[10:13], v4
	ds_read_b128 v[14:17], v4 offset:16
	ds_read_b128 v[18:21], v4 offset:144
	s_waitcnt lgkmcnt(2)
	v_add_u32_e32 v7, v11, v7
	v_add_u32_e32 v6, v10, v6
	;; [unrolled: 1-line block ×4, first 2 shown]
	ds_write_b128 v4, v[6:9]
	s_waitcnt lgkmcnt(1)
	v_add_u32_e32 v7, v15, v19
	v_add_u32_e32 v6, v14, v18
	;; [unrolled: 1-line block ×4, first 2 shown]
	ds_write_b128 v4, v[6:9] offset:16
.LBB4_16:
	s_or_b64 exec, exec, s[2:3]
	v_cmp_gt_u32_e64 s[0:1], 2, v0
	s_waitcnt lgkmcnt(0)
	s_barrier
	s_and_saveexec_b64 s[2:3], s[0:1]
	s_cbranch_execz .LBB4_18
; %bb.17:
	ds_read_b128 v[6:9], v4 offset:64
	ds_read_b128 v[10:13], v4
	ds_read_b128 v[14:17], v4 offset:16
	ds_read_b128 v[18:21], v4 offset:80
	s_waitcnt lgkmcnt(2)
	v_add_u32_e32 v7, v11, v7
	v_add_u32_e32 v6, v10, v6
	;; [unrolled: 1-line block ×4, first 2 shown]
	ds_write_b128 v4, v[6:9]
	s_waitcnt lgkmcnt(1)
	v_add_u32_e32 v7, v15, v19
	v_add_u32_e32 v6, v14, v18
	;; [unrolled: 1-line block ×4, first 2 shown]
	ds_write_b128 v4, v[6:9] offset:16
.LBB4_18:
	s_or_b64 exec, exec, s[2:3]
	v_cmp_eq_u32_e64 s[0:1], 0, v0
	s_waitcnt lgkmcnt(0)
	s_barrier
	s_and_saveexec_b64 s[2:3], s[0:1]
	s_cbranch_execz .LBB4_20
; %bb.19:
	v_mov_b32_e32 v0, 0
	ds_read_b128 v[4:7], v0 offset:32
	ds_read_b128 v[8:11], v0
	ds_read_b128 v[12:15], v0 offset:16
	ds_read_b128 v[16:19], v0 offset:48
	s_waitcnt lgkmcnt(2)
	v_add_u32_e32 v5, v9, v5
	v_add_u32_e32 v4, v8, v4
	;; [unrolled: 1-line block ×4, first 2 shown]
	ds_write_b128 v0, v[4:7]
	s_waitcnt lgkmcnt(1)
	v_add_u32_e32 v5, v13, v17
	v_add_u32_e32 v4, v12, v16
	;; [unrolled: 1-line block ×4, first 2 shown]
	ds_write_b128 v0, v[4:7] offset:16
.LBB4_20:
	s_or_b64 exec, exec, s[2:3]
	s_waitcnt lgkmcnt(0)
	s_barrier
	s_and_saveexec_b64 s[0:1], vcc
	s_cbranch_execz .LBB4_22
; %bb.21:
	ds_read_b32 v0, v1
	s_waitcnt lgkmcnt(0)
	global_store_dword v[2:3], v0, off
.LBB4_22:
	s_endpgm
	.section	.rodata,"a",@progbits
	.p2align	6, 0x0
	.amdhsa_kernel _ZN9rocsparseL26bsrgemm_group_reduce_part3ILj256ELj8EiEEvPT1_
		.amdhsa_group_segment_fixed_size 8192
		.amdhsa_private_segment_fixed_size 0
		.amdhsa_kernarg_size 8
		.amdhsa_user_sgpr_count 6
		.amdhsa_user_sgpr_private_segment_buffer 1
		.amdhsa_user_sgpr_dispatch_ptr 0
		.amdhsa_user_sgpr_queue_ptr 0
		.amdhsa_user_sgpr_kernarg_segment_ptr 1
		.amdhsa_user_sgpr_dispatch_id 0
		.amdhsa_user_sgpr_flat_scratch_init 0
		.amdhsa_user_sgpr_kernarg_preload_length 0
		.amdhsa_user_sgpr_kernarg_preload_offset 0
		.amdhsa_user_sgpr_private_segment_size 0
		.amdhsa_uses_dynamic_stack 0
		.amdhsa_system_sgpr_private_segment_wavefront_offset 0
		.amdhsa_system_sgpr_workgroup_id_x 1
		.amdhsa_system_sgpr_workgroup_id_y 0
		.amdhsa_system_sgpr_workgroup_id_z 0
		.amdhsa_system_sgpr_workgroup_info 0
		.amdhsa_system_vgpr_workitem_id 0
		.amdhsa_next_free_vgpr 22
		.amdhsa_next_free_sgpr 6
		.amdhsa_accum_offset 24
		.amdhsa_reserve_vcc 1
		.amdhsa_reserve_flat_scratch 0
		.amdhsa_float_round_mode_32 0
		.amdhsa_float_round_mode_16_64 0
		.amdhsa_float_denorm_mode_32 3
		.amdhsa_float_denorm_mode_16_64 3
		.amdhsa_dx10_clamp 1
		.amdhsa_ieee_mode 1
		.amdhsa_fp16_overflow 0
		.amdhsa_tg_split 0
		.amdhsa_exception_fp_ieee_invalid_op 0
		.amdhsa_exception_fp_denorm_src 0
		.amdhsa_exception_fp_ieee_div_zero 0
		.amdhsa_exception_fp_ieee_overflow 0
		.amdhsa_exception_fp_ieee_underflow 0
		.amdhsa_exception_fp_ieee_inexact 0
		.amdhsa_exception_int_div_zero 0
	.end_amdhsa_kernel
	.section	.text._ZN9rocsparseL26bsrgemm_group_reduce_part3ILj256ELj8EiEEvPT1_,"axG",@progbits,_ZN9rocsparseL26bsrgemm_group_reduce_part3ILj256ELj8EiEEvPT1_,comdat
.Lfunc_end4:
	.size	_ZN9rocsparseL26bsrgemm_group_reduce_part3ILj256ELj8EiEEvPT1_, .Lfunc_end4-_ZN9rocsparseL26bsrgemm_group_reduce_part3ILj256ELj8EiEEvPT1_
                                        ; -- End function
	.section	.AMDGPU.csdata,"",@progbits
; Kernel info:
; codeLenInByte = 1252
; NumSgprs: 10
; NumVgprs: 22
; NumAgprs: 0
; TotalNumVgprs: 22
; ScratchSize: 0
; MemoryBound: 0
; FloatMode: 240
; IeeeMode: 1
; LDSByteSize: 8192 bytes/workgroup (compile time only)
; SGPRBlocks: 1
; VGPRBlocks: 2
; NumSGPRsForWavesPerEU: 10
; NumVGPRsForWavesPerEU: 22
; AccumOffset: 24
; Occupancy: 8
; WaveLimiterHint : 1
; COMPUTE_PGM_RSRC2:SCRATCH_EN: 0
; COMPUTE_PGM_RSRC2:USER_SGPR: 6
; COMPUTE_PGM_RSRC2:TRAP_HANDLER: 0
; COMPUTE_PGM_RSRC2:TGID_X_EN: 1
; COMPUTE_PGM_RSRC2:TGID_Y_EN: 0
; COMPUTE_PGM_RSRC2:TGID_Z_EN: 0
; COMPUTE_PGM_RSRC2:TIDIG_COMP_CNT: 0
; COMPUTE_PGM_RSRC3_GFX90A:ACCUM_OFFSET: 5
; COMPUTE_PGM_RSRC3_GFX90A:TG_SPLIT: 0
	.section	.text._ZN9rocsparseL27bsrgemm_fill_wf_per_row_2x2ILj256ELj16ELj8ELj137EiifEEv20rocsparse_direction_T4_S2_PKS2_S4_NS_24const_host_device_scalarIT5_EEPKT3_S4_PKS6_SA_S4_SC_S7_SA_S4_SC_SA_PS2_PS6_21rocsparse_index_base_SF_SF_SF_bbb,"axG",@progbits,_ZN9rocsparseL27bsrgemm_fill_wf_per_row_2x2ILj256ELj16ELj8ELj137EiifEEv20rocsparse_direction_T4_S2_PKS2_S4_NS_24const_host_device_scalarIT5_EEPKT3_S4_PKS6_SA_S4_SC_S7_SA_S4_SC_SA_PS2_PS6_21rocsparse_index_base_SF_SF_SF_bbb,comdat
	.globl	_ZN9rocsparseL27bsrgemm_fill_wf_per_row_2x2ILj256ELj16ELj8ELj137EiifEEv20rocsparse_direction_T4_S2_PKS2_S4_NS_24const_host_device_scalarIT5_EEPKT3_S4_PKS6_SA_S4_SC_S7_SA_S4_SC_SA_PS2_PS6_21rocsparse_index_base_SF_SF_SF_bbb ; -- Begin function _ZN9rocsparseL27bsrgemm_fill_wf_per_row_2x2ILj256ELj16ELj8ELj137EiifEEv20rocsparse_direction_T4_S2_PKS2_S4_NS_24const_host_device_scalarIT5_EEPKT3_S4_PKS6_SA_S4_SC_S7_SA_S4_SC_SA_PS2_PS6_21rocsparse_index_base_SF_SF_SF_bbb
	.p2align	8
	.type	_ZN9rocsparseL27bsrgemm_fill_wf_per_row_2x2ILj256ELj16ELj8ELj137EiifEEv20rocsparse_direction_T4_S2_PKS2_S4_NS_24const_host_device_scalarIT5_EEPKT3_S4_PKS6_SA_S4_SC_S7_SA_S4_SC_SA_PS2_PS6_21rocsparse_index_base_SF_SF_SF_bbb,@function
_ZN9rocsparseL27bsrgemm_fill_wf_per_row_2x2ILj256ELj16ELj8ELj137EiifEEv20rocsparse_direction_T4_S2_PKS2_S4_NS_24const_host_device_scalarIT5_EEPKT3_S4_PKS6_SA_S4_SC_S7_SA_S4_SC_SA_PS2_PS6_21rocsparse_index_base_SF_SF_SF_bbb: ; @_ZN9rocsparseL27bsrgemm_fill_wf_per_row_2x2ILj256ELj16ELj8ELj137EiifEEv20rocsparse_direction_T4_S2_PKS2_S4_NS_24const_host_device_scalarIT5_EEPKT3_S4_PKS6_SA_S4_SC_S7_SA_S4_SC_SA_PS2_PS6_21rocsparse_index_base_SF_SF_SF_bbb
; %bb.0:
	s_load_dword s7, s[4:5], 0xa0
	s_load_dwordx2 s[2:3], s[4:5], 0x20
	s_load_dwordx2 s[0:1], s[4:5], 0x58
	s_waitcnt lgkmcnt(0)
	s_bitcmp1_b32 s7, 0
	s_cselect_b64 s[8:9], -1, 0
	s_bitcmp1_b32 s7, 16
	s_cselect_b64 s[10:11], -1, 0
	s_xor_b64 s[12:13], s[8:9], -1
	s_or_b64 s[12:13], s[12:13], s[10:11]
	s_and_b64 vcc, exec, s[12:13]
	s_cbranch_vccnz .LBB5_2
; %bb.1:
	s_load_dword s2, s[2:3], 0x0
	s_waitcnt lgkmcnt(0)
	v_mov_b32_e32 v10, s2
	s_branch .LBB5_3
.LBB5_2:
	v_mov_b32_e32 v1, s2
	v_cndmask_b32_e64 v10, 0, v1, s[8:9]
.LBB5_3:
	s_bitcmp1_b32 s7, 8
	s_cselect_b64 s[2:3], -1, 0
	s_xor_b64 s[12:13], s[2:3], -1
	s_or_b64 s[10:11], s[12:13], s[10:11]
	s_and_b64 vcc, exec, s[10:11]
	s_cbranch_vccnz .LBB5_5
; %bb.4:
	s_load_dword s0, s[0:1], 0x0
	s_waitcnt lgkmcnt(0)
	v_mov_b32_e32 v9, s0
	s_branch .LBB5_6
.LBB5_5:
	v_mov_b32_e32 v1, s0
	v_cndmask_b32_e64 v9, 0, v1, s[2:3]
.LBB5_6:
	s_load_dwordx4 s[20:23], s[4:5], 0x0
	v_and_b32_e32 v7, 15, v0
	v_lshrrev_b32_e32 v1, 4, v0
	v_mov_b32_e32 v0, 0x800
	v_lshl_or_b32 v8, v1, 5, v0
	v_cmp_gt_u32_e64 s[0:1], 8, v7
	s_and_saveexec_b64 s[10:11], s[0:1]
	s_cbranch_execz .LBB5_8
; %bb.7:
	v_lshl_add_u32 v0, v7, 2, v8
	s_waitcnt lgkmcnt(0)
	v_mov_b32_e32 v2, s22
	ds_write_b32 v0, v2
.LBB5_8:
	s_or_b64 exec, exec, s[10:11]
	v_lshl_or_b32 v0, s6, 4, v1
	v_lshlrev_b32_e32 v6, 7, v1
	v_lshl_or_b32 v1, v7, 2, v6
	v_mov_b32_e32 v2, 0
	s_waitcnt lgkmcnt(0)
	v_cmp_gt_i32_e32 vcc, s21, v0
	ds_write2_b32 v1, v2, v2 offset1:16
	s_waitcnt lgkmcnt(0)
	s_barrier
	s_and_saveexec_b64 s[6:7], vcc
	s_cbranch_execz .LBB5_14
; %bb.9:
	s_load_dwordx2 s[6:7], s[4:5], 0x18
	s_load_dwordx4 s[16:19], s[4:5], 0x90
	s_waitcnt lgkmcnt(0)
	s_cmp_eq_u64 s[6:7], 0
	s_cbranch_scc1 .LBB5_11
; %bb.10:
	s_load_dwordx2 s[10:11], s[4:5], 0x10
	v_mov_b32_e32 v2, s7
	s_waitcnt lgkmcnt(0)
	s_load_dword s10, s[10:11], 0x0
	s_waitcnt lgkmcnt(0)
	v_add_u32_e32 v0, s10, v0
	v_ashrrev_i32_e32 v1, 31, v0
	v_lshlrev_b64 v[0:1], 2, v[0:1]
	v_add_co_u32_e32 v0, vcc, s6, v0
	v_addc_co_u32_e32 v1, vcc, v2, v1, vcc
	global_load_dword v0, v[0:1], off
.LBB5_11:
	s_andn2_b64 vcc, exec, s[8:9]
	s_waitcnt vmcnt(0)
	v_ashrrev_i32_e32 v1, 31, v0
	s_cbranch_vccz .LBB5_15
; %bb.12:
	s_andn2_b64 vcc, exec, s[2:3]
	s_cbranch_vccz .LBB5_70
.LBB5_13:
	s_and_b64 exec, exec, s[0:1]
	s_cbranch_execnz .LBB5_122
.LBB5_14:
	s_endpgm
.LBB5_15:
	s_load_dwordx2 s[6:7], s[4:5], 0x28
	v_lshlrev_b64 v[2:3], 2, v[0:1]
	s_waitcnt lgkmcnt(0)
	v_mov_b32_e32 v4, s7
	v_add_co_u32_e32 v2, vcc, s6, v2
	v_addc_co_u32_e32 v3, vcc, v4, v3, vcc
	global_load_dwordx2 v[2:3], v[2:3], off
	v_subrev_u32_e32 v4, s16, v7
	s_waitcnt vmcnt(0)
	v_subrev_u32_e32 v11, s16, v3
	v_add_u32_e32 v2, v2, v4
	v_cmp_lt_i32_e32 vcc, v2, v11
	s_and_saveexec_b64 s[6:7], vcc
	s_cbranch_execz .LBB5_69
; %bb.16:
	s_load_dwordx2 s[24:25], s[4:5], 0x50
	s_load_dwordx8 s[8:15], s[4:5], 0x30
	s_cmp_eq_u32 s20, 0
	s_cselect_b32 s21, 1, 2
	s_cselect_b32 s23, 2, 1
	v_add_u32_e32 v12, 4, v6
	v_add_u32_e32 v13, 8, v6
	;; [unrolled: 1-line block ×3, first 2 shown]
	s_mov_b64 s[26:27], 0
	s_waitcnt lgkmcnt(0)
	v_mov_b32_e32 v15, s9
	v_mov_b32_e32 v16, s13
	s_branch .LBB5_18
.LBB5_17:                               ;   in Loop: Header=BB5_18 Depth=1
	s_or_b64 exec, exec, s[28:29]
	v_add_u32_e32 v2, 16, v2
	v_cmp_ge_i32_e32 vcc, v2, v11
	s_or_b64 s[26:27], vcc, s[26:27]
	s_andn2_b64 exec, exec, s[26:27]
	s_cbranch_execz .LBB5_69
.LBB5_18:                               ; =>This Loop Header: Depth=1
                                        ;     Child Loop BB5_21 Depth 2
                                        ;       Child Loop BB5_23 Depth 3
                                        ;       Child Loop BB5_35 Depth 3
	;; [unrolled: 1-line block ×4, first 2 shown]
	v_ashrrev_i32_e32 v3, 31, v2
	v_lshlrev_b64 v[4:5], 2, v[2:3]
	v_add_co_u32_e32 v4, vcc, s8, v4
	v_addc_co_u32_e32 v5, vcc, v15, v5, vcc
	global_load_dword v3, v[4:5], off
	s_waitcnt vmcnt(0)
	v_subrev_u32_e32 v4, s16, v3
	v_ashrrev_i32_e32 v5, 31, v4
	v_lshlrev_b64 v[4:5], 2, v[4:5]
	v_add_co_u32_e32 v4, vcc, s12, v4
	v_addc_co_u32_e32 v5, vcc, v16, v5, vcc
	global_load_dwordx2 v[4:5], v[4:5], off
	s_waitcnt vmcnt(0)
	v_cmp_lt_i32_e32 vcc, v4, v5
	s_and_saveexec_b64 s[28:29], vcc
	s_cbranch_execz .LBB5_17
; %bb.19:                               ;   in Loop: Header=BB5_18 Depth=1
	v_lshlrev_b32_e32 v18, 2, v2
	v_ashrrev_i32_e32 v19, 31, v18
	v_or_b32_e32 v20, s21, v18
	v_or_b32_e32 v22, s23, v18
	v_lshlrev_b64 v[18:19], 2, v[18:19]
	v_mov_b32_e32 v3, s11
	v_add_co_u32_e32 v18, vcc, s10, v18
	v_ashrrev_i32_e32 v23, 31, v22
	v_addc_co_u32_e32 v19, vcc, v3, v19, vcc
	v_lshlrev_b64 v[22:23], 2, v[22:23]
	v_add_co_u32_e32 v22, vcc, s10, v22
	v_ashrrev_i32_e32 v21, 31, v20
	v_addc_co_u32_e32 v23, vcc, v3, v23, vcc
	v_lshlrev_b64 v[20:21], 2, v[20:21]
	v_add_co_u32_e32 v20, vcc, s10, v20
	v_addc_co_u32_e32 v21, vcc, v3, v21, vcc
	global_load_dword v17, v[18:19], off offset:12
	global_load_dword v24, v[22:23], off
	global_load_dword v25, v[20:21], off
	;; [unrolled: 1-line block ×3, first 2 shown]
	v_subrev_u32_e32 v3, s17, v5
	v_subrev_u32_e32 v4, s17, v4
	s_mov_b64 s[30:31], 0
	s_waitcnt vmcnt(3)
	v_mul_f32_e32 v17, v10, v17
	s_waitcnt vmcnt(2)
	v_mul_f32_e32 v18, v10, v24
	;; [unrolled: 2-line block ×4, first 2 shown]
	s_branch .LBB5_21
.LBB5_20:                               ;   in Loop: Header=BB5_21 Depth=2
	s_or_b64 exec, exec, s[34:35]
	v_add_u32_e32 v4, 1, v4
	v_cmp_ge_i32_e32 vcc, v4, v3
	s_or_b64 s[30:31], vcc, s[30:31]
	s_andn2_b64 exec, exec, s[30:31]
	s_cbranch_execz .LBB5_17
.LBB5_21:                               ;   Parent Loop BB5_18 Depth=1
                                        ; =>  This Loop Header: Depth=2
                                        ;       Child Loop BB5_23 Depth 3
                                        ;       Child Loop BB5_35 Depth 3
	;; [unrolled: 1-line block ×4, first 2 shown]
	v_ashrrev_i32_e32 v5, 31, v4
	v_lshlrev_b64 v[22:23], 2, v[4:5]
	v_mov_b32_e32 v5, s15
	v_add_co_u32_e32 v22, vcc, s14, v22
	v_addc_co_u32_e32 v23, vcc, v5, v23, vcc
	global_load_dword v5, v[22:23], off
	v_lshlrev_b32_e32 v22, 2, v4
	v_ashrrev_i32_e32 v23, 31, v22
	v_or_b32_e32 v26, s21, v22
	v_or_b32_e32 v28, s23, v22
	v_lshlrev_b64 v[22:23], 2, v[22:23]
	v_mov_b32_e32 v21, s25
	v_add_co_u32_e32 v30, vcc, s24, v22
	v_ashrrev_i32_e32 v27, 31, v26
	v_ashrrev_i32_e32 v29, 31, v28
	v_addc_co_u32_e32 v31, vcc, v21, v23, vcc
	v_lshlrev_b64 v[22:23], 2, v[26:27]
	v_lshlrev_b64 v[26:27], 2, v[28:29]
	v_add_co_u32_e32 v26, vcc, s24, v26
	v_addc_co_u32_e32 v27, vcc, v21, v27, vcc
	global_load_dword v24, v[30:31], off
	global_load_dword v25, v[26:27], off
	v_add_co_u32_e32 v26, vcc, s24, v22
	v_addc_co_u32_e32 v27, vcc, v21, v23, vcc
	global_load_dword v22, v[26:27], off
	global_load_dword v23, v[30:31], off offset:12
	s_mov_b64 s[34:35], 0
	s_waitcnt vmcnt(4)
	v_subrev_u32_e32 v5, s17, v5
	v_and_b32_e32 v21, 7, v5
	v_mov_b32_e32 v27, v21
	s_waitcnt vmcnt(2)
	v_mul_f32_e32 v26, v20, v25
	v_fmac_f32_e32 v26, v19, v24
	s_branch .LBB5_23
.LBB5_22:                               ;   in Loop: Header=BB5_23 Depth=3
	s_or_b64 exec, exec, s[36:37]
	s_xor_b64 s[36:37], s[38:39], -1
	s_and_b64 s[36:37], exec, s[36:37]
	s_or_b64 s[34:35], s[36:37], s[34:35]
	s_andn2_b64 exec, exec, s[34:35]
	s_cbranch_execz .LBB5_33
.LBB5_23:                               ;   Parent Loop BB5_18 Depth=1
                                        ;     Parent Loop BB5_21 Depth=2
                                        ; =>    This Inner Loop Header: Depth=3
	v_lshl_add_u32 v28, v27, 2, v8
	ds_read_b32 v29, v28
                                        ; implicit-def: $sgpr38_sgpr39
	s_waitcnt lgkmcnt(0)
	v_cmp_ne_u32_e32 vcc, v29, v5
	s_and_saveexec_b64 s[36:37], vcc
	s_xor_b64 s[36:37], exec, s[36:37]
	s_cbranch_execz .LBB5_31
; %bb.24:                               ;   in Loop: Header=BB5_23 Depth=3
	v_cmp_ne_u32_e32 vcc, s22, v29
                                        ; implicit-def: $sgpr38_sgpr39
	s_and_saveexec_b64 s[40:41], vcc
	s_xor_b64 s[40:41], exec, s[40:41]
; %bb.25:                               ;   in Loop: Header=BB5_23 Depth=3
	v_add_u32_e32 v27, 1, v27
	v_and_b32_e32 v27, 7, v27
	s_mov_b64 s[38:39], -1
                                        ; implicit-def: $vgpr28
; %bb.26:                               ;   in Loop: Header=BB5_23 Depth=3
	s_andn2_saveexec_b64 s[40:41], s[40:41]
	s_cbranch_execz .LBB5_30
; %bb.27:                               ;   in Loop: Header=BB5_23 Depth=3
	v_mov_b32_e32 v29, s22
	ds_cmpst_rtn_b32 v28, v28, v29, v5
	s_mov_b64 s[42:43], -1
	s_waitcnt lgkmcnt(0)
	v_cmp_eq_u32_e32 vcc, s22, v28
	s_and_saveexec_b64 s[44:45], vcc
	s_cbranch_execz .LBB5_29
; %bb.28:                               ;   in Loop: Header=BB5_23 Depth=3
	v_lshl_add_u32 v28, v27, 4, v6
	ds_add_f32 v28, v26
	s_xor_b64 s[42:43], exec, -1
.LBB5_29:                               ;   in Loop: Header=BB5_23 Depth=3
	s_or_b64 exec, exec, s[44:45]
	s_andn2_b64 s[38:39], s[38:39], exec
	s_and_b64 s[42:43], s[42:43], exec
	s_or_b64 s[38:39], s[38:39], s[42:43]
.LBB5_30:                               ;   in Loop: Header=BB5_23 Depth=3
	s_or_b64 exec, exec, s[40:41]
	s_and_b64 s[38:39], s[38:39], exec
.LBB5_31:                               ;   in Loop: Header=BB5_23 Depth=3
	s_andn2_saveexec_b64 s[36:37], s[36:37]
	s_cbranch_execz .LBB5_22
; %bb.32:                               ;   in Loop: Header=BB5_23 Depth=3
	v_lshl_add_u32 v28, v27, 4, v6
	ds_add_f32 v28, v26
	s_andn2_b64 s[38:39], s[38:39], exec
	s_branch .LBB5_22
.LBB5_33:                               ;   in Loop: Header=BB5_21 Depth=2
	s_or_b64 exec, exec, s[34:35]
	s_waitcnt vmcnt(0)
	v_mul_f32_e32 v26, v20, v23
	v_fmac_f32_e32 v26, v19, v22
	s_mov_b64 s[34:35], 0
	v_mov_b32_e32 v27, v21
	s_branch .LBB5_35
.LBB5_34:                               ;   in Loop: Header=BB5_35 Depth=3
	s_or_b64 exec, exec, s[36:37]
	s_xor_b64 s[36:37], s[38:39], -1
	s_and_b64 s[36:37], exec, s[36:37]
	s_or_b64 s[34:35], s[36:37], s[34:35]
	s_andn2_b64 exec, exec, s[34:35]
	s_cbranch_execz .LBB5_45
.LBB5_35:                               ;   Parent Loop BB5_18 Depth=1
                                        ;     Parent Loop BB5_21 Depth=2
                                        ; =>    This Inner Loop Header: Depth=3
	v_lshl_add_u32 v28, v27, 2, v8
	ds_read_b32 v29, v28
                                        ; implicit-def: $sgpr38_sgpr39
	s_waitcnt lgkmcnt(0)
	v_cmp_ne_u32_e32 vcc, v29, v5
	s_and_saveexec_b64 s[36:37], vcc
	s_xor_b64 s[36:37], exec, s[36:37]
	s_cbranch_execz .LBB5_43
; %bb.36:                               ;   in Loop: Header=BB5_35 Depth=3
	v_cmp_ne_u32_e32 vcc, s22, v29
                                        ; implicit-def: $sgpr38_sgpr39
	s_and_saveexec_b64 s[40:41], vcc
	s_xor_b64 s[40:41], exec, s[40:41]
; %bb.37:                               ;   in Loop: Header=BB5_35 Depth=3
	v_add_u32_e32 v27, 1, v27
	v_and_b32_e32 v27, 7, v27
	s_mov_b64 s[38:39], -1
                                        ; implicit-def: $vgpr28
; %bb.38:                               ;   in Loop: Header=BB5_35 Depth=3
	s_andn2_saveexec_b64 s[40:41], s[40:41]
	s_cbranch_execz .LBB5_42
; %bb.39:                               ;   in Loop: Header=BB5_35 Depth=3
	v_mov_b32_e32 v29, s22
	ds_cmpst_rtn_b32 v28, v28, v29, v5
	s_mov_b64 s[42:43], -1
	s_waitcnt lgkmcnt(0)
	v_cmp_eq_u32_e32 vcc, s22, v28
	s_and_saveexec_b64 s[44:45], vcc
	s_cbranch_execz .LBB5_41
; %bb.40:                               ;   in Loop: Header=BB5_35 Depth=3
	v_lshl_add_u32 v28, v27, 4, v12
	ds_add_f32 v28, v26
	s_xor_b64 s[42:43], exec, -1
.LBB5_41:                               ;   in Loop: Header=BB5_35 Depth=3
	s_or_b64 exec, exec, s[44:45]
	s_andn2_b64 s[38:39], s[38:39], exec
	s_and_b64 s[42:43], s[42:43], exec
	s_or_b64 s[38:39], s[38:39], s[42:43]
.LBB5_42:                               ;   in Loop: Header=BB5_35 Depth=3
	s_or_b64 exec, exec, s[40:41]
	s_and_b64 s[38:39], s[38:39], exec
.LBB5_43:                               ;   in Loop: Header=BB5_35 Depth=3
	s_andn2_saveexec_b64 s[36:37], s[36:37]
	s_cbranch_execz .LBB5_34
; %bb.44:                               ;   in Loop: Header=BB5_35 Depth=3
	v_lshl_add_u32 v28, v27, 4, v12
	ds_add_f32 v28, v26
	s_andn2_b64 s[38:39], s[38:39], exec
	s_branch .LBB5_34
.LBB5_45:                               ;   in Loop: Header=BB5_21 Depth=2
	s_or_b64 exec, exec, s[34:35]
	v_mul_f32_e32 v25, v17, v25
	v_fmac_f32_e32 v25, v18, v24
	s_mov_b64 s[34:35], 0
	v_mov_b32_e32 v24, v21
	s_branch .LBB5_47
.LBB5_46:                               ;   in Loop: Header=BB5_47 Depth=3
	s_or_b64 exec, exec, s[36:37]
	s_xor_b64 s[36:37], s[38:39], -1
	s_and_b64 s[36:37], exec, s[36:37]
	s_or_b64 s[34:35], s[36:37], s[34:35]
	s_andn2_b64 exec, exec, s[34:35]
	s_cbranch_execz .LBB5_57
.LBB5_47:                               ;   Parent Loop BB5_18 Depth=1
                                        ;     Parent Loop BB5_21 Depth=2
                                        ; =>    This Inner Loop Header: Depth=3
	v_lshl_add_u32 v26, v24, 2, v8
	ds_read_b32 v27, v26
                                        ; implicit-def: $sgpr38_sgpr39
	s_waitcnt lgkmcnt(0)
	v_cmp_ne_u32_e32 vcc, v27, v5
	s_and_saveexec_b64 s[36:37], vcc
	s_xor_b64 s[36:37], exec, s[36:37]
	s_cbranch_execz .LBB5_55
; %bb.48:                               ;   in Loop: Header=BB5_47 Depth=3
	v_cmp_ne_u32_e32 vcc, s22, v27
                                        ; implicit-def: $sgpr38_sgpr39
	s_and_saveexec_b64 s[40:41], vcc
	s_xor_b64 s[40:41], exec, s[40:41]
; %bb.49:                               ;   in Loop: Header=BB5_47 Depth=3
	v_add_u32_e32 v24, 1, v24
	v_and_b32_e32 v24, 7, v24
	s_mov_b64 s[38:39], -1
                                        ; implicit-def: $vgpr26
; %bb.50:                               ;   in Loop: Header=BB5_47 Depth=3
	s_andn2_saveexec_b64 s[40:41], s[40:41]
	s_cbranch_execz .LBB5_54
; %bb.51:                               ;   in Loop: Header=BB5_47 Depth=3
	v_mov_b32_e32 v27, s22
	ds_cmpst_rtn_b32 v26, v26, v27, v5
	s_mov_b64 s[42:43], -1
	s_waitcnt lgkmcnt(0)
	v_cmp_eq_u32_e32 vcc, s22, v26
	s_and_saveexec_b64 s[44:45], vcc
	s_cbranch_execz .LBB5_53
; %bb.52:                               ;   in Loop: Header=BB5_47 Depth=3
	v_lshl_add_u32 v26, v24, 4, v13
	ds_add_f32 v26, v25
	s_xor_b64 s[42:43], exec, -1
.LBB5_53:                               ;   in Loop: Header=BB5_47 Depth=3
	s_or_b64 exec, exec, s[44:45]
	s_andn2_b64 s[38:39], s[38:39], exec
	s_and_b64 s[42:43], s[42:43], exec
	s_or_b64 s[38:39], s[38:39], s[42:43]
.LBB5_54:                               ;   in Loop: Header=BB5_47 Depth=3
	s_or_b64 exec, exec, s[40:41]
	s_and_b64 s[38:39], s[38:39], exec
.LBB5_55:                               ;   in Loop: Header=BB5_47 Depth=3
	s_andn2_saveexec_b64 s[36:37], s[36:37]
	s_cbranch_execz .LBB5_46
; %bb.56:                               ;   in Loop: Header=BB5_47 Depth=3
	v_lshl_add_u32 v26, v24, 4, v13
	ds_add_f32 v26, v25
	s_andn2_b64 s[38:39], s[38:39], exec
	s_branch .LBB5_46
.LBB5_57:                               ;   in Loop: Header=BB5_21 Depth=2
	s_or_b64 exec, exec, s[34:35]
	v_mul_f32_e32 v23, v17, v23
	v_fmac_f32_e32 v23, v18, v22
	s_mov_b64 s[34:35], 0
	s_branch .LBB5_59
.LBB5_58:                               ;   in Loop: Header=BB5_59 Depth=3
	s_or_b64 exec, exec, s[36:37]
	s_xor_b64 s[36:37], s[38:39], -1
	s_and_b64 s[36:37], exec, s[36:37]
	s_or_b64 s[34:35], s[36:37], s[34:35]
	s_andn2_b64 exec, exec, s[34:35]
	s_cbranch_execz .LBB5_20
.LBB5_59:                               ;   Parent Loop BB5_18 Depth=1
                                        ;     Parent Loop BB5_21 Depth=2
                                        ; =>    This Inner Loop Header: Depth=3
	v_lshl_add_u32 v22, v21, 2, v8
	ds_read_b32 v24, v22
                                        ; implicit-def: $sgpr38_sgpr39
	s_waitcnt lgkmcnt(0)
	v_cmp_ne_u32_e32 vcc, v24, v5
	s_and_saveexec_b64 s[36:37], vcc
	s_xor_b64 s[36:37], exec, s[36:37]
	s_cbranch_execz .LBB5_67
; %bb.60:                               ;   in Loop: Header=BB5_59 Depth=3
	v_cmp_ne_u32_e32 vcc, s22, v24
                                        ; implicit-def: $sgpr38_sgpr39
	s_and_saveexec_b64 s[40:41], vcc
	s_xor_b64 s[40:41], exec, s[40:41]
; %bb.61:                               ;   in Loop: Header=BB5_59 Depth=3
	v_add_u32_e32 v21, 1, v21
	v_and_b32_e32 v21, 7, v21
	s_mov_b64 s[38:39], -1
                                        ; implicit-def: $vgpr22
; %bb.62:                               ;   in Loop: Header=BB5_59 Depth=3
	s_andn2_saveexec_b64 s[40:41], s[40:41]
	s_cbranch_execz .LBB5_66
; %bb.63:                               ;   in Loop: Header=BB5_59 Depth=3
	v_mov_b32_e32 v24, s22
	ds_cmpst_rtn_b32 v22, v22, v24, v5
	s_mov_b64 s[42:43], -1
	s_waitcnt lgkmcnt(0)
	v_cmp_eq_u32_e32 vcc, s22, v22
	s_and_saveexec_b64 s[44:45], vcc
	s_cbranch_execz .LBB5_65
; %bb.64:                               ;   in Loop: Header=BB5_59 Depth=3
	v_lshl_add_u32 v22, v21, 4, v14
	ds_add_f32 v22, v23
	s_xor_b64 s[42:43], exec, -1
.LBB5_65:                               ;   in Loop: Header=BB5_59 Depth=3
	s_or_b64 exec, exec, s[44:45]
	s_andn2_b64 s[38:39], s[38:39], exec
	s_and_b64 s[42:43], s[42:43], exec
	s_or_b64 s[38:39], s[38:39], s[42:43]
.LBB5_66:                               ;   in Loop: Header=BB5_59 Depth=3
	s_or_b64 exec, exec, s[40:41]
	s_and_b64 s[38:39], s[38:39], exec
.LBB5_67:                               ;   in Loop: Header=BB5_59 Depth=3
	s_andn2_saveexec_b64 s[36:37], s[36:37]
	s_cbranch_execz .LBB5_58
; %bb.68:                               ;   in Loop: Header=BB5_59 Depth=3
	v_lshl_add_u32 v22, v21, 4, v14
	ds_add_f32 v22, v23
	s_andn2_b64 s[38:39], s[38:39], exec
	s_branch .LBB5_58
.LBB5_69:
	s_or_b64 exec, exec, s[6:7]
	s_andn2_b64 vcc, exec, s[2:3]
	s_waitcnt lgkmcnt(0)
	s_cbranch_vccnz .LBB5_13
.LBB5_70:
	s_load_dwordx2 s[2:3], s[4:5], 0x60
	v_lshlrev_b64 v[2:3], 2, v[0:1]
	v_subrev_u32_e32 v5, s19, v7
	s_waitcnt lgkmcnt(0)
	v_mov_b32_e32 v4, s3
	v_add_co_u32_e32 v2, vcc, s2, v2
	v_addc_co_u32_e32 v3, vcc, v4, v3, vcc
	global_load_dwordx2 v[2:3], v[2:3], off
	s_waitcnt vmcnt(0)
	v_subrev_u32_e32 v4, s19, v3
	v_add_u32_e32 v2, v2, v5
	v_cmp_lt_i32_e32 vcc, v2, v4
	s_and_saveexec_b64 s[2:3], vcc
	s_cbranch_execz .LBB5_121
; %bb.71:
	s_load_dwordx4 s[8:11], s[4:5], 0x68
	s_cmp_eq_u32 s20, 0
	s_cselect_b32 s21, 1, 2
	s_cselect_b32 s23, 2, 1
	v_add_u32_e32 v5, 4, v6
	v_add_u32_e32 v10, 8, v6
	;; [unrolled: 1-line block ×3, first 2 shown]
	s_mov_b64 s[6:7], 0
	s_waitcnt lgkmcnt(0)
	v_mov_b32_e32 v12, s11
	v_mov_b32_e32 v13, s9
	s_branch .LBB5_73
.LBB5_72:                               ;   in Loop: Header=BB5_73 Depth=1
	s_or_b64 exec, exec, s[12:13]
	v_add_u32_e32 v2, 16, v2
	v_cmp_ge_i32_e32 vcc, v2, v4
	s_or_b64 s[6:7], vcc, s[6:7]
	s_andn2_b64 exec, exec, s[6:7]
	s_cbranch_execz .LBB5_121
.LBB5_73:                               ; =>This Loop Header: Depth=1
                                        ;     Child Loop BB5_75 Depth 2
                                        ;     Child Loop BB5_87 Depth 2
	;; [unrolled: 1-line block ×4, first 2 shown]
	v_lshlrev_b32_e32 v14, 2, v2
	v_ashrrev_i32_e32 v15, 31, v14
	v_or_b32_e32 v16, s21, v14
	v_or_b32_e32 v18, s23, v14
	v_lshlrev_b64 v[14:15], 2, v[14:15]
	v_add_co_u32_e32 v20, vcc, s10, v14
	v_ashrrev_i32_e32 v17, 31, v16
	v_addc_co_u32_e32 v21, vcc, v12, v15, vcc
	v_lshlrev_b64 v[14:15], 2, v[16:17]
	v_add_co_u32_e32 v22, vcc, s10, v14
	v_ashrrev_i32_e32 v3, 31, v2
	v_addc_co_u32_e32 v23, vcc, v12, v15, vcc
	v_lshlrev_b64 v[16:17], 2, v[2:3]
	v_ashrrev_i32_e32 v19, 31, v18
	v_add_co_u32_e32 v16, vcc, s8, v16
	v_lshlrev_b64 v[14:15], 2, v[18:19]
	v_addc_co_u32_e32 v17, vcc, v13, v17, vcc
	global_load_dword v3, v[16:17], off
	v_add_co_u32_e32 v18, vcc, s10, v14
	v_addc_co_u32_e32 v19, vcc, v12, v15, vcc
	global_load_dword v24, v[20:21], off
	global_load_dword v16, v[18:19], off
	;; [unrolled: 1-line block ×3, first 2 shown]
	global_load_dword v15, v[20:21], off offset:12
	s_mov_b64 s[12:13], 0
	s_waitcnt vmcnt(4)
	v_subrev_u32_e32 v3, s19, v3
	v_and_b32_e32 v14, 7, v3
	v_mov_b32_e32 v19, v14
	s_waitcnt vmcnt(3)
	v_mul_f32_e32 v18, v9, v24
	s_branch .LBB5_75
.LBB5_74:                               ;   in Loop: Header=BB5_75 Depth=2
	s_or_b64 exec, exec, s[14:15]
	s_xor_b64 s[14:15], s[16:17], -1
	s_and_b64 s[14:15], exec, s[14:15]
	s_or_b64 s[12:13], s[14:15], s[12:13]
	s_andn2_b64 exec, exec, s[12:13]
	s_cbranch_execz .LBB5_85
.LBB5_75:                               ;   Parent Loop BB5_73 Depth=1
                                        ; =>  This Inner Loop Header: Depth=2
	v_lshl_add_u32 v20, v19, 2, v8
	ds_read_b32 v21, v20
                                        ; implicit-def: $sgpr16_sgpr17
	s_waitcnt lgkmcnt(0)
	v_cmp_ne_u32_e32 vcc, v21, v3
	s_and_saveexec_b64 s[14:15], vcc
	s_xor_b64 s[14:15], exec, s[14:15]
	s_cbranch_execz .LBB5_83
; %bb.76:                               ;   in Loop: Header=BB5_75 Depth=2
	v_cmp_ne_u32_e32 vcc, s22, v21
                                        ; implicit-def: $sgpr16_sgpr17
	s_and_saveexec_b64 s[24:25], vcc
	s_xor_b64 s[24:25], exec, s[24:25]
; %bb.77:                               ;   in Loop: Header=BB5_75 Depth=2
	v_add_u32_e32 v19, 1, v19
	v_and_b32_e32 v19, 7, v19
	s_mov_b64 s[16:17], -1
                                        ; implicit-def: $vgpr20
; %bb.78:                               ;   in Loop: Header=BB5_75 Depth=2
	s_andn2_saveexec_b64 s[24:25], s[24:25]
	s_cbranch_execz .LBB5_82
; %bb.79:                               ;   in Loop: Header=BB5_75 Depth=2
	v_mov_b32_e32 v21, s22
	ds_cmpst_rtn_b32 v20, v20, v21, v3
	s_mov_b64 s[26:27], -1
	s_waitcnt lgkmcnt(0)
	v_cmp_eq_u32_e32 vcc, s22, v20
	s_and_saveexec_b64 s[28:29], vcc
	s_cbranch_execz .LBB5_81
; %bb.80:                               ;   in Loop: Header=BB5_75 Depth=2
	v_lshl_add_u32 v20, v19, 4, v6
	ds_add_f32 v20, v18
	s_xor_b64 s[26:27], exec, -1
.LBB5_81:                               ;   in Loop: Header=BB5_75 Depth=2
	s_or_b64 exec, exec, s[28:29]
	s_andn2_b64 s[16:17], s[16:17], exec
	s_and_b64 s[26:27], s[26:27], exec
	s_or_b64 s[16:17], s[16:17], s[26:27]
.LBB5_82:                               ;   in Loop: Header=BB5_75 Depth=2
	s_or_b64 exec, exec, s[24:25]
	s_and_b64 s[16:17], s[16:17], exec
.LBB5_83:                               ;   in Loop: Header=BB5_75 Depth=2
	s_andn2_saveexec_b64 s[14:15], s[14:15]
	s_cbranch_execz .LBB5_74
; %bb.84:                               ;   in Loop: Header=BB5_75 Depth=2
	v_lshl_add_u32 v20, v19, 4, v6
	ds_add_f32 v20, v18
	s_andn2_b64 s[16:17], s[16:17], exec
	s_branch .LBB5_74
.LBB5_85:                               ;   in Loop: Header=BB5_73 Depth=1
	s_or_b64 exec, exec, s[12:13]
	s_waitcnt vmcnt(1)
	v_mul_f32_e32 v17, v9, v17
	s_mov_b64 s[12:13], 0
	v_mov_b32_e32 v18, v14
	s_branch .LBB5_87
.LBB5_86:                               ;   in Loop: Header=BB5_87 Depth=2
	s_or_b64 exec, exec, s[14:15]
	s_xor_b64 s[14:15], s[16:17], -1
	s_and_b64 s[14:15], exec, s[14:15]
	s_or_b64 s[12:13], s[14:15], s[12:13]
	s_andn2_b64 exec, exec, s[12:13]
	s_cbranch_execz .LBB5_97
.LBB5_87:                               ;   Parent Loop BB5_73 Depth=1
                                        ; =>  This Inner Loop Header: Depth=2
	v_lshl_add_u32 v19, v18, 2, v8
	ds_read_b32 v20, v19
                                        ; implicit-def: $sgpr16_sgpr17
	s_waitcnt lgkmcnt(0)
	v_cmp_ne_u32_e32 vcc, v20, v3
	s_and_saveexec_b64 s[14:15], vcc
	s_xor_b64 s[14:15], exec, s[14:15]
	s_cbranch_execz .LBB5_95
; %bb.88:                               ;   in Loop: Header=BB5_87 Depth=2
	v_cmp_ne_u32_e32 vcc, s22, v20
                                        ; implicit-def: $sgpr16_sgpr17
	s_and_saveexec_b64 s[24:25], vcc
	s_xor_b64 s[24:25], exec, s[24:25]
; %bb.89:                               ;   in Loop: Header=BB5_87 Depth=2
	v_add_u32_e32 v18, 1, v18
	v_and_b32_e32 v18, 7, v18
	s_mov_b64 s[16:17], -1
                                        ; implicit-def: $vgpr19
; %bb.90:                               ;   in Loop: Header=BB5_87 Depth=2
	s_andn2_saveexec_b64 s[24:25], s[24:25]
	s_cbranch_execz .LBB5_94
; %bb.91:                               ;   in Loop: Header=BB5_87 Depth=2
	v_mov_b32_e32 v20, s22
	ds_cmpst_rtn_b32 v19, v19, v20, v3
	s_mov_b64 s[26:27], -1
	s_waitcnt lgkmcnt(0)
	v_cmp_eq_u32_e32 vcc, s22, v19
	s_and_saveexec_b64 s[28:29], vcc
	s_cbranch_execz .LBB5_93
; %bb.92:                               ;   in Loop: Header=BB5_87 Depth=2
	v_lshl_add_u32 v19, v18, 4, v5
	ds_add_f32 v19, v17
	s_xor_b64 s[26:27], exec, -1
.LBB5_93:                               ;   in Loop: Header=BB5_87 Depth=2
	s_or_b64 exec, exec, s[28:29]
	s_andn2_b64 s[16:17], s[16:17], exec
	s_and_b64 s[26:27], s[26:27], exec
	s_or_b64 s[16:17], s[16:17], s[26:27]
.LBB5_94:                               ;   in Loop: Header=BB5_87 Depth=2
	s_or_b64 exec, exec, s[24:25]
	s_and_b64 s[16:17], s[16:17], exec
.LBB5_95:                               ;   in Loop: Header=BB5_87 Depth=2
	s_andn2_saveexec_b64 s[14:15], s[14:15]
	s_cbranch_execz .LBB5_86
; %bb.96:                               ;   in Loop: Header=BB5_87 Depth=2
	v_lshl_add_u32 v19, v18, 4, v5
	ds_add_f32 v19, v17
	s_andn2_b64 s[16:17], s[16:17], exec
	s_branch .LBB5_86
.LBB5_97:                               ;   in Loop: Header=BB5_73 Depth=1
	s_or_b64 exec, exec, s[12:13]
	v_mul_f32_e32 v16, v9, v16
	s_mov_b64 s[12:13], 0
	v_mov_b32_e32 v17, v14
	s_branch .LBB5_99
.LBB5_98:                               ;   in Loop: Header=BB5_99 Depth=2
	s_or_b64 exec, exec, s[14:15]
	s_xor_b64 s[14:15], s[16:17], -1
	s_and_b64 s[14:15], exec, s[14:15]
	s_or_b64 s[12:13], s[14:15], s[12:13]
	s_andn2_b64 exec, exec, s[12:13]
	s_cbranch_execz .LBB5_109
.LBB5_99:                               ;   Parent Loop BB5_73 Depth=1
                                        ; =>  This Inner Loop Header: Depth=2
	v_lshl_add_u32 v18, v17, 2, v8
	ds_read_b32 v19, v18
                                        ; implicit-def: $sgpr16_sgpr17
	s_waitcnt lgkmcnt(0)
	v_cmp_ne_u32_e32 vcc, v19, v3
	s_and_saveexec_b64 s[14:15], vcc
	s_xor_b64 s[14:15], exec, s[14:15]
	s_cbranch_execz .LBB5_107
; %bb.100:                              ;   in Loop: Header=BB5_99 Depth=2
	v_cmp_ne_u32_e32 vcc, s22, v19
                                        ; implicit-def: $sgpr16_sgpr17
	s_and_saveexec_b64 s[24:25], vcc
	s_xor_b64 s[24:25], exec, s[24:25]
; %bb.101:                              ;   in Loop: Header=BB5_99 Depth=2
	v_add_u32_e32 v17, 1, v17
	v_and_b32_e32 v17, 7, v17
	s_mov_b64 s[16:17], -1
                                        ; implicit-def: $vgpr18
; %bb.102:                              ;   in Loop: Header=BB5_99 Depth=2
	s_andn2_saveexec_b64 s[24:25], s[24:25]
	s_cbranch_execz .LBB5_106
; %bb.103:                              ;   in Loop: Header=BB5_99 Depth=2
	v_mov_b32_e32 v19, s22
	ds_cmpst_rtn_b32 v18, v18, v19, v3
	s_mov_b64 s[26:27], -1
	s_waitcnt lgkmcnt(0)
	v_cmp_eq_u32_e32 vcc, s22, v18
	s_and_saveexec_b64 s[28:29], vcc
	s_cbranch_execz .LBB5_105
; %bb.104:                              ;   in Loop: Header=BB5_99 Depth=2
	v_lshl_add_u32 v18, v17, 4, v10
	ds_add_f32 v18, v16
	s_xor_b64 s[26:27], exec, -1
.LBB5_105:                              ;   in Loop: Header=BB5_99 Depth=2
	s_or_b64 exec, exec, s[28:29]
	s_andn2_b64 s[16:17], s[16:17], exec
	s_and_b64 s[26:27], s[26:27], exec
	s_or_b64 s[16:17], s[16:17], s[26:27]
.LBB5_106:                              ;   in Loop: Header=BB5_99 Depth=2
	s_or_b64 exec, exec, s[24:25]
	s_and_b64 s[16:17], s[16:17], exec
.LBB5_107:                              ;   in Loop: Header=BB5_99 Depth=2
	s_andn2_saveexec_b64 s[14:15], s[14:15]
	s_cbranch_execz .LBB5_98
; %bb.108:                              ;   in Loop: Header=BB5_99 Depth=2
	v_lshl_add_u32 v18, v17, 4, v10
	ds_add_f32 v18, v16
	s_andn2_b64 s[16:17], s[16:17], exec
	s_branch .LBB5_98
.LBB5_109:                              ;   in Loop: Header=BB5_73 Depth=1
	s_or_b64 exec, exec, s[12:13]
	s_waitcnt vmcnt(0)
	v_mul_f32_e32 v15, v9, v15
	s_mov_b64 s[12:13], 0
	s_branch .LBB5_111
.LBB5_110:                              ;   in Loop: Header=BB5_111 Depth=2
	s_or_b64 exec, exec, s[14:15]
	s_xor_b64 s[14:15], s[16:17], -1
	s_and_b64 s[14:15], exec, s[14:15]
	s_or_b64 s[12:13], s[14:15], s[12:13]
	s_andn2_b64 exec, exec, s[12:13]
	s_cbranch_execz .LBB5_72
.LBB5_111:                              ;   Parent Loop BB5_73 Depth=1
                                        ; =>  This Inner Loop Header: Depth=2
	v_lshl_add_u32 v16, v14, 2, v8
	ds_read_b32 v17, v16
                                        ; implicit-def: $sgpr16_sgpr17
	s_waitcnt lgkmcnt(0)
	v_cmp_ne_u32_e32 vcc, v17, v3
	s_and_saveexec_b64 s[14:15], vcc
	s_xor_b64 s[14:15], exec, s[14:15]
	s_cbranch_execz .LBB5_119
; %bb.112:                              ;   in Loop: Header=BB5_111 Depth=2
	v_cmp_ne_u32_e32 vcc, s22, v17
                                        ; implicit-def: $sgpr16_sgpr17
	s_and_saveexec_b64 s[24:25], vcc
	s_xor_b64 s[24:25], exec, s[24:25]
; %bb.113:                              ;   in Loop: Header=BB5_111 Depth=2
	v_add_u32_e32 v14, 1, v14
	v_and_b32_e32 v14, 7, v14
	s_mov_b64 s[16:17], -1
                                        ; implicit-def: $vgpr16
; %bb.114:                              ;   in Loop: Header=BB5_111 Depth=2
	s_andn2_saveexec_b64 s[24:25], s[24:25]
	s_cbranch_execz .LBB5_118
; %bb.115:                              ;   in Loop: Header=BB5_111 Depth=2
	v_mov_b32_e32 v17, s22
	ds_cmpst_rtn_b32 v16, v16, v17, v3
	s_mov_b64 s[26:27], -1
	s_waitcnt lgkmcnt(0)
	v_cmp_eq_u32_e32 vcc, s22, v16
	s_and_saveexec_b64 s[28:29], vcc
	s_cbranch_execz .LBB5_117
; %bb.116:                              ;   in Loop: Header=BB5_111 Depth=2
	v_lshl_add_u32 v16, v14, 4, v11
	ds_add_f32 v16, v15
	s_xor_b64 s[26:27], exec, -1
.LBB5_117:                              ;   in Loop: Header=BB5_111 Depth=2
	s_or_b64 exec, exec, s[28:29]
	s_andn2_b64 s[16:17], s[16:17], exec
	s_and_b64 s[26:27], s[26:27], exec
	s_or_b64 s[16:17], s[16:17], s[26:27]
.LBB5_118:                              ;   in Loop: Header=BB5_111 Depth=2
	s_or_b64 exec, exec, s[24:25]
	s_and_b64 s[16:17], s[16:17], exec
.LBB5_119:                              ;   in Loop: Header=BB5_111 Depth=2
	s_andn2_saveexec_b64 s[14:15], s[14:15]
	s_cbranch_execz .LBB5_110
; %bb.120:                              ;   in Loop: Header=BB5_111 Depth=2
	v_lshl_add_u32 v16, v14, 4, v11
	ds_add_f32 v16, v15
	s_andn2_b64 s[16:17], s[16:17], exec
	s_branch .LBB5_110
.LBB5_121:
	s_or_b64 exec, exec, s[2:3]
	s_waitcnt lgkmcnt(0)
	s_and_b64 exec, exec, s[0:1]
	s_cbranch_execz .LBB5_14
.LBB5_122:
	v_lshl_add_u32 v2, v7, 2, v8
	ds_read_b32 v2, v2
	s_waitcnt lgkmcnt(0)
	v_cmp_gt_i32_e32 vcc, s22, v2
	s_and_b64 exec, exec, vcc
	s_cbranch_execz .LBB5_14
; %bb.123:
	s_load_dwordx4 s[0:3], s[4:5], 0x78
	v_lshlrev_b64 v[0:1], 2, v[0:1]
	s_cmp_eq_u32 s20, 0
	v_lshlrev_b32_e32 v4, 2, v7
	v_add_u32_e32 v18, s18, v2
	s_waitcnt lgkmcnt(0)
	v_mov_b32_e32 v3, s1
	v_add_co_u32_e32 v0, vcc, s0, v0
	v_addc_co_u32_e32 v1, vcc, v3, v1, vcc
	global_load_dword v3, v[0:1], off
	ds_read_b128 v[10:13], v8
	ds_read_b128 v[14:17], v8 offset:16
	v_lshl_add_u32 v0, v7, 4, v6
	ds_read2_b32 v[0:1], v0 offset1:3
	s_load_dwordx2 s[0:1], s[4:5], 0x88
	s_waitcnt lgkmcnt(0)
	v_cmp_gt_i32_e32 vcc, v2, v10
	s_cselect_b32 s4, 1, 2
	s_cselect_b32 s5, 2, 1
	v_cndmask_b32_e64 v7, 0, 1, vcc
	v_cmp_gt_i32_e32 vcc, v2, v12
	v_or_b32_e32 v5, s4, v4
	v_or_b32_e32 v4, s5, v4
	v_cndmask_b32_e64 v8, 0, 1, vcc
	v_cmp_gt_i32_e32 vcc, v2, v14
	v_lshl_add_u32 v5, v5, 2, v6
	v_lshl_add_u32 v4, v4, 2, v6
	v_cndmask_b32_e64 v9, 0, 1, vcc
	v_cmp_gt_i32_e32 vcc, v2, v16
	ds_read_b32 v5, v5
	ds_read_b32 v6, v4
	v_cndmask_b32_e64 v10, 0, 1, vcc
	v_mov_b32_e32 v4, v0
	v_cmp_gt_i32_e32 vcc, v2, v11
	v_mov_b32_e32 v12, s3
	v_mov_b32_e32 v14, s1
	s_waitcnt vmcnt(0)
	v_subrev_u32_e32 v0, s18, v3
	v_addc_co_u32_e32 v0, vcc, v0, v7, vcc
	v_cmp_gt_i32_e32 vcc, v2, v13
	v_addc_co_u32_e32 v0, vcc, v0, v8, vcc
	v_cmp_gt_i32_e32 vcc, v2, v15
	;; [unrolled: 2-line block ×3, first 2 shown]
	v_addc_co_u32_e32 v2, vcc, v0, v10, vcc
	v_ashrrev_i32_e32 v3, 31, v2
	v_lshlrev_b32_e32 v8, 2, v2
	v_lshlrev_b64 v[2:3], 2, v[2:3]
	v_ashrrev_i32_e32 v9, 31, v8
	v_add_co_u32_e32 v2, vcc, s2, v2
	v_addc_co_u32_e32 v3, vcc, v12, v3, vcc
	v_lshlrev_b64 v[8:9], 2, v[8:9]
	global_store_dword v[2:3], v18, off
	v_add_co_u32_e32 v2, vcc, s0, v8
	v_addc_co_u32_e32 v3, vcc, v14, v9, vcc
	v_mov_b32_e32 v7, v1
	s_waitcnt lgkmcnt(0)
	global_store_dwordx4 v[2:3], v[4:7], off
	s_endpgm
	.section	.rodata,"a",@progbits
	.p2align	6, 0x0
	.amdhsa_kernel _ZN9rocsparseL27bsrgemm_fill_wf_per_row_2x2ILj256ELj16ELj8ELj137EiifEEv20rocsparse_direction_T4_S2_PKS2_S4_NS_24const_host_device_scalarIT5_EEPKT3_S4_PKS6_SA_S4_SC_S7_SA_S4_SC_SA_PS2_PS6_21rocsparse_index_base_SF_SF_SF_bbb
		.amdhsa_group_segment_fixed_size 2560
		.amdhsa_private_segment_fixed_size 0
		.amdhsa_kernarg_size 164
		.amdhsa_user_sgpr_count 6
		.amdhsa_user_sgpr_private_segment_buffer 1
		.amdhsa_user_sgpr_dispatch_ptr 0
		.amdhsa_user_sgpr_queue_ptr 0
		.amdhsa_user_sgpr_kernarg_segment_ptr 1
		.amdhsa_user_sgpr_dispatch_id 0
		.amdhsa_user_sgpr_flat_scratch_init 0
		.amdhsa_user_sgpr_kernarg_preload_length 0
		.amdhsa_user_sgpr_kernarg_preload_offset 0
		.amdhsa_user_sgpr_private_segment_size 0
		.amdhsa_uses_dynamic_stack 0
		.amdhsa_system_sgpr_private_segment_wavefront_offset 0
		.amdhsa_system_sgpr_workgroup_id_x 1
		.amdhsa_system_sgpr_workgroup_id_y 0
		.amdhsa_system_sgpr_workgroup_id_z 0
		.amdhsa_system_sgpr_workgroup_info 0
		.amdhsa_system_vgpr_workitem_id 0
		.amdhsa_next_free_vgpr 32
		.amdhsa_next_free_sgpr 46
		.amdhsa_accum_offset 32
		.amdhsa_reserve_vcc 1
		.amdhsa_reserve_flat_scratch 0
		.amdhsa_float_round_mode_32 0
		.amdhsa_float_round_mode_16_64 0
		.amdhsa_float_denorm_mode_32 3
		.amdhsa_float_denorm_mode_16_64 3
		.amdhsa_dx10_clamp 1
		.amdhsa_ieee_mode 1
		.amdhsa_fp16_overflow 0
		.amdhsa_tg_split 0
		.amdhsa_exception_fp_ieee_invalid_op 0
		.amdhsa_exception_fp_denorm_src 0
		.amdhsa_exception_fp_ieee_div_zero 0
		.amdhsa_exception_fp_ieee_overflow 0
		.amdhsa_exception_fp_ieee_underflow 0
		.amdhsa_exception_fp_ieee_inexact 0
		.amdhsa_exception_int_div_zero 0
	.end_amdhsa_kernel
	.section	.text._ZN9rocsparseL27bsrgemm_fill_wf_per_row_2x2ILj256ELj16ELj8ELj137EiifEEv20rocsparse_direction_T4_S2_PKS2_S4_NS_24const_host_device_scalarIT5_EEPKT3_S4_PKS6_SA_S4_SC_S7_SA_S4_SC_SA_PS2_PS6_21rocsparse_index_base_SF_SF_SF_bbb,"axG",@progbits,_ZN9rocsparseL27bsrgemm_fill_wf_per_row_2x2ILj256ELj16ELj8ELj137EiifEEv20rocsparse_direction_T4_S2_PKS2_S4_NS_24const_host_device_scalarIT5_EEPKT3_S4_PKS6_SA_S4_SC_S7_SA_S4_SC_SA_PS2_PS6_21rocsparse_index_base_SF_SF_SF_bbb,comdat
.Lfunc_end5:
	.size	_ZN9rocsparseL27bsrgemm_fill_wf_per_row_2x2ILj256ELj16ELj8ELj137EiifEEv20rocsparse_direction_T4_S2_PKS2_S4_NS_24const_host_device_scalarIT5_EEPKT3_S4_PKS6_SA_S4_SC_S7_SA_S4_SC_SA_PS2_PS6_21rocsparse_index_base_SF_SF_SF_bbb, .Lfunc_end5-_ZN9rocsparseL27bsrgemm_fill_wf_per_row_2x2ILj256ELj16ELj8ELj137EiifEEv20rocsparse_direction_T4_S2_PKS2_S4_NS_24const_host_device_scalarIT5_EEPKT3_S4_PKS6_SA_S4_SC_S7_SA_S4_SC_SA_PS2_PS6_21rocsparse_index_base_SF_SF_SF_bbb
                                        ; -- End function
	.section	.AMDGPU.csdata,"",@progbits
; Kernel info:
; codeLenInByte = 3416
; NumSgprs: 50
; NumVgprs: 32
; NumAgprs: 0
; TotalNumVgprs: 32
; ScratchSize: 0
; MemoryBound: 0
; FloatMode: 240
; IeeeMode: 1
; LDSByteSize: 2560 bytes/workgroup (compile time only)
; SGPRBlocks: 6
; VGPRBlocks: 3
; NumSGPRsForWavesPerEU: 50
; NumVGPRsForWavesPerEU: 32
; AccumOffset: 32
; Occupancy: 8
; WaveLimiterHint : 1
; COMPUTE_PGM_RSRC2:SCRATCH_EN: 0
; COMPUTE_PGM_RSRC2:USER_SGPR: 6
; COMPUTE_PGM_RSRC2:TRAP_HANDLER: 0
; COMPUTE_PGM_RSRC2:TGID_X_EN: 1
; COMPUTE_PGM_RSRC2:TGID_Y_EN: 0
; COMPUTE_PGM_RSRC2:TGID_Z_EN: 0
; COMPUTE_PGM_RSRC2:TIDIG_COMP_CNT: 0
; COMPUTE_PGM_RSRC3_GFX90A:ACCUM_OFFSET: 7
; COMPUTE_PGM_RSRC3_GFX90A:TG_SPLIT: 0
	.section	.text._ZN9rocsparseL27bsrgemm_fill_wf_per_row_2x2ILj256ELj16ELj16ELj137EiifEEv20rocsparse_direction_T4_S2_PKS2_S4_NS_24const_host_device_scalarIT5_EEPKT3_S4_PKS6_SA_S4_SC_S7_SA_S4_SC_SA_PS2_PS6_21rocsparse_index_base_SF_SF_SF_bbb,"axG",@progbits,_ZN9rocsparseL27bsrgemm_fill_wf_per_row_2x2ILj256ELj16ELj16ELj137EiifEEv20rocsparse_direction_T4_S2_PKS2_S4_NS_24const_host_device_scalarIT5_EEPKT3_S4_PKS6_SA_S4_SC_S7_SA_S4_SC_SA_PS2_PS6_21rocsparse_index_base_SF_SF_SF_bbb,comdat
	.globl	_ZN9rocsparseL27bsrgemm_fill_wf_per_row_2x2ILj256ELj16ELj16ELj137EiifEEv20rocsparse_direction_T4_S2_PKS2_S4_NS_24const_host_device_scalarIT5_EEPKT3_S4_PKS6_SA_S4_SC_S7_SA_S4_SC_SA_PS2_PS6_21rocsparse_index_base_SF_SF_SF_bbb ; -- Begin function _ZN9rocsparseL27bsrgemm_fill_wf_per_row_2x2ILj256ELj16ELj16ELj137EiifEEv20rocsparse_direction_T4_S2_PKS2_S4_NS_24const_host_device_scalarIT5_EEPKT3_S4_PKS6_SA_S4_SC_S7_SA_S4_SC_SA_PS2_PS6_21rocsparse_index_base_SF_SF_SF_bbb
	.p2align	8
	.type	_ZN9rocsparseL27bsrgemm_fill_wf_per_row_2x2ILj256ELj16ELj16ELj137EiifEEv20rocsparse_direction_T4_S2_PKS2_S4_NS_24const_host_device_scalarIT5_EEPKT3_S4_PKS6_SA_S4_SC_S7_SA_S4_SC_SA_PS2_PS6_21rocsparse_index_base_SF_SF_SF_bbb,@function
_ZN9rocsparseL27bsrgemm_fill_wf_per_row_2x2ILj256ELj16ELj16ELj137EiifEEv20rocsparse_direction_T4_S2_PKS2_S4_NS_24const_host_device_scalarIT5_EEPKT3_S4_PKS6_SA_S4_SC_S7_SA_S4_SC_SA_PS2_PS6_21rocsparse_index_base_SF_SF_SF_bbb: ; @_ZN9rocsparseL27bsrgemm_fill_wf_per_row_2x2ILj256ELj16ELj16ELj137EiifEEv20rocsparse_direction_T4_S2_PKS2_S4_NS_24const_host_device_scalarIT5_EEPKT3_S4_PKS6_SA_S4_SC_S7_SA_S4_SC_SA_PS2_PS6_21rocsparse_index_base_SF_SF_SF_bbb
; %bb.0:
	s_load_dword s7, s[4:5], 0xa0
	s_load_dwordx2 s[0:1], s[4:5], 0x20
	s_load_dwordx2 s[8:9], s[4:5], 0x58
	s_waitcnt lgkmcnt(0)
	s_bitcmp1_b32 s7, 0
	s_cselect_b64 s[2:3], -1, 0
	s_bitcmp1_b32 s7, 16
	s_cselect_b64 s[10:11], -1, 0
	s_xor_b64 s[12:13], s[2:3], -1
	s_or_b64 s[12:13], s[12:13], s[10:11]
	s_and_b64 vcc, exec, s[12:13]
	s_cbranch_vccnz .LBB6_2
; %bb.1:
	s_load_dword s0, s[0:1], 0x0
	s_waitcnt lgkmcnt(0)
	v_mov_b32_e32 v12, s0
	s_branch .LBB6_3
.LBB6_2:
	v_mov_b32_e32 v1, s0
	v_cndmask_b32_e64 v12, 0, v1, s[2:3]
.LBB6_3:
	s_bitcmp1_b32 s7, 8
	s_cselect_b64 s[0:1], -1, 0
	s_xor_b64 s[12:13], s[0:1], -1
	s_or_b64 s[10:11], s[12:13], s[10:11]
	s_and_b64 vcc, exec, s[10:11]
	s_cbranch_vccnz .LBB6_5
; %bb.4:
	s_load_dword s7, s[8:9], 0x0
	s_waitcnt lgkmcnt(0)
	v_mov_b32_e32 v10, s7
	s_branch .LBB6_6
.LBB6_5:
	v_mov_b32_e32 v1, s8
	v_cndmask_b32_e64 v10, 0, v1, s[0:1]
.LBB6_6:
	s_load_dwordx4 s[20:23], s[4:5], 0x0
	v_and_b32_e32 v8, 15, v0
	v_lshrrev_b32_e32 v1, 4, v0
	v_and_b32_e32 v0, 0xf0, v0
	v_mov_b32_e32 v2, 0x1000
	v_lshl_or_b32 v9, v0, 2, v2
	v_lshlrev_b32_e32 v6, 2, v8
	v_or_b32_e32 v11, v9, v6
	s_waitcnt lgkmcnt(0)
	v_mov_b32_e32 v0, s22
	v_lshlrev_b32_e32 v7, 8, v1
	ds_write_b32 v11, v0
	v_or_b32_e32 v0, v7, v6
	v_mov_b32_e32 v2, 0
	ds_write2_b32 v0, v2, v2 offset1:16
	ds_write2_b32 v0, v2, v2 offset0:32 offset1:48
	v_lshl_or_b32 v0, s6, 4, v1
	v_cmp_gt_i32_e32 vcc, s21, v0
	s_waitcnt lgkmcnt(0)
	s_barrier
	s_and_saveexec_b64 s[6:7], vcc
	s_cbranch_execz .LBB6_120
; %bb.7:
	s_load_dwordx2 s[6:7], s[4:5], 0x18
	s_load_dwordx4 s[16:19], s[4:5], 0x90
	s_waitcnt lgkmcnt(0)
	s_cmp_eq_u64 s[6:7], 0
	s_cbranch_scc1 .LBB6_9
; %bb.8:
	s_load_dwordx2 s[8:9], s[4:5], 0x10
	v_mov_b32_e32 v2, s7
	s_waitcnt lgkmcnt(0)
	s_load_dword s8, s[8:9], 0x0
	s_waitcnt lgkmcnt(0)
	v_add_u32_e32 v0, s8, v0
	v_ashrrev_i32_e32 v1, 31, v0
	v_lshlrev_b64 v[0:1], 2, v[0:1]
	v_add_co_u32_e32 v0, vcc, s6, v0
	v_addc_co_u32_e32 v1, vcc, v2, v1, vcc
	global_load_dword v0, v[0:1], off
.LBB6_9:
	s_waitcnt vmcnt(0)
	v_ashrrev_i32_e32 v1, 31, v0
	s_andn2_b64 vcc, exec, s[2:3]
	v_lshlrev_b64 v[0:1], 2, v[0:1]
	s_cbranch_vccnz .LBB6_65
; %bb.10:
	s_load_dwordx2 s[2:3], s[4:5], 0x28
	v_subrev_u32_e32 v4, s16, v8
	s_waitcnt lgkmcnt(0)
	v_mov_b32_e32 v3, s3
	v_add_co_u32_e32 v2, vcc, s2, v0
	v_addc_co_u32_e32 v3, vcc, v3, v1, vcc
	global_load_dwordx2 v[2:3], v[2:3], off
	s_waitcnt vmcnt(0)
	v_subrev_u32_e32 v13, s16, v3
	v_add_u32_e32 v2, v2, v4
	v_cmp_lt_i32_e32 vcc, v2, v13
	s_and_saveexec_b64 s[2:3], vcc
	s_cbranch_execz .LBB6_64
; %bb.11:
	s_load_dwordx2 s[6:7], s[4:5], 0x50
	s_load_dwordx8 s[8:15], s[4:5], 0x30
	s_cmp_eq_u32 s20, 0
	s_cselect_b32 s21, 1, 2
	s_cselect_b32 s23, 2, 1
	v_add_u32_e32 v14, 4, v7
	v_add_u32_e32 v15, 8, v7
	;; [unrolled: 1-line block ×3, first 2 shown]
	s_mov_b64 s[24:25], 0
	s_waitcnt lgkmcnt(0)
	v_mov_b32_e32 v17, s9
	v_mov_b32_e32 v18, s13
	s_branch .LBB6_13
.LBB6_12:                               ;   in Loop: Header=BB6_13 Depth=1
	s_or_b64 exec, exec, s[26:27]
	v_add_u32_e32 v2, 16, v2
	v_cmp_ge_i32_e32 vcc, v2, v13
	s_or_b64 s[24:25], vcc, s[24:25]
	s_andn2_b64 exec, exec, s[24:25]
	s_cbranch_execz .LBB6_64
.LBB6_13:                               ; =>This Loop Header: Depth=1
                                        ;     Child Loop BB6_16 Depth 2
                                        ;       Child Loop BB6_18 Depth 3
                                        ;       Child Loop BB6_30 Depth 3
                                        ;       Child Loop BB6_42 Depth 3
                                        ;       Child Loop BB6_54 Depth 3
	v_ashrrev_i32_e32 v3, 31, v2
	v_lshlrev_b64 v[4:5], 2, v[2:3]
	v_add_co_u32_e32 v4, vcc, s8, v4
	v_addc_co_u32_e32 v5, vcc, v17, v5, vcc
	global_load_dword v3, v[4:5], off
	s_waitcnt vmcnt(0)
	v_subrev_u32_e32 v4, s16, v3
	v_ashrrev_i32_e32 v5, 31, v4
	v_lshlrev_b64 v[4:5], 2, v[4:5]
	v_add_co_u32_e32 v4, vcc, s12, v4
	v_addc_co_u32_e32 v5, vcc, v18, v5, vcc
	global_load_dwordx2 v[4:5], v[4:5], off
	s_waitcnt vmcnt(0)
	v_cmp_lt_i32_e32 vcc, v4, v5
	s_and_saveexec_b64 s[26:27], vcc
	s_cbranch_execz .LBB6_12
; %bb.14:                               ;   in Loop: Header=BB6_13 Depth=1
	v_lshlrev_b32_e32 v20, 2, v2
	v_ashrrev_i32_e32 v21, 31, v20
	v_or_b32_e32 v22, s21, v20
	v_or_b32_e32 v24, s23, v20
	v_lshlrev_b64 v[20:21], 2, v[20:21]
	v_mov_b32_e32 v3, s11
	v_add_co_u32_e32 v20, vcc, s10, v20
	v_ashrrev_i32_e32 v25, 31, v24
	v_addc_co_u32_e32 v21, vcc, v3, v21, vcc
	v_lshlrev_b64 v[24:25], 2, v[24:25]
	v_add_co_u32_e32 v24, vcc, s10, v24
	v_ashrrev_i32_e32 v23, 31, v22
	v_addc_co_u32_e32 v25, vcc, v3, v25, vcc
	v_lshlrev_b64 v[22:23], 2, v[22:23]
	v_add_co_u32_e32 v22, vcc, s10, v22
	v_addc_co_u32_e32 v23, vcc, v3, v23, vcc
	global_load_dword v19, v[20:21], off offset:12
	global_load_dword v26, v[24:25], off
	global_load_dword v27, v[22:23], off
	;; [unrolled: 1-line block ×3, first 2 shown]
	v_subrev_u32_e32 v3, s17, v5
	v_subrev_u32_e32 v4, s17, v4
	s_mov_b64 s[28:29], 0
	s_waitcnt vmcnt(3)
	v_mul_f32_e32 v19, v12, v19
	s_waitcnt vmcnt(2)
	v_mul_f32_e32 v20, v12, v26
	;; [unrolled: 2-line block ×4, first 2 shown]
	s_branch .LBB6_16
.LBB6_15:                               ;   in Loop: Header=BB6_16 Depth=2
	s_or_b64 exec, exec, s[30:31]
	v_add_u32_e32 v4, 1, v4
	v_cmp_ge_i32_e32 vcc, v4, v3
	s_or_b64 s[28:29], vcc, s[28:29]
	s_andn2_b64 exec, exec, s[28:29]
	s_cbranch_execz .LBB6_12
.LBB6_16:                               ;   Parent Loop BB6_13 Depth=1
                                        ; =>  This Loop Header: Depth=2
                                        ;       Child Loop BB6_18 Depth 3
                                        ;       Child Loop BB6_30 Depth 3
	;; [unrolled: 1-line block ×4, first 2 shown]
	v_ashrrev_i32_e32 v5, 31, v4
	v_lshlrev_b64 v[24:25], 2, v[4:5]
	v_mov_b32_e32 v5, s15
	v_add_co_u32_e32 v24, vcc, s14, v24
	v_addc_co_u32_e32 v25, vcc, v5, v25, vcc
	global_load_dword v5, v[24:25], off
	v_lshlrev_b32_e32 v24, 2, v4
	v_ashrrev_i32_e32 v25, 31, v24
	v_or_b32_e32 v28, s21, v24
	v_or_b32_e32 v30, s23, v24
	v_lshlrev_b64 v[24:25], 2, v[24:25]
	v_mov_b32_e32 v23, s7
	v_add_co_u32_e32 v32, vcc, s6, v24
	v_ashrrev_i32_e32 v29, 31, v28
	v_ashrrev_i32_e32 v31, 31, v30
	v_addc_co_u32_e32 v33, vcc, v23, v25, vcc
	v_lshlrev_b64 v[24:25], 2, v[28:29]
	v_lshlrev_b64 v[28:29], 2, v[30:31]
	v_add_co_u32_e32 v28, vcc, s6, v28
	v_addc_co_u32_e32 v29, vcc, v23, v29, vcc
	global_load_dword v26, v[32:33], off
	global_load_dword v27, v[28:29], off
	v_add_co_u32_e32 v28, vcc, s6, v24
	v_addc_co_u32_e32 v29, vcc, v23, v25, vcc
	global_load_dword v24, v[28:29], off
	global_load_dword v25, v[32:33], off offset:12
	s_mov_b64 s[30:31], 0
	s_waitcnt vmcnt(4)
	v_subrev_u32_e32 v5, s17, v5
	v_lshl_add_u32 v23, v5, 3, v5
	v_and_b32_e32 v23, 15, v23
	v_mov_b32_e32 v29, v23
	s_waitcnt vmcnt(2)
	v_mul_f32_e32 v28, v22, v27
	v_fmac_f32_e32 v28, v21, v26
	s_branch .LBB6_18
.LBB6_17:                               ;   in Loop: Header=BB6_18 Depth=3
	s_or_b64 exec, exec, s[34:35]
	s_xor_b64 s[34:35], s[36:37], -1
	s_and_b64 s[34:35], exec, s[34:35]
	s_or_b64 s[30:31], s[34:35], s[30:31]
	s_andn2_b64 exec, exec, s[30:31]
	s_cbranch_execz .LBB6_28
.LBB6_18:                               ;   Parent Loop BB6_13 Depth=1
                                        ;     Parent Loop BB6_16 Depth=2
                                        ; =>    This Inner Loop Header: Depth=3
	v_lshl_add_u32 v30, v29, 2, v9
	ds_read_b32 v31, v30
                                        ; implicit-def: $sgpr36_sgpr37
	s_waitcnt lgkmcnt(0)
	v_cmp_ne_u32_e32 vcc, v31, v5
	s_and_saveexec_b64 s[34:35], vcc
	s_xor_b64 s[34:35], exec, s[34:35]
	s_cbranch_execz .LBB6_26
; %bb.19:                               ;   in Loop: Header=BB6_18 Depth=3
	v_cmp_ne_u32_e32 vcc, s22, v31
                                        ; implicit-def: $sgpr36_sgpr37
	s_and_saveexec_b64 s[38:39], vcc
	s_xor_b64 s[38:39], exec, s[38:39]
; %bb.20:                               ;   in Loop: Header=BB6_18 Depth=3
	v_add_u32_e32 v29, 1, v29
	v_and_b32_e32 v29, 15, v29
	s_mov_b64 s[36:37], -1
                                        ; implicit-def: $vgpr30
; %bb.21:                               ;   in Loop: Header=BB6_18 Depth=3
	s_andn2_saveexec_b64 s[38:39], s[38:39]
	s_cbranch_execz .LBB6_25
; %bb.22:                               ;   in Loop: Header=BB6_18 Depth=3
	v_mov_b32_e32 v31, s22
	ds_cmpst_rtn_b32 v30, v30, v31, v5
	s_mov_b64 s[40:41], -1
	s_waitcnt lgkmcnt(0)
	v_cmp_eq_u32_e32 vcc, s22, v30
	s_and_saveexec_b64 s[42:43], vcc
	s_cbranch_execz .LBB6_24
; %bb.23:                               ;   in Loop: Header=BB6_18 Depth=3
	v_lshl_add_u32 v30, v29, 4, v7
	ds_add_f32 v30, v28
	s_xor_b64 s[40:41], exec, -1
.LBB6_24:                               ;   in Loop: Header=BB6_18 Depth=3
	s_or_b64 exec, exec, s[42:43]
	s_andn2_b64 s[36:37], s[36:37], exec
	s_and_b64 s[40:41], s[40:41], exec
	s_or_b64 s[36:37], s[36:37], s[40:41]
.LBB6_25:                               ;   in Loop: Header=BB6_18 Depth=3
	s_or_b64 exec, exec, s[38:39]
	s_and_b64 s[36:37], s[36:37], exec
.LBB6_26:                               ;   in Loop: Header=BB6_18 Depth=3
	s_andn2_saveexec_b64 s[34:35], s[34:35]
	s_cbranch_execz .LBB6_17
; %bb.27:                               ;   in Loop: Header=BB6_18 Depth=3
	v_lshl_add_u32 v30, v29, 4, v7
	ds_add_f32 v30, v28
	s_andn2_b64 s[36:37], s[36:37], exec
	s_branch .LBB6_17
.LBB6_28:                               ;   in Loop: Header=BB6_16 Depth=2
	s_or_b64 exec, exec, s[30:31]
	s_waitcnt vmcnt(0)
	v_mul_f32_e32 v28, v22, v25
	v_fmac_f32_e32 v28, v21, v24
	s_mov_b64 s[30:31], 0
	v_mov_b32_e32 v29, v23
	s_branch .LBB6_30
.LBB6_29:                               ;   in Loop: Header=BB6_30 Depth=3
	s_or_b64 exec, exec, s[34:35]
	s_xor_b64 s[34:35], s[36:37], -1
	s_and_b64 s[34:35], exec, s[34:35]
	s_or_b64 s[30:31], s[34:35], s[30:31]
	s_andn2_b64 exec, exec, s[30:31]
	s_cbranch_execz .LBB6_40
.LBB6_30:                               ;   Parent Loop BB6_13 Depth=1
                                        ;     Parent Loop BB6_16 Depth=2
                                        ; =>    This Inner Loop Header: Depth=3
	v_lshl_add_u32 v30, v29, 2, v9
	ds_read_b32 v31, v30
                                        ; implicit-def: $sgpr36_sgpr37
	s_waitcnt lgkmcnt(0)
	v_cmp_ne_u32_e32 vcc, v31, v5
	s_and_saveexec_b64 s[34:35], vcc
	s_xor_b64 s[34:35], exec, s[34:35]
	s_cbranch_execz .LBB6_38
; %bb.31:                               ;   in Loop: Header=BB6_30 Depth=3
	v_cmp_ne_u32_e32 vcc, s22, v31
                                        ; implicit-def: $sgpr36_sgpr37
	s_and_saveexec_b64 s[38:39], vcc
	s_xor_b64 s[38:39], exec, s[38:39]
; %bb.32:                               ;   in Loop: Header=BB6_30 Depth=3
	v_add_u32_e32 v29, 1, v29
	v_and_b32_e32 v29, 15, v29
	s_mov_b64 s[36:37], -1
                                        ; implicit-def: $vgpr30
; %bb.33:                               ;   in Loop: Header=BB6_30 Depth=3
	s_andn2_saveexec_b64 s[38:39], s[38:39]
	s_cbranch_execz .LBB6_37
; %bb.34:                               ;   in Loop: Header=BB6_30 Depth=3
	v_mov_b32_e32 v31, s22
	ds_cmpst_rtn_b32 v30, v30, v31, v5
	s_mov_b64 s[40:41], -1
	s_waitcnt lgkmcnt(0)
	v_cmp_eq_u32_e32 vcc, s22, v30
	s_and_saveexec_b64 s[42:43], vcc
	s_cbranch_execz .LBB6_36
; %bb.35:                               ;   in Loop: Header=BB6_30 Depth=3
	v_lshl_add_u32 v30, v29, 4, v14
	ds_add_f32 v30, v28
	s_xor_b64 s[40:41], exec, -1
.LBB6_36:                               ;   in Loop: Header=BB6_30 Depth=3
	s_or_b64 exec, exec, s[42:43]
	s_andn2_b64 s[36:37], s[36:37], exec
	s_and_b64 s[40:41], s[40:41], exec
	s_or_b64 s[36:37], s[36:37], s[40:41]
.LBB6_37:                               ;   in Loop: Header=BB6_30 Depth=3
	s_or_b64 exec, exec, s[38:39]
	s_and_b64 s[36:37], s[36:37], exec
.LBB6_38:                               ;   in Loop: Header=BB6_30 Depth=3
	s_andn2_saveexec_b64 s[34:35], s[34:35]
	s_cbranch_execz .LBB6_29
; %bb.39:                               ;   in Loop: Header=BB6_30 Depth=3
	v_lshl_add_u32 v30, v29, 4, v14
	ds_add_f32 v30, v28
	s_andn2_b64 s[36:37], s[36:37], exec
	s_branch .LBB6_29
.LBB6_40:                               ;   in Loop: Header=BB6_16 Depth=2
	s_or_b64 exec, exec, s[30:31]
	v_mul_f32_e32 v27, v19, v27
	v_fmac_f32_e32 v27, v20, v26
	s_mov_b64 s[30:31], 0
	v_mov_b32_e32 v26, v23
	s_branch .LBB6_42
.LBB6_41:                               ;   in Loop: Header=BB6_42 Depth=3
	s_or_b64 exec, exec, s[34:35]
	s_xor_b64 s[34:35], s[36:37], -1
	s_and_b64 s[34:35], exec, s[34:35]
	s_or_b64 s[30:31], s[34:35], s[30:31]
	s_andn2_b64 exec, exec, s[30:31]
	s_cbranch_execz .LBB6_52
.LBB6_42:                               ;   Parent Loop BB6_13 Depth=1
                                        ;     Parent Loop BB6_16 Depth=2
                                        ; =>    This Inner Loop Header: Depth=3
	v_lshl_add_u32 v28, v26, 2, v9
	ds_read_b32 v29, v28
                                        ; implicit-def: $sgpr36_sgpr37
	s_waitcnt lgkmcnt(0)
	v_cmp_ne_u32_e32 vcc, v29, v5
	s_and_saveexec_b64 s[34:35], vcc
	s_xor_b64 s[34:35], exec, s[34:35]
	s_cbranch_execz .LBB6_50
; %bb.43:                               ;   in Loop: Header=BB6_42 Depth=3
	v_cmp_ne_u32_e32 vcc, s22, v29
                                        ; implicit-def: $sgpr36_sgpr37
	s_and_saveexec_b64 s[38:39], vcc
	s_xor_b64 s[38:39], exec, s[38:39]
; %bb.44:                               ;   in Loop: Header=BB6_42 Depth=3
	v_add_u32_e32 v26, 1, v26
	v_and_b32_e32 v26, 15, v26
	s_mov_b64 s[36:37], -1
                                        ; implicit-def: $vgpr28
; %bb.45:                               ;   in Loop: Header=BB6_42 Depth=3
	s_andn2_saveexec_b64 s[38:39], s[38:39]
	s_cbranch_execz .LBB6_49
; %bb.46:                               ;   in Loop: Header=BB6_42 Depth=3
	v_mov_b32_e32 v29, s22
	ds_cmpst_rtn_b32 v28, v28, v29, v5
	s_mov_b64 s[40:41], -1
	s_waitcnt lgkmcnt(0)
	v_cmp_eq_u32_e32 vcc, s22, v28
	s_and_saveexec_b64 s[42:43], vcc
	s_cbranch_execz .LBB6_48
; %bb.47:                               ;   in Loop: Header=BB6_42 Depth=3
	v_lshl_add_u32 v28, v26, 4, v15
	ds_add_f32 v28, v27
	s_xor_b64 s[40:41], exec, -1
.LBB6_48:                               ;   in Loop: Header=BB6_42 Depth=3
	s_or_b64 exec, exec, s[42:43]
	s_andn2_b64 s[36:37], s[36:37], exec
	s_and_b64 s[40:41], s[40:41], exec
	s_or_b64 s[36:37], s[36:37], s[40:41]
.LBB6_49:                               ;   in Loop: Header=BB6_42 Depth=3
	s_or_b64 exec, exec, s[38:39]
	s_and_b64 s[36:37], s[36:37], exec
.LBB6_50:                               ;   in Loop: Header=BB6_42 Depth=3
	s_andn2_saveexec_b64 s[34:35], s[34:35]
	s_cbranch_execz .LBB6_41
; %bb.51:                               ;   in Loop: Header=BB6_42 Depth=3
	v_lshl_add_u32 v28, v26, 4, v15
	ds_add_f32 v28, v27
	s_andn2_b64 s[36:37], s[36:37], exec
	s_branch .LBB6_41
.LBB6_52:                               ;   in Loop: Header=BB6_16 Depth=2
	s_or_b64 exec, exec, s[30:31]
	v_mul_f32_e32 v25, v19, v25
	v_fmac_f32_e32 v25, v20, v24
	s_mov_b64 s[30:31], 0
	s_branch .LBB6_54
.LBB6_53:                               ;   in Loop: Header=BB6_54 Depth=3
	s_or_b64 exec, exec, s[34:35]
	s_xor_b64 s[34:35], s[36:37], -1
	s_and_b64 s[34:35], exec, s[34:35]
	s_or_b64 s[30:31], s[34:35], s[30:31]
	s_andn2_b64 exec, exec, s[30:31]
	s_cbranch_execz .LBB6_15
.LBB6_54:                               ;   Parent Loop BB6_13 Depth=1
                                        ;     Parent Loop BB6_16 Depth=2
                                        ; =>    This Inner Loop Header: Depth=3
	v_lshl_add_u32 v24, v23, 2, v9
	ds_read_b32 v26, v24
                                        ; implicit-def: $sgpr36_sgpr37
	s_waitcnt lgkmcnt(0)
	v_cmp_ne_u32_e32 vcc, v26, v5
	s_and_saveexec_b64 s[34:35], vcc
	s_xor_b64 s[34:35], exec, s[34:35]
	s_cbranch_execz .LBB6_62
; %bb.55:                               ;   in Loop: Header=BB6_54 Depth=3
	v_cmp_ne_u32_e32 vcc, s22, v26
                                        ; implicit-def: $sgpr36_sgpr37
	s_and_saveexec_b64 s[38:39], vcc
	s_xor_b64 s[38:39], exec, s[38:39]
; %bb.56:                               ;   in Loop: Header=BB6_54 Depth=3
	v_add_u32_e32 v23, 1, v23
	v_and_b32_e32 v23, 15, v23
	s_mov_b64 s[36:37], -1
                                        ; implicit-def: $vgpr24
; %bb.57:                               ;   in Loop: Header=BB6_54 Depth=3
	s_andn2_saveexec_b64 s[38:39], s[38:39]
	s_cbranch_execz .LBB6_61
; %bb.58:                               ;   in Loop: Header=BB6_54 Depth=3
	v_mov_b32_e32 v26, s22
	ds_cmpst_rtn_b32 v24, v24, v26, v5
	s_mov_b64 s[40:41], -1
	s_waitcnt lgkmcnt(0)
	v_cmp_eq_u32_e32 vcc, s22, v24
	s_and_saveexec_b64 s[42:43], vcc
	s_cbranch_execz .LBB6_60
; %bb.59:                               ;   in Loop: Header=BB6_54 Depth=3
	v_lshl_add_u32 v24, v23, 4, v16
	ds_add_f32 v24, v25
	s_xor_b64 s[40:41], exec, -1
.LBB6_60:                               ;   in Loop: Header=BB6_54 Depth=3
	s_or_b64 exec, exec, s[42:43]
	s_andn2_b64 s[36:37], s[36:37], exec
	s_and_b64 s[40:41], s[40:41], exec
	s_or_b64 s[36:37], s[36:37], s[40:41]
.LBB6_61:                               ;   in Loop: Header=BB6_54 Depth=3
	s_or_b64 exec, exec, s[38:39]
	s_and_b64 s[36:37], s[36:37], exec
.LBB6_62:                               ;   in Loop: Header=BB6_54 Depth=3
	s_andn2_saveexec_b64 s[34:35], s[34:35]
	s_cbranch_execz .LBB6_53
; %bb.63:                               ;   in Loop: Header=BB6_54 Depth=3
	v_lshl_add_u32 v24, v23, 4, v16
	ds_add_f32 v24, v25
	s_andn2_b64 s[36:37], s[36:37], exec
	s_branch .LBB6_53
.LBB6_64:
	s_or_b64 exec, exec, s[2:3]
.LBB6_65:
	s_andn2_b64 vcc, exec, s[0:1]
	s_waitcnt lgkmcnt(0)
	s_cbranch_vccnz .LBB6_118
; %bb.66:
	s_load_dwordx2 s[0:1], s[4:5], 0x60
	v_subrev_u32_e32 v5, s19, v8
	s_waitcnt lgkmcnt(0)
	v_mov_b32_e32 v3, s1
	v_add_co_u32_e32 v2, vcc, s0, v0
	v_addc_co_u32_e32 v3, vcc, v3, v1, vcc
	global_load_dwordx2 v[2:3], v[2:3], off
	s_waitcnt vmcnt(0)
	v_subrev_u32_e32 v4, s19, v3
	v_add_u32_e32 v2, v2, v5
	v_cmp_lt_i32_e32 vcc, v2, v4
	s_and_saveexec_b64 s[6:7], vcc
	s_cbranch_execz .LBB6_117
; %bb.67:
	s_load_dwordx4 s[0:3], s[4:5], 0x68
	s_cmp_eq_u32 s20, 0
	s_cselect_b32 s21, 1, 2
	s_cselect_b32 s23, 2, 1
	v_add_u32_e32 v5, 4, v7
	v_add_u32_e32 v12, 8, v7
	;; [unrolled: 1-line block ×3, first 2 shown]
	s_mov_b64 s[8:9], 0
	s_waitcnt lgkmcnt(0)
	v_mov_b32_e32 v14, s3
	v_mov_b32_e32 v15, s1
	s_branch .LBB6_69
.LBB6_68:                               ;   in Loop: Header=BB6_69 Depth=1
	s_or_b64 exec, exec, s[10:11]
	v_add_u32_e32 v2, 16, v2
	v_cmp_ge_i32_e32 vcc, v2, v4
	s_or_b64 s[8:9], vcc, s[8:9]
	s_andn2_b64 exec, exec, s[8:9]
	s_cbranch_execz .LBB6_117
.LBB6_69:                               ; =>This Loop Header: Depth=1
                                        ;     Child Loop BB6_71 Depth 2
                                        ;     Child Loop BB6_83 Depth 2
	;; [unrolled: 1-line block ×4, first 2 shown]
	v_lshlrev_b32_e32 v16, 2, v2
	v_ashrrev_i32_e32 v17, 31, v16
	v_or_b32_e32 v18, s21, v16
	v_or_b32_e32 v20, s23, v16
	v_lshlrev_b64 v[16:17], 2, v[16:17]
	v_add_co_u32_e32 v22, vcc, s2, v16
	v_ashrrev_i32_e32 v19, 31, v18
	v_addc_co_u32_e32 v23, vcc, v14, v17, vcc
	v_lshlrev_b64 v[16:17], 2, v[18:19]
	v_add_co_u32_e32 v24, vcc, s2, v16
	v_ashrrev_i32_e32 v3, 31, v2
	v_addc_co_u32_e32 v25, vcc, v14, v17, vcc
	v_lshlrev_b64 v[18:19], 2, v[2:3]
	v_add_co_u32_e32 v18, vcc, s0, v18
	v_ashrrev_i32_e32 v21, 31, v20
	v_addc_co_u32_e32 v19, vcc, v15, v19, vcc
	v_lshlrev_b64 v[16:17], 2, v[20:21]
	global_load_dword v3, v[18:19], off
	v_add_co_u32_e32 v20, vcc, s2, v16
	v_addc_co_u32_e32 v21, vcc, v14, v17, vcc
	global_load_dword v26, v[22:23], off
	global_load_dword v18, v[20:21], off
	;; [unrolled: 1-line block ×3, first 2 shown]
	global_load_dword v17, v[22:23], off offset:12
	s_mov_b64 s[10:11], 0
	s_waitcnt vmcnt(4)
	v_subrev_u32_e32 v3, s19, v3
	v_lshl_add_u32 v16, v3, 3, v3
	v_and_b32_e32 v16, 15, v16
	v_mov_b32_e32 v21, v16
	s_waitcnt vmcnt(3)
	v_mul_f32_e32 v20, v10, v26
	s_branch .LBB6_71
.LBB6_70:                               ;   in Loop: Header=BB6_71 Depth=2
	s_or_b64 exec, exec, s[12:13]
	s_xor_b64 s[12:13], s[14:15], -1
	s_and_b64 s[12:13], exec, s[12:13]
	s_or_b64 s[10:11], s[12:13], s[10:11]
	s_andn2_b64 exec, exec, s[10:11]
	s_cbranch_execz .LBB6_81
.LBB6_71:                               ;   Parent Loop BB6_69 Depth=1
                                        ; =>  This Inner Loop Header: Depth=2
	v_lshl_add_u32 v22, v21, 2, v9
	ds_read_b32 v23, v22
                                        ; implicit-def: $sgpr14_sgpr15
	s_waitcnt lgkmcnt(0)
	v_cmp_ne_u32_e32 vcc, v23, v3
	s_and_saveexec_b64 s[12:13], vcc
	s_xor_b64 s[12:13], exec, s[12:13]
	s_cbranch_execz .LBB6_79
; %bb.72:                               ;   in Loop: Header=BB6_71 Depth=2
	v_cmp_ne_u32_e32 vcc, s22, v23
                                        ; implicit-def: $sgpr14_sgpr15
	s_and_saveexec_b64 s[16:17], vcc
	s_xor_b64 s[16:17], exec, s[16:17]
; %bb.73:                               ;   in Loop: Header=BB6_71 Depth=2
	v_add_u32_e32 v21, 1, v21
	v_and_b32_e32 v21, 15, v21
	s_mov_b64 s[14:15], -1
                                        ; implicit-def: $vgpr22
; %bb.74:                               ;   in Loop: Header=BB6_71 Depth=2
	s_andn2_saveexec_b64 s[16:17], s[16:17]
	s_cbranch_execz .LBB6_78
; %bb.75:                               ;   in Loop: Header=BB6_71 Depth=2
	v_mov_b32_e32 v23, s22
	ds_cmpst_rtn_b32 v22, v22, v23, v3
	s_mov_b64 s[24:25], -1
	s_waitcnt lgkmcnt(0)
	v_cmp_eq_u32_e32 vcc, s22, v22
	s_and_saveexec_b64 s[26:27], vcc
	s_cbranch_execz .LBB6_77
; %bb.76:                               ;   in Loop: Header=BB6_71 Depth=2
	v_lshl_add_u32 v22, v21, 4, v7
	ds_add_f32 v22, v20
	s_xor_b64 s[24:25], exec, -1
.LBB6_77:                               ;   in Loop: Header=BB6_71 Depth=2
	s_or_b64 exec, exec, s[26:27]
	s_andn2_b64 s[14:15], s[14:15], exec
	s_and_b64 s[24:25], s[24:25], exec
	s_or_b64 s[14:15], s[14:15], s[24:25]
.LBB6_78:                               ;   in Loop: Header=BB6_71 Depth=2
	s_or_b64 exec, exec, s[16:17]
	s_and_b64 s[14:15], s[14:15], exec
.LBB6_79:                               ;   in Loop: Header=BB6_71 Depth=2
	s_andn2_saveexec_b64 s[12:13], s[12:13]
	s_cbranch_execz .LBB6_70
; %bb.80:                               ;   in Loop: Header=BB6_71 Depth=2
	v_lshl_add_u32 v22, v21, 4, v7
	ds_add_f32 v22, v20
	s_andn2_b64 s[14:15], s[14:15], exec
	s_branch .LBB6_70
.LBB6_81:                               ;   in Loop: Header=BB6_69 Depth=1
	s_or_b64 exec, exec, s[10:11]
	s_waitcnt vmcnt(1)
	v_mul_f32_e32 v19, v10, v19
	s_mov_b64 s[10:11], 0
	v_mov_b32_e32 v20, v16
	s_branch .LBB6_83
.LBB6_82:                               ;   in Loop: Header=BB6_83 Depth=2
	s_or_b64 exec, exec, s[12:13]
	s_xor_b64 s[12:13], s[14:15], -1
	s_and_b64 s[12:13], exec, s[12:13]
	s_or_b64 s[10:11], s[12:13], s[10:11]
	s_andn2_b64 exec, exec, s[10:11]
	s_cbranch_execz .LBB6_93
.LBB6_83:                               ;   Parent Loop BB6_69 Depth=1
                                        ; =>  This Inner Loop Header: Depth=2
	v_lshl_add_u32 v21, v20, 2, v9
	ds_read_b32 v22, v21
                                        ; implicit-def: $sgpr14_sgpr15
	s_waitcnt lgkmcnt(0)
	v_cmp_ne_u32_e32 vcc, v22, v3
	s_and_saveexec_b64 s[12:13], vcc
	s_xor_b64 s[12:13], exec, s[12:13]
	s_cbranch_execz .LBB6_91
; %bb.84:                               ;   in Loop: Header=BB6_83 Depth=2
	v_cmp_ne_u32_e32 vcc, s22, v22
                                        ; implicit-def: $sgpr14_sgpr15
	s_and_saveexec_b64 s[16:17], vcc
	s_xor_b64 s[16:17], exec, s[16:17]
; %bb.85:                               ;   in Loop: Header=BB6_83 Depth=2
	v_add_u32_e32 v20, 1, v20
	v_and_b32_e32 v20, 15, v20
	s_mov_b64 s[14:15], -1
                                        ; implicit-def: $vgpr21
; %bb.86:                               ;   in Loop: Header=BB6_83 Depth=2
	s_andn2_saveexec_b64 s[16:17], s[16:17]
	s_cbranch_execz .LBB6_90
; %bb.87:                               ;   in Loop: Header=BB6_83 Depth=2
	v_mov_b32_e32 v22, s22
	ds_cmpst_rtn_b32 v21, v21, v22, v3
	s_mov_b64 s[24:25], -1
	s_waitcnt lgkmcnt(0)
	v_cmp_eq_u32_e32 vcc, s22, v21
	s_and_saveexec_b64 s[26:27], vcc
	s_cbranch_execz .LBB6_89
; %bb.88:                               ;   in Loop: Header=BB6_83 Depth=2
	v_lshl_add_u32 v21, v20, 4, v5
	ds_add_f32 v21, v19
	s_xor_b64 s[24:25], exec, -1
.LBB6_89:                               ;   in Loop: Header=BB6_83 Depth=2
	s_or_b64 exec, exec, s[26:27]
	s_andn2_b64 s[14:15], s[14:15], exec
	s_and_b64 s[24:25], s[24:25], exec
	s_or_b64 s[14:15], s[14:15], s[24:25]
.LBB6_90:                               ;   in Loop: Header=BB6_83 Depth=2
	s_or_b64 exec, exec, s[16:17]
	s_and_b64 s[14:15], s[14:15], exec
.LBB6_91:                               ;   in Loop: Header=BB6_83 Depth=2
	s_andn2_saveexec_b64 s[12:13], s[12:13]
	s_cbranch_execz .LBB6_82
; %bb.92:                               ;   in Loop: Header=BB6_83 Depth=2
	v_lshl_add_u32 v21, v20, 4, v5
	ds_add_f32 v21, v19
	s_andn2_b64 s[14:15], s[14:15], exec
	s_branch .LBB6_82
.LBB6_93:                               ;   in Loop: Header=BB6_69 Depth=1
	s_or_b64 exec, exec, s[10:11]
	v_mul_f32_e32 v18, v10, v18
	s_mov_b64 s[10:11], 0
	v_mov_b32_e32 v19, v16
	s_branch .LBB6_95
.LBB6_94:                               ;   in Loop: Header=BB6_95 Depth=2
	s_or_b64 exec, exec, s[12:13]
	s_xor_b64 s[12:13], s[14:15], -1
	s_and_b64 s[12:13], exec, s[12:13]
	s_or_b64 s[10:11], s[12:13], s[10:11]
	s_andn2_b64 exec, exec, s[10:11]
	s_cbranch_execz .LBB6_105
.LBB6_95:                               ;   Parent Loop BB6_69 Depth=1
                                        ; =>  This Inner Loop Header: Depth=2
	v_lshl_add_u32 v20, v19, 2, v9
	ds_read_b32 v21, v20
                                        ; implicit-def: $sgpr14_sgpr15
	s_waitcnt lgkmcnt(0)
	v_cmp_ne_u32_e32 vcc, v21, v3
	s_and_saveexec_b64 s[12:13], vcc
	s_xor_b64 s[12:13], exec, s[12:13]
	s_cbranch_execz .LBB6_103
; %bb.96:                               ;   in Loop: Header=BB6_95 Depth=2
	v_cmp_ne_u32_e32 vcc, s22, v21
                                        ; implicit-def: $sgpr14_sgpr15
	s_and_saveexec_b64 s[16:17], vcc
	s_xor_b64 s[16:17], exec, s[16:17]
; %bb.97:                               ;   in Loop: Header=BB6_95 Depth=2
	v_add_u32_e32 v19, 1, v19
	v_and_b32_e32 v19, 15, v19
	s_mov_b64 s[14:15], -1
                                        ; implicit-def: $vgpr20
; %bb.98:                               ;   in Loop: Header=BB6_95 Depth=2
	s_andn2_saveexec_b64 s[16:17], s[16:17]
	s_cbranch_execz .LBB6_102
; %bb.99:                               ;   in Loop: Header=BB6_95 Depth=2
	v_mov_b32_e32 v21, s22
	ds_cmpst_rtn_b32 v20, v20, v21, v3
	s_mov_b64 s[24:25], -1
	s_waitcnt lgkmcnt(0)
	v_cmp_eq_u32_e32 vcc, s22, v20
	s_and_saveexec_b64 s[26:27], vcc
	s_cbranch_execz .LBB6_101
; %bb.100:                              ;   in Loop: Header=BB6_95 Depth=2
	v_lshl_add_u32 v20, v19, 4, v12
	ds_add_f32 v20, v18
	s_xor_b64 s[24:25], exec, -1
.LBB6_101:                              ;   in Loop: Header=BB6_95 Depth=2
	s_or_b64 exec, exec, s[26:27]
	s_andn2_b64 s[14:15], s[14:15], exec
	s_and_b64 s[24:25], s[24:25], exec
	s_or_b64 s[14:15], s[14:15], s[24:25]
.LBB6_102:                              ;   in Loop: Header=BB6_95 Depth=2
	s_or_b64 exec, exec, s[16:17]
	s_and_b64 s[14:15], s[14:15], exec
.LBB6_103:                              ;   in Loop: Header=BB6_95 Depth=2
	s_andn2_saveexec_b64 s[12:13], s[12:13]
	s_cbranch_execz .LBB6_94
; %bb.104:                              ;   in Loop: Header=BB6_95 Depth=2
	v_lshl_add_u32 v20, v19, 4, v12
	ds_add_f32 v20, v18
	s_andn2_b64 s[14:15], s[14:15], exec
	s_branch .LBB6_94
.LBB6_105:                              ;   in Loop: Header=BB6_69 Depth=1
	s_or_b64 exec, exec, s[10:11]
	s_waitcnt vmcnt(0)
	v_mul_f32_e32 v17, v10, v17
	s_mov_b64 s[10:11], 0
	s_branch .LBB6_107
.LBB6_106:                              ;   in Loop: Header=BB6_107 Depth=2
	s_or_b64 exec, exec, s[12:13]
	s_xor_b64 s[12:13], s[14:15], -1
	s_and_b64 s[12:13], exec, s[12:13]
	s_or_b64 s[10:11], s[12:13], s[10:11]
	s_andn2_b64 exec, exec, s[10:11]
	s_cbranch_execz .LBB6_68
.LBB6_107:                              ;   Parent Loop BB6_69 Depth=1
                                        ; =>  This Inner Loop Header: Depth=2
	v_lshl_add_u32 v18, v16, 2, v9
	ds_read_b32 v19, v18
                                        ; implicit-def: $sgpr14_sgpr15
	s_waitcnt lgkmcnt(0)
	v_cmp_ne_u32_e32 vcc, v19, v3
	s_and_saveexec_b64 s[12:13], vcc
	s_xor_b64 s[12:13], exec, s[12:13]
	s_cbranch_execz .LBB6_115
; %bb.108:                              ;   in Loop: Header=BB6_107 Depth=2
	v_cmp_ne_u32_e32 vcc, s22, v19
                                        ; implicit-def: $sgpr14_sgpr15
	s_and_saveexec_b64 s[16:17], vcc
	s_xor_b64 s[16:17], exec, s[16:17]
; %bb.109:                              ;   in Loop: Header=BB6_107 Depth=2
	v_add_u32_e32 v16, 1, v16
	v_and_b32_e32 v16, 15, v16
	s_mov_b64 s[14:15], -1
                                        ; implicit-def: $vgpr18
; %bb.110:                              ;   in Loop: Header=BB6_107 Depth=2
	s_andn2_saveexec_b64 s[16:17], s[16:17]
	s_cbranch_execz .LBB6_114
; %bb.111:                              ;   in Loop: Header=BB6_107 Depth=2
	v_mov_b32_e32 v19, s22
	ds_cmpst_rtn_b32 v18, v18, v19, v3
	s_mov_b64 s[24:25], -1
	s_waitcnt lgkmcnt(0)
	v_cmp_eq_u32_e32 vcc, s22, v18
	s_and_saveexec_b64 s[26:27], vcc
	s_cbranch_execz .LBB6_113
; %bb.112:                              ;   in Loop: Header=BB6_107 Depth=2
	v_lshl_add_u32 v18, v16, 4, v13
	ds_add_f32 v18, v17
	s_xor_b64 s[24:25], exec, -1
.LBB6_113:                              ;   in Loop: Header=BB6_107 Depth=2
	s_or_b64 exec, exec, s[26:27]
	s_andn2_b64 s[14:15], s[14:15], exec
	s_and_b64 s[24:25], s[24:25], exec
	s_or_b64 s[14:15], s[14:15], s[24:25]
.LBB6_114:                              ;   in Loop: Header=BB6_107 Depth=2
	s_or_b64 exec, exec, s[16:17]
	s_and_b64 s[14:15], s[14:15], exec
.LBB6_115:                              ;   in Loop: Header=BB6_107 Depth=2
	s_andn2_saveexec_b64 s[12:13], s[12:13]
	s_cbranch_execz .LBB6_106
; %bb.116:                              ;   in Loop: Header=BB6_107 Depth=2
	v_lshl_add_u32 v18, v16, 4, v13
	ds_add_f32 v18, v17
	s_andn2_b64 s[14:15], s[14:15], exec
	s_branch .LBB6_106
.LBB6_117:
	s_or_b64 exec, exec, s[6:7]
.LBB6_118:
	s_waitcnt lgkmcnt(0)
	ds_read_b32 v2, v11
	s_waitcnt lgkmcnt(0)
	v_cmp_gt_i32_e32 vcc, s22, v2
	s_and_b64 exec, exec, vcc
	s_cbranch_execz .LBB6_120
; %bb.119:
	s_load_dwordx4 s[0:3], s[4:5], 0x78
	s_cmp_eq_u32 s20, 0
	v_add_u32_e32 v26, s18, v2
	s_waitcnt lgkmcnt(0)
	v_mov_b32_e32 v3, s1
	v_add_co_u32_e32 v0, vcc, s0, v0
	v_addc_co_u32_e32 v1, vcc, v3, v1, vcc
	global_load_dword v3, v[0:1], off
	ds_read_b128 v[10:13], v9
	ds_read_b128 v[14:17], v9 offset:16
	ds_read_b128 v[18:21], v9 offset:32
	;; [unrolled: 1-line block ×3, first 2 shown]
	s_load_dwordx2 s[0:1], s[4:5], 0x88
	s_cselect_b32 s4, 1, 2
	s_cselect_b32 s5, 2, 1
	v_or_b32_e32 v4, s4, v6
	v_or_b32_e32 v5, s5, v6
	s_waitcnt lgkmcnt(0)
	v_cmp_gt_i32_e32 vcc, v2, v10
	v_lshl_add_u32 v0, v8, 4, v7
	v_lshl_add_u32 v4, v4, 2, v7
	;; [unrolled: 1-line block ×3, first 2 shown]
	v_cndmask_b32_e64 v7, 0, 1, vcc
	v_cmp_gt_i32_e32 vcc, v2, v12
	v_cndmask_b32_e64 v8, 0, 1, vcc
	v_cmp_gt_i32_e32 vcc, v2, v14
	ds_read2_b32 v[0:1], v0 offset1:3
	v_cndmask_b32_e64 v9, 0, 1, vcc
	v_cmp_gt_i32_e32 vcc, v2, v16
	v_cndmask_b32_e64 v10, 0, 1, vcc
	v_cmp_gt_i32_e32 vcc, v2, v18
	;; [unrolled: 2-line block ×5, first 2 shown]
	ds_read_b32 v5, v4
	ds_read_b32 v6, v6
	v_cndmask_b32_e64 v18, 0, 1, vcc
	s_waitcnt lgkmcnt(2)
	v_mov_b32_e32 v4, v0
	v_cmp_gt_i32_e32 vcc, v2, v11
	v_mov_b32_e32 v20, s3
	v_mov_b32_e32 v22, s1
	s_waitcnt vmcnt(0)
	v_subrev_u32_e32 v0, s18, v3
	v_addc_co_u32_e32 v0, vcc, v0, v7, vcc
	v_cmp_gt_i32_e32 vcc, v2, v13
	v_addc_co_u32_e32 v0, vcc, v0, v8, vcc
	v_cmp_gt_i32_e32 vcc, v2, v15
	;; [unrolled: 2-line block ×7, first 2 shown]
	v_addc_co_u32_e32 v2, vcc, v0, v18, vcc
	v_ashrrev_i32_e32 v3, 31, v2
	v_lshlrev_b32_e32 v8, 2, v2
	v_lshlrev_b64 v[2:3], 2, v[2:3]
	v_ashrrev_i32_e32 v9, 31, v8
	v_add_co_u32_e32 v2, vcc, s2, v2
	v_addc_co_u32_e32 v3, vcc, v20, v3, vcc
	v_lshlrev_b64 v[8:9], 2, v[8:9]
	global_store_dword v[2:3], v26, off
	v_add_co_u32_e32 v2, vcc, s0, v8
	v_addc_co_u32_e32 v3, vcc, v22, v9, vcc
	v_mov_b32_e32 v7, v1
	s_waitcnt lgkmcnt(0)
	global_store_dwordx4 v[2:3], v[4:7], off
.LBB6_120:
	s_endpgm
	.section	.rodata,"a",@progbits
	.p2align	6, 0x0
	.amdhsa_kernel _ZN9rocsparseL27bsrgemm_fill_wf_per_row_2x2ILj256ELj16ELj16ELj137EiifEEv20rocsparse_direction_T4_S2_PKS2_S4_NS_24const_host_device_scalarIT5_EEPKT3_S4_PKS6_SA_S4_SC_S7_SA_S4_SC_SA_PS2_PS6_21rocsparse_index_base_SF_SF_SF_bbb
		.amdhsa_group_segment_fixed_size 5120
		.amdhsa_private_segment_fixed_size 0
		.amdhsa_kernarg_size 164
		.amdhsa_user_sgpr_count 6
		.amdhsa_user_sgpr_private_segment_buffer 1
		.amdhsa_user_sgpr_dispatch_ptr 0
		.amdhsa_user_sgpr_queue_ptr 0
		.amdhsa_user_sgpr_kernarg_segment_ptr 1
		.amdhsa_user_sgpr_dispatch_id 0
		.amdhsa_user_sgpr_flat_scratch_init 0
		.amdhsa_user_sgpr_kernarg_preload_length 0
		.amdhsa_user_sgpr_kernarg_preload_offset 0
		.amdhsa_user_sgpr_private_segment_size 0
		.amdhsa_uses_dynamic_stack 0
		.amdhsa_system_sgpr_private_segment_wavefront_offset 0
		.amdhsa_system_sgpr_workgroup_id_x 1
		.amdhsa_system_sgpr_workgroup_id_y 0
		.amdhsa_system_sgpr_workgroup_id_z 0
		.amdhsa_system_sgpr_workgroup_info 0
		.amdhsa_system_vgpr_workitem_id 0
		.amdhsa_next_free_vgpr 34
		.amdhsa_next_free_sgpr 44
		.amdhsa_accum_offset 36
		.amdhsa_reserve_vcc 1
		.amdhsa_reserve_flat_scratch 0
		.amdhsa_float_round_mode_32 0
		.amdhsa_float_round_mode_16_64 0
		.amdhsa_float_denorm_mode_32 3
		.amdhsa_float_denorm_mode_16_64 3
		.amdhsa_dx10_clamp 1
		.amdhsa_ieee_mode 1
		.amdhsa_fp16_overflow 0
		.amdhsa_tg_split 0
		.amdhsa_exception_fp_ieee_invalid_op 0
		.amdhsa_exception_fp_denorm_src 0
		.amdhsa_exception_fp_ieee_div_zero 0
		.amdhsa_exception_fp_ieee_overflow 0
		.amdhsa_exception_fp_ieee_underflow 0
		.amdhsa_exception_fp_ieee_inexact 0
		.amdhsa_exception_int_div_zero 0
	.end_amdhsa_kernel
	.section	.text._ZN9rocsparseL27bsrgemm_fill_wf_per_row_2x2ILj256ELj16ELj16ELj137EiifEEv20rocsparse_direction_T4_S2_PKS2_S4_NS_24const_host_device_scalarIT5_EEPKT3_S4_PKS6_SA_S4_SC_S7_SA_S4_SC_SA_PS2_PS6_21rocsparse_index_base_SF_SF_SF_bbb,"axG",@progbits,_ZN9rocsparseL27bsrgemm_fill_wf_per_row_2x2ILj256ELj16ELj16ELj137EiifEEv20rocsparse_direction_T4_S2_PKS2_S4_NS_24const_host_device_scalarIT5_EEPKT3_S4_PKS6_SA_S4_SC_S7_SA_S4_SC_SA_PS2_PS6_21rocsparse_index_base_SF_SF_SF_bbb,comdat
.Lfunc_end6:
	.size	_ZN9rocsparseL27bsrgemm_fill_wf_per_row_2x2ILj256ELj16ELj16ELj137EiifEEv20rocsparse_direction_T4_S2_PKS2_S4_NS_24const_host_device_scalarIT5_EEPKT3_S4_PKS6_SA_S4_SC_S7_SA_S4_SC_SA_PS2_PS6_21rocsparse_index_base_SF_SF_SF_bbb, .Lfunc_end6-_ZN9rocsparseL27bsrgemm_fill_wf_per_row_2x2ILj256ELj16ELj16ELj137EiifEEv20rocsparse_direction_T4_S2_PKS2_S4_NS_24const_host_device_scalarIT5_EEPKT3_S4_PKS6_SA_S4_SC_S7_SA_S4_SC_SA_PS2_PS6_21rocsparse_index_base_SF_SF_SF_bbb
                                        ; -- End function
	.section	.AMDGPU.csdata,"",@progbits
; Kernel info:
; codeLenInByte = 3464
; NumSgprs: 48
; NumVgprs: 34
; NumAgprs: 0
; TotalNumVgprs: 34
; ScratchSize: 0
; MemoryBound: 0
; FloatMode: 240
; IeeeMode: 1
; LDSByteSize: 5120 bytes/workgroup (compile time only)
; SGPRBlocks: 5
; VGPRBlocks: 4
; NumSGPRsForWavesPerEU: 48
; NumVGPRsForWavesPerEU: 34
; AccumOffset: 36
; Occupancy: 8
; WaveLimiterHint : 1
; COMPUTE_PGM_RSRC2:SCRATCH_EN: 0
; COMPUTE_PGM_RSRC2:USER_SGPR: 6
; COMPUTE_PGM_RSRC2:TRAP_HANDLER: 0
; COMPUTE_PGM_RSRC2:TGID_X_EN: 1
; COMPUTE_PGM_RSRC2:TGID_Y_EN: 0
; COMPUTE_PGM_RSRC2:TGID_Z_EN: 0
; COMPUTE_PGM_RSRC2:TIDIG_COMP_CNT: 0
; COMPUTE_PGM_RSRC3_GFX90A:ACCUM_OFFSET: 8
; COMPUTE_PGM_RSRC3_GFX90A:TG_SPLIT: 0
	.section	.text._ZN9rocsparseL27bsrgemm_fill_wf_per_row_2x2ILj256ELj16ELj32ELj137EiifEEv20rocsparse_direction_T4_S2_PKS2_S4_NS_24const_host_device_scalarIT5_EEPKT3_S4_PKS6_SA_S4_SC_S7_SA_S4_SC_SA_PS2_PS6_21rocsparse_index_base_SF_SF_SF_bbb,"axG",@progbits,_ZN9rocsparseL27bsrgemm_fill_wf_per_row_2x2ILj256ELj16ELj32ELj137EiifEEv20rocsparse_direction_T4_S2_PKS2_S4_NS_24const_host_device_scalarIT5_EEPKT3_S4_PKS6_SA_S4_SC_S7_SA_S4_SC_SA_PS2_PS6_21rocsparse_index_base_SF_SF_SF_bbb,comdat
	.globl	_ZN9rocsparseL27bsrgemm_fill_wf_per_row_2x2ILj256ELj16ELj32ELj137EiifEEv20rocsparse_direction_T4_S2_PKS2_S4_NS_24const_host_device_scalarIT5_EEPKT3_S4_PKS6_SA_S4_SC_S7_SA_S4_SC_SA_PS2_PS6_21rocsparse_index_base_SF_SF_SF_bbb ; -- Begin function _ZN9rocsparseL27bsrgemm_fill_wf_per_row_2x2ILj256ELj16ELj32ELj137EiifEEv20rocsparse_direction_T4_S2_PKS2_S4_NS_24const_host_device_scalarIT5_EEPKT3_S4_PKS6_SA_S4_SC_S7_SA_S4_SC_SA_PS2_PS6_21rocsparse_index_base_SF_SF_SF_bbb
	.p2align	8
	.type	_ZN9rocsparseL27bsrgemm_fill_wf_per_row_2x2ILj256ELj16ELj32ELj137EiifEEv20rocsparse_direction_T4_S2_PKS2_S4_NS_24const_host_device_scalarIT5_EEPKT3_S4_PKS6_SA_S4_SC_S7_SA_S4_SC_SA_PS2_PS6_21rocsparse_index_base_SF_SF_SF_bbb,@function
_ZN9rocsparseL27bsrgemm_fill_wf_per_row_2x2ILj256ELj16ELj32ELj137EiifEEv20rocsparse_direction_T4_S2_PKS2_S4_NS_24const_host_device_scalarIT5_EEPKT3_S4_PKS6_SA_S4_SC_S7_SA_S4_SC_SA_PS2_PS6_21rocsparse_index_base_SF_SF_SF_bbb: ; @_ZN9rocsparseL27bsrgemm_fill_wf_per_row_2x2ILj256ELj16ELj32ELj137EiifEEv20rocsparse_direction_T4_S2_PKS2_S4_NS_24const_host_device_scalarIT5_EEPKT3_S4_PKS6_SA_S4_SC_S7_SA_S4_SC_SA_PS2_PS6_21rocsparse_index_base_SF_SF_SF_bbb
; %bb.0:
	s_load_dword s7, s[4:5], 0xa0
	s_load_dwordx2 s[0:1], s[4:5], 0x20
	s_load_dwordx2 s[8:9], s[4:5], 0x58
	s_waitcnt lgkmcnt(0)
	s_bitcmp1_b32 s7, 0
	s_cselect_b64 s[2:3], -1, 0
	s_bitcmp1_b32 s7, 16
	s_cselect_b64 s[10:11], -1, 0
	s_xor_b64 s[12:13], s[2:3], -1
	s_or_b64 s[12:13], s[12:13], s[10:11]
	s_and_b64 vcc, exec, s[12:13]
	s_cbranch_vccnz .LBB7_2
; %bb.1:
	s_load_dword s0, s[0:1], 0x0
	s_waitcnt lgkmcnt(0)
	v_mov_b32_e32 v12, s0
	s_branch .LBB7_3
.LBB7_2:
	v_mov_b32_e32 v1, s0
	v_cndmask_b32_e64 v12, 0, v1, s[2:3]
.LBB7_3:
	s_bitcmp1_b32 s7, 8
	s_cselect_b64 s[0:1], -1, 0
	s_xor_b64 s[12:13], s[0:1], -1
	s_or_b64 s[10:11], s[12:13], s[10:11]
	s_and_b64 vcc, exec, s[10:11]
	s_cbranch_vccnz .LBB7_5
; %bb.4:
	s_load_dword s7, s[8:9], 0x0
	s_waitcnt lgkmcnt(0)
	v_mov_b32_e32 v10, s7
	s_branch .LBB7_6
.LBB7_5:
	v_mov_b32_e32 v1, s8
	v_cndmask_b32_e64 v10, 0, v1, s[0:1]
.LBB7_6:
	s_load_dwordx4 s[16:19], s[4:5], 0x0
	v_lshrrev_b32_e32 v7, 4, v0
	v_and_b32_e32 v8, 15, v0
	v_lshlrev_b32_e32 v9, 7, v7
	v_or_b32_e32 v6, 0x2000, v9
	v_lshlrev_b32_e32 v0, 2, v8
	v_or_b32_e32 v1, v6, v0
	s_waitcnt lgkmcnt(0)
	v_mov_b32_e32 v2, s18
	v_lshlrev_b32_e32 v11, 9, v7
	ds_write2_b32 v1, v2, v2 offset1:16
	v_or_b32_e32 v0, v11, v0
	v_mov_b32_e32 v1, 0
	ds_write2_b32 v0, v1, v1 offset1:16
	ds_write2_b32 v0, v1, v1 offset0:32 offset1:48
	ds_write2_b32 v0, v1, v1 offset0:64 offset1:80
	;; [unrolled: 1-line block ×3, first 2 shown]
	v_lshl_or_b32 v0, s6, 4, v7
	v_cmp_gt_i32_e32 vcc, s17, v0
	s_waitcnt lgkmcnt(0)
	s_barrier
	s_and_saveexec_b64 s[6:7], vcc
	s_cbranch_execz .LBB7_122
; %bb.7:
	s_load_dwordx2 s[6:7], s[4:5], 0x18
	s_load_dwordx4 s[20:23], s[4:5], 0x90
	s_waitcnt lgkmcnt(0)
	s_cmp_eq_u64 s[6:7], 0
	s_cbranch_scc1 .LBB7_9
; %bb.8:
	s_load_dwordx2 s[8:9], s[4:5], 0x10
	v_mov_b32_e32 v2, s7
	s_waitcnt lgkmcnt(0)
	s_load_dword s8, s[8:9], 0x0
	s_waitcnt lgkmcnt(0)
	v_add_u32_e32 v0, s8, v0
	v_ashrrev_i32_e32 v1, 31, v0
	v_lshlrev_b64 v[0:1], 2, v[0:1]
	v_add_co_u32_e32 v0, vcc, s6, v0
	v_addc_co_u32_e32 v1, vcc, v2, v1, vcc
	global_load_dword v0, v[0:1], off
.LBB7_9:
	s_load_dwordx2 s[6:7], s[4:5], 0x78
	s_waitcnt vmcnt(0)
	v_ashrrev_i32_e32 v1, 31, v0
	s_andn2_b64 vcc, exec, s[2:3]
	v_lshlrev_b64 v[0:1], 2, v[0:1]
	s_cbranch_vccnz .LBB7_65
; %bb.10:
	s_load_dwordx2 s[2:3], s[4:5], 0x28
	v_subrev_u32_e32 v4, s20, v8
	s_waitcnt lgkmcnt(0)
	v_mov_b32_e32 v3, s3
	v_add_co_u32_e32 v2, vcc, s2, v0
	v_addc_co_u32_e32 v3, vcc, v3, v1, vcc
	global_load_dwordx2 v[2:3], v[2:3], off
	s_waitcnt vmcnt(0)
	v_subrev_u32_e32 v13, s20, v3
	v_add_u32_e32 v2, v2, v4
	v_cmp_lt_i32_e32 vcc, v2, v13
	s_and_saveexec_b64 s[2:3], vcc
	s_cbranch_execz .LBB7_64
; %bb.11:
	s_load_dwordx2 s[24:25], s[4:5], 0x50
	s_load_dwordx8 s[8:15], s[4:5], 0x30
	s_cmp_eq_u32 s16, 0
	s_cselect_b32 s17, 1, 2
	s_cselect_b32 s19, 2, 1
	v_add_u32_e32 v14, 4, v11
	v_add_u32_e32 v15, 8, v11
	;; [unrolled: 1-line block ×3, first 2 shown]
	s_mov_b64 s[26:27], 0
	s_waitcnt lgkmcnt(0)
	v_mov_b32_e32 v17, s9
	v_mov_b32_e32 v18, s13
	s_branch .LBB7_13
.LBB7_12:                               ;   in Loop: Header=BB7_13 Depth=1
	s_or_b64 exec, exec, s[28:29]
	v_add_u32_e32 v2, 16, v2
	v_cmp_ge_i32_e32 vcc, v2, v13
	s_or_b64 s[26:27], vcc, s[26:27]
	s_andn2_b64 exec, exec, s[26:27]
	s_cbranch_execz .LBB7_64
.LBB7_13:                               ; =>This Loop Header: Depth=1
                                        ;     Child Loop BB7_16 Depth 2
                                        ;       Child Loop BB7_18 Depth 3
                                        ;       Child Loop BB7_30 Depth 3
	;; [unrolled: 1-line block ×4, first 2 shown]
	v_ashrrev_i32_e32 v3, 31, v2
	v_lshlrev_b64 v[4:5], 2, v[2:3]
	v_add_co_u32_e32 v4, vcc, s8, v4
	v_addc_co_u32_e32 v5, vcc, v17, v5, vcc
	global_load_dword v3, v[4:5], off
	s_waitcnt vmcnt(0)
	v_subrev_u32_e32 v4, s20, v3
	v_ashrrev_i32_e32 v5, 31, v4
	v_lshlrev_b64 v[4:5], 2, v[4:5]
	v_add_co_u32_e32 v4, vcc, s12, v4
	v_addc_co_u32_e32 v5, vcc, v18, v5, vcc
	global_load_dwordx2 v[4:5], v[4:5], off
	s_waitcnt vmcnt(0)
	v_cmp_lt_i32_e32 vcc, v4, v5
	s_and_saveexec_b64 s[28:29], vcc
	s_cbranch_execz .LBB7_12
; %bb.14:                               ;   in Loop: Header=BB7_13 Depth=1
	v_lshlrev_b32_e32 v20, 2, v2
	v_ashrrev_i32_e32 v21, 31, v20
	v_or_b32_e32 v22, s17, v20
	v_or_b32_e32 v24, s19, v20
	v_lshlrev_b64 v[20:21], 2, v[20:21]
	v_mov_b32_e32 v3, s11
	v_add_co_u32_e32 v20, vcc, s10, v20
	v_ashrrev_i32_e32 v25, 31, v24
	v_addc_co_u32_e32 v21, vcc, v3, v21, vcc
	v_lshlrev_b64 v[24:25], 2, v[24:25]
	v_add_co_u32_e32 v24, vcc, s10, v24
	v_ashrrev_i32_e32 v23, 31, v22
	v_addc_co_u32_e32 v25, vcc, v3, v25, vcc
	v_lshlrev_b64 v[22:23], 2, v[22:23]
	v_add_co_u32_e32 v22, vcc, s10, v22
	v_addc_co_u32_e32 v23, vcc, v3, v23, vcc
	global_load_dword v19, v[20:21], off offset:12
	global_load_dword v26, v[24:25], off
	global_load_dword v27, v[22:23], off
	;; [unrolled: 1-line block ×3, first 2 shown]
	v_subrev_u32_e32 v3, s21, v5
	v_subrev_u32_e32 v4, s21, v4
	s_mov_b64 s[30:31], 0
	s_waitcnt vmcnt(3)
	v_mul_f32_e32 v19, v12, v19
	s_waitcnt vmcnt(2)
	v_mul_f32_e32 v20, v12, v26
	s_waitcnt vmcnt(1)
	v_mul_f32_e32 v22, v12, v27
	s_waitcnt vmcnt(0)
	v_mul_f32_e32 v21, v12, v28
	s_branch .LBB7_16
.LBB7_15:                               ;   in Loop: Header=BB7_16 Depth=2
	s_or_b64 exec, exec, s[34:35]
	v_add_u32_e32 v4, 1, v4
	v_cmp_ge_i32_e32 vcc, v4, v3
	s_or_b64 s[30:31], vcc, s[30:31]
	s_andn2_b64 exec, exec, s[30:31]
	s_cbranch_execz .LBB7_12
.LBB7_16:                               ;   Parent Loop BB7_13 Depth=1
                                        ; =>  This Loop Header: Depth=2
                                        ;       Child Loop BB7_18 Depth 3
                                        ;       Child Loop BB7_30 Depth 3
	;; [unrolled: 1-line block ×4, first 2 shown]
	v_ashrrev_i32_e32 v5, 31, v4
	v_lshlrev_b64 v[24:25], 2, v[4:5]
	v_mov_b32_e32 v5, s15
	v_add_co_u32_e32 v24, vcc, s14, v24
	v_addc_co_u32_e32 v25, vcc, v5, v25, vcc
	global_load_dword v5, v[24:25], off
	v_lshlrev_b32_e32 v24, 2, v4
	v_ashrrev_i32_e32 v25, 31, v24
	v_or_b32_e32 v28, s17, v24
	v_or_b32_e32 v30, s19, v24
	v_lshlrev_b64 v[24:25], 2, v[24:25]
	v_mov_b32_e32 v23, s25
	v_add_co_u32_e32 v32, vcc, s24, v24
	v_ashrrev_i32_e32 v29, 31, v28
	v_ashrrev_i32_e32 v31, 31, v30
	v_addc_co_u32_e32 v33, vcc, v23, v25, vcc
	v_lshlrev_b64 v[24:25], 2, v[28:29]
	v_lshlrev_b64 v[28:29], 2, v[30:31]
	v_add_co_u32_e32 v28, vcc, s24, v28
	v_addc_co_u32_e32 v29, vcc, v23, v29, vcc
	global_load_dword v26, v[32:33], off
	global_load_dword v27, v[28:29], off
	v_add_co_u32_e32 v28, vcc, s24, v24
	v_addc_co_u32_e32 v29, vcc, v23, v25, vcc
	global_load_dword v24, v[28:29], off
	global_load_dword v25, v[32:33], off offset:12
	s_mov_b64 s[34:35], 0
	s_waitcnt vmcnt(4)
	v_subrev_u32_e32 v5, s21, v5
	v_lshl_add_u32 v23, v5, 3, v5
	v_and_b32_e32 v23, 31, v23
	v_mov_b32_e32 v29, v23
	s_waitcnt vmcnt(2)
	v_mul_f32_e32 v28, v22, v27
	v_fmac_f32_e32 v28, v21, v26
	s_branch .LBB7_18
.LBB7_17:                               ;   in Loop: Header=BB7_18 Depth=3
	s_or_b64 exec, exec, s[36:37]
	s_xor_b64 s[36:37], s[38:39], -1
	s_and_b64 s[36:37], exec, s[36:37]
	s_or_b64 s[34:35], s[36:37], s[34:35]
	s_andn2_b64 exec, exec, s[34:35]
	s_cbranch_execz .LBB7_28
.LBB7_18:                               ;   Parent Loop BB7_13 Depth=1
                                        ;     Parent Loop BB7_16 Depth=2
                                        ; =>    This Inner Loop Header: Depth=3
	v_lshl_add_u32 v30, v29, 2, v6
	ds_read_b32 v31, v30
                                        ; implicit-def: $sgpr38_sgpr39
	s_waitcnt lgkmcnt(0)
	v_cmp_ne_u32_e32 vcc, v31, v5
	s_and_saveexec_b64 s[36:37], vcc
	s_xor_b64 s[36:37], exec, s[36:37]
	s_cbranch_execz .LBB7_26
; %bb.19:                               ;   in Loop: Header=BB7_18 Depth=3
	v_cmp_ne_u32_e32 vcc, s18, v31
                                        ; implicit-def: $sgpr38_sgpr39
	s_and_saveexec_b64 s[40:41], vcc
	s_xor_b64 s[40:41], exec, s[40:41]
; %bb.20:                               ;   in Loop: Header=BB7_18 Depth=3
	v_add_u32_e32 v29, 1, v29
	v_and_b32_e32 v29, 31, v29
	s_mov_b64 s[38:39], -1
                                        ; implicit-def: $vgpr30
; %bb.21:                               ;   in Loop: Header=BB7_18 Depth=3
	s_andn2_saveexec_b64 s[40:41], s[40:41]
	s_cbranch_execz .LBB7_25
; %bb.22:                               ;   in Loop: Header=BB7_18 Depth=3
	v_mov_b32_e32 v31, s18
	ds_cmpst_rtn_b32 v30, v30, v31, v5
	s_mov_b64 s[42:43], -1
	s_waitcnt lgkmcnt(0)
	v_cmp_eq_u32_e32 vcc, s18, v30
	s_and_saveexec_b64 s[44:45], vcc
	s_cbranch_execz .LBB7_24
; %bb.23:                               ;   in Loop: Header=BB7_18 Depth=3
	v_lshl_add_u32 v30, v29, 4, v11
	ds_add_f32 v30, v28
	s_xor_b64 s[42:43], exec, -1
.LBB7_24:                               ;   in Loop: Header=BB7_18 Depth=3
	s_or_b64 exec, exec, s[44:45]
	s_andn2_b64 s[38:39], s[38:39], exec
	s_and_b64 s[42:43], s[42:43], exec
	s_or_b64 s[38:39], s[38:39], s[42:43]
.LBB7_25:                               ;   in Loop: Header=BB7_18 Depth=3
	s_or_b64 exec, exec, s[40:41]
	s_and_b64 s[38:39], s[38:39], exec
.LBB7_26:                               ;   in Loop: Header=BB7_18 Depth=3
	s_andn2_saveexec_b64 s[36:37], s[36:37]
	s_cbranch_execz .LBB7_17
; %bb.27:                               ;   in Loop: Header=BB7_18 Depth=3
	v_lshl_add_u32 v30, v29, 4, v11
	ds_add_f32 v30, v28
	s_andn2_b64 s[38:39], s[38:39], exec
	s_branch .LBB7_17
.LBB7_28:                               ;   in Loop: Header=BB7_16 Depth=2
	s_or_b64 exec, exec, s[34:35]
	s_waitcnt vmcnt(0)
	v_mul_f32_e32 v28, v22, v25
	v_fmac_f32_e32 v28, v21, v24
	s_mov_b64 s[34:35], 0
	v_mov_b32_e32 v29, v23
	s_branch .LBB7_30
.LBB7_29:                               ;   in Loop: Header=BB7_30 Depth=3
	s_or_b64 exec, exec, s[36:37]
	s_xor_b64 s[36:37], s[38:39], -1
	s_and_b64 s[36:37], exec, s[36:37]
	s_or_b64 s[34:35], s[36:37], s[34:35]
	s_andn2_b64 exec, exec, s[34:35]
	s_cbranch_execz .LBB7_40
.LBB7_30:                               ;   Parent Loop BB7_13 Depth=1
                                        ;     Parent Loop BB7_16 Depth=2
                                        ; =>    This Inner Loop Header: Depth=3
	v_lshl_add_u32 v30, v29, 2, v6
	ds_read_b32 v31, v30
                                        ; implicit-def: $sgpr38_sgpr39
	s_waitcnt lgkmcnt(0)
	v_cmp_ne_u32_e32 vcc, v31, v5
	s_and_saveexec_b64 s[36:37], vcc
	s_xor_b64 s[36:37], exec, s[36:37]
	s_cbranch_execz .LBB7_38
; %bb.31:                               ;   in Loop: Header=BB7_30 Depth=3
	v_cmp_ne_u32_e32 vcc, s18, v31
                                        ; implicit-def: $sgpr38_sgpr39
	s_and_saveexec_b64 s[40:41], vcc
	s_xor_b64 s[40:41], exec, s[40:41]
; %bb.32:                               ;   in Loop: Header=BB7_30 Depth=3
	v_add_u32_e32 v29, 1, v29
	v_and_b32_e32 v29, 31, v29
	s_mov_b64 s[38:39], -1
                                        ; implicit-def: $vgpr30
; %bb.33:                               ;   in Loop: Header=BB7_30 Depth=3
	s_andn2_saveexec_b64 s[40:41], s[40:41]
	s_cbranch_execz .LBB7_37
; %bb.34:                               ;   in Loop: Header=BB7_30 Depth=3
	v_mov_b32_e32 v31, s18
	ds_cmpst_rtn_b32 v30, v30, v31, v5
	s_mov_b64 s[42:43], -1
	s_waitcnt lgkmcnt(0)
	v_cmp_eq_u32_e32 vcc, s18, v30
	s_and_saveexec_b64 s[44:45], vcc
	s_cbranch_execz .LBB7_36
; %bb.35:                               ;   in Loop: Header=BB7_30 Depth=3
	v_lshl_add_u32 v30, v29, 4, v14
	ds_add_f32 v30, v28
	s_xor_b64 s[42:43], exec, -1
.LBB7_36:                               ;   in Loop: Header=BB7_30 Depth=3
	s_or_b64 exec, exec, s[44:45]
	s_andn2_b64 s[38:39], s[38:39], exec
	s_and_b64 s[42:43], s[42:43], exec
	s_or_b64 s[38:39], s[38:39], s[42:43]
.LBB7_37:                               ;   in Loop: Header=BB7_30 Depth=3
	s_or_b64 exec, exec, s[40:41]
	s_and_b64 s[38:39], s[38:39], exec
.LBB7_38:                               ;   in Loop: Header=BB7_30 Depth=3
	s_andn2_saveexec_b64 s[36:37], s[36:37]
	s_cbranch_execz .LBB7_29
; %bb.39:                               ;   in Loop: Header=BB7_30 Depth=3
	v_lshl_add_u32 v30, v29, 4, v14
	ds_add_f32 v30, v28
	s_andn2_b64 s[38:39], s[38:39], exec
	s_branch .LBB7_29
.LBB7_40:                               ;   in Loop: Header=BB7_16 Depth=2
	s_or_b64 exec, exec, s[34:35]
	v_mul_f32_e32 v27, v19, v27
	v_fmac_f32_e32 v27, v20, v26
	s_mov_b64 s[34:35], 0
	v_mov_b32_e32 v26, v23
	s_branch .LBB7_42
.LBB7_41:                               ;   in Loop: Header=BB7_42 Depth=3
	s_or_b64 exec, exec, s[36:37]
	s_xor_b64 s[36:37], s[38:39], -1
	s_and_b64 s[36:37], exec, s[36:37]
	s_or_b64 s[34:35], s[36:37], s[34:35]
	s_andn2_b64 exec, exec, s[34:35]
	s_cbranch_execz .LBB7_52
.LBB7_42:                               ;   Parent Loop BB7_13 Depth=1
                                        ;     Parent Loop BB7_16 Depth=2
                                        ; =>    This Inner Loop Header: Depth=3
	v_lshl_add_u32 v28, v26, 2, v6
	ds_read_b32 v29, v28
                                        ; implicit-def: $sgpr38_sgpr39
	s_waitcnt lgkmcnt(0)
	v_cmp_ne_u32_e32 vcc, v29, v5
	s_and_saveexec_b64 s[36:37], vcc
	s_xor_b64 s[36:37], exec, s[36:37]
	s_cbranch_execz .LBB7_50
; %bb.43:                               ;   in Loop: Header=BB7_42 Depth=3
	v_cmp_ne_u32_e32 vcc, s18, v29
                                        ; implicit-def: $sgpr38_sgpr39
	s_and_saveexec_b64 s[40:41], vcc
	s_xor_b64 s[40:41], exec, s[40:41]
; %bb.44:                               ;   in Loop: Header=BB7_42 Depth=3
	v_add_u32_e32 v26, 1, v26
	v_and_b32_e32 v26, 31, v26
	s_mov_b64 s[38:39], -1
                                        ; implicit-def: $vgpr28
; %bb.45:                               ;   in Loop: Header=BB7_42 Depth=3
	s_andn2_saveexec_b64 s[40:41], s[40:41]
	s_cbranch_execz .LBB7_49
; %bb.46:                               ;   in Loop: Header=BB7_42 Depth=3
	v_mov_b32_e32 v29, s18
	ds_cmpst_rtn_b32 v28, v28, v29, v5
	s_mov_b64 s[42:43], -1
	s_waitcnt lgkmcnt(0)
	v_cmp_eq_u32_e32 vcc, s18, v28
	s_and_saveexec_b64 s[44:45], vcc
	s_cbranch_execz .LBB7_48
; %bb.47:                               ;   in Loop: Header=BB7_42 Depth=3
	v_lshl_add_u32 v28, v26, 4, v15
	ds_add_f32 v28, v27
	s_xor_b64 s[42:43], exec, -1
.LBB7_48:                               ;   in Loop: Header=BB7_42 Depth=3
	s_or_b64 exec, exec, s[44:45]
	s_andn2_b64 s[38:39], s[38:39], exec
	s_and_b64 s[42:43], s[42:43], exec
	s_or_b64 s[38:39], s[38:39], s[42:43]
.LBB7_49:                               ;   in Loop: Header=BB7_42 Depth=3
	s_or_b64 exec, exec, s[40:41]
	s_and_b64 s[38:39], s[38:39], exec
.LBB7_50:                               ;   in Loop: Header=BB7_42 Depth=3
	s_andn2_saveexec_b64 s[36:37], s[36:37]
	s_cbranch_execz .LBB7_41
; %bb.51:                               ;   in Loop: Header=BB7_42 Depth=3
	v_lshl_add_u32 v28, v26, 4, v15
	ds_add_f32 v28, v27
	s_andn2_b64 s[38:39], s[38:39], exec
	s_branch .LBB7_41
.LBB7_52:                               ;   in Loop: Header=BB7_16 Depth=2
	s_or_b64 exec, exec, s[34:35]
	v_mul_f32_e32 v25, v19, v25
	v_fmac_f32_e32 v25, v20, v24
	s_mov_b64 s[34:35], 0
	s_branch .LBB7_54
.LBB7_53:                               ;   in Loop: Header=BB7_54 Depth=3
	s_or_b64 exec, exec, s[36:37]
	s_xor_b64 s[36:37], s[38:39], -1
	s_and_b64 s[36:37], exec, s[36:37]
	s_or_b64 s[34:35], s[36:37], s[34:35]
	s_andn2_b64 exec, exec, s[34:35]
	s_cbranch_execz .LBB7_15
.LBB7_54:                               ;   Parent Loop BB7_13 Depth=1
                                        ;     Parent Loop BB7_16 Depth=2
                                        ; =>    This Inner Loop Header: Depth=3
	v_lshl_add_u32 v24, v23, 2, v6
	ds_read_b32 v26, v24
                                        ; implicit-def: $sgpr38_sgpr39
	s_waitcnt lgkmcnt(0)
	v_cmp_ne_u32_e32 vcc, v26, v5
	s_and_saveexec_b64 s[36:37], vcc
	s_xor_b64 s[36:37], exec, s[36:37]
	s_cbranch_execz .LBB7_62
; %bb.55:                               ;   in Loop: Header=BB7_54 Depth=3
	v_cmp_ne_u32_e32 vcc, s18, v26
                                        ; implicit-def: $sgpr38_sgpr39
	s_and_saveexec_b64 s[40:41], vcc
	s_xor_b64 s[40:41], exec, s[40:41]
; %bb.56:                               ;   in Loop: Header=BB7_54 Depth=3
	v_add_u32_e32 v23, 1, v23
	v_and_b32_e32 v23, 31, v23
	s_mov_b64 s[38:39], -1
                                        ; implicit-def: $vgpr24
; %bb.57:                               ;   in Loop: Header=BB7_54 Depth=3
	s_andn2_saveexec_b64 s[40:41], s[40:41]
	s_cbranch_execz .LBB7_61
; %bb.58:                               ;   in Loop: Header=BB7_54 Depth=3
	v_mov_b32_e32 v26, s18
	ds_cmpst_rtn_b32 v24, v24, v26, v5
	s_mov_b64 s[42:43], -1
	s_waitcnt lgkmcnt(0)
	v_cmp_eq_u32_e32 vcc, s18, v24
	s_and_saveexec_b64 s[44:45], vcc
	s_cbranch_execz .LBB7_60
; %bb.59:                               ;   in Loop: Header=BB7_54 Depth=3
	v_lshl_add_u32 v24, v23, 4, v16
	ds_add_f32 v24, v25
	s_xor_b64 s[42:43], exec, -1
.LBB7_60:                               ;   in Loop: Header=BB7_54 Depth=3
	s_or_b64 exec, exec, s[44:45]
	s_andn2_b64 s[38:39], s[38:39], exec
	s_and_b64 s[42:43], s[42:43], exec
	s_or_b64 s[38:39], s[38:39], s[42:43]
.LBB7_61:                               ;   in Loop: Header=BB7_54 Depth=3
	s_or_b64 exec, exec, s[40:41]
	s_and_b64 s[38:39], s[38:39], exec
.LBB7_62:                               ;   in Loop: Header=BB7_54 Depth=3
	s_andn2_saveexec_b64 s[36:37], s[36:37]
	s_cbranch_execz .LBB7_53
; %bb.63:                               ;   in Loop: Header=BB7_54 Depth=3
	v_lshl_add_u32 v24, v23, 4, v16
	ds_add_f32 v24, v25
	s_andn2_b64 s[38:39], s[38:39], exec
	s_branch .LBB7_53
.LBB7_64:
	s_or_b64 exec, exec, s[2:3]
.LBB7_65:
	s_load_dwordx4 s[8:11], s[4:5], 0x80
	s_andn2_b64 vcc, exec, s[0:1]
	s_waitcnt lgkmcnt(0)
	s_cbranch_vccnz .LBB7_118
; %bb.66:
	s_load_dwordx2 s[0:1], s[4:5], 0x60
	v_subrev_u32_e32 v5, s23, v8
	s_waitcnt lgkmcnt(0)
	v_mov_b32_e32 v3, s1
	v_add_co_u32_e32 v2, vcc, s0, v0
	v_addc_co_u32_e32 v3, vcc, v3, v1, vcc
	global_load_dwordx2 v[2:3], v[2:3], off
	s_waitcnt vmcnt(0)
	v_subrev_u32_e32 v4, s23, v3
	v_add_u32_e32 v2, v2, v5
	v_cmp_lt_i32_e32 vcc, v2, v4
	s_and_saveexec_b64 s[12:13], vcc
	s_cbranch_execz .LBB7_117
; %bb.67:
	s_load_dwordx4 s[0:3], s[4:5], 0x68
	s_cmp_eq_u32 s16, 0
	s_cselect_b32 s17, 1, 2
	s_cselect_b32 s19, 2, 1
	v_add_u32_e32 v5, 4, v11
	v_add_u32_e32 v12, 8, v11
	;; [unrolled: 1-line block ×3, first 2 shown]
	s_mov_b64 s[4:5], 0
	s_waitcnt lgkmcnt(0)
	v_mov_b32_e32 v14, s3
	v_mov_b32_e32 v15, s1
	s_branch .LBB7_69
.LBB7_68:                               ;   in Loop: Header=BB7_69 Depth=1
	s_or_b64 exec, exec, s[14:15]
	v_add_u32_e32 v2, 16, v2
	v_cmp_ge_i32_e32 vcc, v2, v4
	s_or_b64 s[4:5], vcc, s[4:5]
	s_andn2_b64 exec, exec, s[4:5]
	s_cbranch_execz .LBB7_117
.LBB7_69:                               ; =>This Loop Header: Depth=1
                                        ;     Child Loop BB7_71 Depth 2
                                        ;     Child Loop BB7_83 Depth 2
	;; [unrolled: 1-line block ×4, first 2 shown]
	v_lshlrev_b32_e32 v16, 2, v2
	v_ashrrev_i32_e32 v17, 31, v16
	v_or_b32_e32 v18, s17, v16
	v_or_b32_e32 v20, s19, v16
	v_lshlrev_b64 v[16:17], 2, v[16:17]
	v_add_co_u32_e32 v22, vcc, s2, v16
	v_ashrrev_i32_e32 v19, 31, v18
	v_addc_co_u32_e32 v23, vcc, v14, v17, vcc
	v_lshlrev_b64 v[16:17], 2, v[18:19]
	v_add_co_u32_e32 v24, vcc, s2, v16
	v_ashrrev_i32_e32 v3, 31, v2
	v_addc_co_u32_e32 v25, vcc, v14, v17, vcc
	;; [unrolled: 4-line block ×3, first 2 shown]
	v_lshlrev_b64 v[16:17], 2, v[20:21]
	global_load_dword v3, v[18:19], off
	v_add_co_u32_e32 v20, vcc, s2, v16
	v_addc_co_u32_e32 v21, vcc, v14, v17, vcc
	global_load_dword v26, v[22:23], off
	global_load_dword v18, v[20:21], off
	;; [unrolled: 1-line block ×3, first 2 shown]
	global_load_dword v17, v[22:23], off offset:12
	s_mov_b64 s[14:15], 0
	s_waitcnt vmcnt(4)
	v_subrev_u32_e32 v3, s23, v3
	v_lshl_add_u32 v16, v3, 3, v3
	v_and_b32_e32 v16, 31, v16
	v_mov_b32_e32 v21, v16
	s_waitcnt vmcnt(3)
	v_mul_f32_e32 v20, v10, v26
	s_branch .LBB7_71
.LBB7_70:                               ;   in Loop: Header=BB7_71 Depth=2
	s_or_b64 exec, exec, s[20:21]
	s_xor_b64 s[20:21], s[24:25], -1
	s_and_b64 s[20:21], exec, s[20:21]
	s_or_b64 s[14:15], s[20:21], s[14:15]
	s_andn2_b64 exec, exec, s[14:15]
	s_cbranch_execz .LBB7_81
.LBB7_71:                               ;   Parent Loop BB7_69 Depth=1
                                        ; =>  This Inner Loop Header: Depth=2
	v_lshl_add_u32 v22, v21, 2, v6
	ds_read_b32 v23, v22
                                        ; implicit-def: $sgpr24_sgpr25
	s_waitcnt lgkmcnt(0)
	v_cmp_ne_u32_e32 vcc, v23, v3
	s_and_saveexec_b64 s[20:21], vcc
	s_xor_b64 s[20:21], exec, s[20:21]
	s_cbranch_execz .LBB7_79
; %bb.72:                               ;   in Loop: Header=BB7_71 Depth=2
	v_cmp_ne_u32_e32 vcc, s18, v23
                                        ; implicit-def: $sgpr24_sgpr25
	s_and_saveexec_b64 s[26:27], vcc
	s_xor_b64 s[26:27], exec, s[26:27]
; %bb.73:                               ;   in Loop: Header=BB7_71 Depth=2
	v_add_u32_e32 v21, 1, v21
	v_and_b32_e32 v21, 31, v21
	s_mov_b64 s[24:25], -1
                                        ; implicit-def: $vgpr22
; %bb.74:                               ;   in Loop: Header=BB7_71 Depth=2
	s_andn2_saveexec_b64 s[26:27], s[26:27]
	s_cbranch_execz .LBB7_78
; %bb.75:                               ;   in Loop: Header=BB7_71 Depth=2
	v_mov_b32_e32 v23, s18
	ds_cmpst_rtn_b32 v22, v22, v23, v3
	s_mov_b64 s[28:29], -1
	s_waitcnt lgkmcnt(0)
	v_cmp_eq_u32_e32 vcc, s18, v22
	s_and_saveexec_b64 s[30:31], vcc
	s_cbranch_execz .LBB7_77
; %bb.76:                               ;   in Loop: Header=BB7_71 Depth=2
	v_lshl_add_u32 v22, v21, 4, v11
	ds_add_f32 v22, v20
	s_xor_b64 s[28:29], exec, -1
.LBB7_77:                               ;   in Loop: Header=BB7_71 Depth=2
	s_or_b64 exec, exec, s[30:31]
	s_andn2_b64 s[24:25], s[24:25], exec
	s_and_b64 s[28:29], s[28:29], exec
	s_or_b64 s[24:25], s[24:25], s[28:29]
.LBB7_78:                               ;   in Loop: Header=BB7_71 Depth=2
	s_or_b64 exec, exec, s[26:27]
	s_and_b64 s[24:25], s[24:25], exec
.LBB7_79:                               ;   in Loop: Header=BB7_71 Depth=2
	s_andn2_saveexec_b64 s[20:21], s[20:21]
	s_cbranch_execz .LBB7_70
; %bb.80:                               ;   in Loop: Header=BB7_71 Depth=2
	v_lshl_add_u32 v22, v21, 4, v11
	ds_add_f32 v22, v20
	s_andn2_b64 s[24:25], s[24:25], exec
	s_branch .LBB7_70
.LBB7_81:                               ;   in Loop: Header=BB7_69 Depth=1
	s_or_b64 exec, exec, s[14:15]
	s_waitcnt vmcnt(1)
	v_mul_f32_e32 v19, v10, v19
	s_mov_b64 s[14:15], 0
	v_mov_b32_e32 v20, v16
	s_branch .LBB7_83
.LBB7_82:                               ;   in Loop: Header=BB7_83 Depth=2
	s_or_b64 exec, exec, s[20:21]
	s_xor_b64 s[20:21], s[24:25], -1
	s_and_b64 s[20:21], exec, s[20:21]
	s_or_b64 s[14:15], s[20:21], s[14:15]
	s_andn2_b64 exec, exec, s[14:15]
	s_cbranch_execz .LBB7_93
.LBB7_83:                               ;   Parent Loop BB7_69 Depth=1
                                        ; =>  This Inner Loop Header: Depth=2
	v_lshl_add_u32 v21, v20, 2, v6
	ds_read_b32 v22, v21
                                        ; implicit-def: $sgpr24_sgpr25
	s_waitcnt lgkmcnt(0)
	v_cmp_ne_u32_e32 vcc, v22, v3
	s_and_saveexec_b64 s[20:21], vcc
	s_xor_b64 s[20:21], exec, s[20:21]
	s_cbranch_execz .LBB7_91
; %bb.84:                               ;   in Loop: Header=BB7_83 Depth=2
	v_cmp_ne_u32_e32 vcc, s18, v22
                                        ; implicit-def: $sgpr24_sgpr25
	s_and_saveexec_b64 s[26:27], vcc
	s_xor_b64 s[26:27], exec, s[26:27]
; %bb.85:                               ;   in Loop: Header=BB7_83 Depth=2
	v_add_u32_e32 v20, 1, v20
	v_and_b32_e32 v20, 31, v20
	s_mov_b64 s[24:25], -1
                                        ; implicit-def: $vgpr21
; %bb.86:                               ;   in Loop: Header=BB7_83 Depth=2
	s_andn2_saveexec_b64 s[26:27], s[26:27]
	s_cbranch_execz .LBB7_90
; %bb.87:                               ;   in Loop: Header=BB7_83 Depth=2
	v_mov_b32_e32 v22, s18
	ds_cmpst_rtn_b32 v21, v21, v22, v3
	s_mov_b64 s[28:29], -1
	s_waitcnt lgkmcnt(0)
	v_cmp_eq_u32_e32 vcc, s18, v21
	s_and_saveexec_b64 s[30:31], vcc
	s_cbranch_execz .LBB7_89
; %bb.88:                               ;   in Loop: Header=BB7_83 Depth=2
	v_lshl_add_u32 v21, v20, 4, v5
	ds_add_f32 v21, v19
	s_xor_b64 s[28:29], exec, -1
.LBB7_89:                               ;   in Loop: Header=BB7_83 Depth=2
	s_or_b64 exec, exec, s[30:31]
	s_andn2_b64 s[24:25], s[24:25], exec
	s_and_b64 s[28:29], s[28:29], exec
	s_or_b64 s[24:25], s[24:25], s[28:29]
.LBB7_90:                               ;   in Loop: Header=BB7_83 Depth=2
	s_or_b64 exec, exec, s[26:27]
	s_and_b64 s[24:25], s[24:25], exec
.LBB7_91:                               ;   in Loop: Header=BB7_83 Depth=2
	s_andn2_saveexec_b64 s[20:21], s[20:21]
	s_cbranch_execz .LBB7_82
; %bb.92:                               ;   in Loop: Header=BB7_83 Depth=2
	v_lshl_add_u32 v21, v20, 4, v5
	ds_add_f32 v21, v19
	s_andn2_b64 s[24:25], s[24:25], exec
	s_branch .LBB7_82
.LBB7_93:                               ;   in Loop: Header=BB7_69 Depth=1
	s_or_b64 exec, exec, s[14:15]
	v_mul_f32_e32 v18, v10, v18
	s_mov_b64 s[14:15], 0
	v_mov_b32_e32 v19, v16
	s_branch .LBB7_95
.LBB7_94:                               ;   in Loop: Header=BB7_95 Depth=2
	s_or_b64 exec, exec, s[20:21]
	s_xor_b64 s[20:21], s[24:25], -1
	s_and_b64 s[20:21], exec, s[20:21]
	s_or_b64 s[14:15], s[20:21], s[14:15]
	s_andn2_b64 exec, exec, s[14:15]
	s_cbranch_execz .LBB7_105
.LBB7_95:                               ;   Parent Loop BB7_69 Depth=1
                                        ; =>  This Inner Loop Header: Depth=2
	v_lshl_add_u32 v20, v19, 2, v6
	ds_read_b32 v21, v20
                                        ; implicit-def: $sgpr24_sgpr25
	s_waitcnt lgkmcnt(0)
	v_cmp_ne_u32_e32 vcc, v21, v3
	s_and_saveexec_b64 s[20:21], vcc
	s_xor_b64 s[20:21], exec, s[20:21]
	s_cbranch_execz .LBB7_103
; %bb.96:                               ;   in Loop: Header=BB7_95 Depth=2
	v_cmp_ne_u32_e32 vcc, s18, v21
                                        ; implicit-def: $sgpr24_sgpr25
	s_and_saveexec_b64 s[26:27], vcc
	s_xor_b64 s[26:27], exec, s[26:27]
; %bb.97:                               ;   in Loop: Header=BB7_95 Depth=2
	v_add_u32_e32 v19, 1, v19
	v_and_b32_e32 v19, 31, v19
	s_mov_b64 s[24:25], -1
                                        ; implicit-def: $vgpr20
; %bb.98:                               ;   in Loop: Header=BB7_95 Depth=2
	s_andn2_saveexec_b64 s[26:27], s[26:27]
	s_cbranch_execz .LBB7_102
; %bb.99:                               ;   in Loop: Header=BB7_95 Depth=2
	v_mov_b32_e32 v21, s18
	ds_cmpst_rtn_b32 v20, v20, v21, v3
	s_mov_b64 s[28:29], -1
	s_waitcnt lgkmcnt(0)
	v_cmp_eq_u32_e32 vcc, s18, v20
	s_and_saveexec_b64 s[30:31], vcc
	s_cbranch_execz .LBB7_101
; %bb.100:                              ;   in Loop: Header=BB7_95 Depth=2
	v_lshl_add_u32 v20, v19, 4, v12
	ds_add_f32 v20, v18
	s_xor_b64 s[28:29], exec, -1
.LBB7_101:                              ;   in Loop: Header=BB7_95 Depth=2
	s_or_b64 exec, exec, s[30:31]
	s_andn2_b64 s[24:25], s[24:25], exec
	s_and_b64 s[28:29], s[28:29], exec
	s_or_b64 s[24:25], s[24:25], s[28:29]
.LBB7_102:                              ;   in Loop: Header=BB7_95 Depth=2
	s_or_b64 exec, exec, s[26:27]
	s_and_b64 s[24:25], s[24:25], exec
.LBB7_103:                              ;   in Loop: Header=BB7_95 Depth=2
	s_andn2_saveexec_b64 s[20:21], s[20:21]
	s_cbranch_execz .LBB7_94
; %bb.104:                              ;   in Loop: Header=BB7_95 Depth=2
	v_lshl_add_u32 v20, v19, 4, v12
	ds_add_f32 v20, v18
	s_andn2_b64 s[24:25], s[24:25], exec
	s_branch .LBB7_94
.LBB7_105:                              ;   in Loop: Header=BB7_69 Depth=1
	s_or_b64 exec, exec, s[14:15]
	s_waitcnt vmcnt(0)
	v_mul_f32_e32 v17, v10, v17
	s_mov_b64 s[14:15], 0
	s_branch .LBB7_107
.LBB7_106:                              ;   in Loop: Header=BB7_107 Depth=2
	s_or_b64 exec, exec, s[20:21]
	s_xor_b64 s[20:21], s[24:25], -1
	s_and_b64 s[20:21], exec, s[20:21]
	s_or_b64 s[14:15], s[20:21], s[14:15]
	s_andn2_b64 exec, exec, s[14:15]
	s_cbranch_execz .LBB7_68
.LBB7_107:                              ;   Parent Loop BB7_69 Depth=1
                                        ; =>  This Inner Loop Header: Depth=2
	v_lshl_add_u32 v18, v16, 2, v6
	ds_read_b32 v19, v18
                                        ; implicit-def: $sgpr24_sgpr25
	s_waitcnt lgkmcnt(0)
	v_cmp_ne_u32_e32 vcc, v19, v3
	s_and_saveexec_b64 s[20:21], vcc
	s_xor_b64 s[20:21], exec, s[20:21]
	s_cbranch_execz .LBB7_115
; %bb.108:                              ;   in Loop: Header=BB7_107 Depth=2
	v_cmp_ne_u32_e32 vcc, s18, v19
                                        ; implicit-def: $sgpr24_sgpr25
	s_and_saveexec_b64 s[26:27], vcc
	s_xor_b64 s[26:27], exec, s[26:27]
; %bb.109:                              ;   in Loop: Header=BB7_107 Depth=2
	v_add_u32_e32 v16, 1, v16
	v_and_b32_e32 v16, 31, v16
	s_mov_b64 s[24:25], -1
                                        ; implicit-def: $vgpr18
; %bb.110:                              ;   in Loop: Header=BB7_107 Depth=2
	s_andn2_saveexec_b64 s[26:27], s[26:27]
	s_cbranch_execz .LBB7_114
; %bb.111:                              ;   in Loop: Header=BB7_107 Depth=2
	v_mov_b32_e32 v19, s18
	ds_cmpst_rtn_b32 v18, v18, v19, v3
	s_mov_b64 s[28:29], -1
	s_waitcnt lgkmcnt(0)
	v_cmp_eq_u32_e32 vcc, s18, v18
	s_and_saveexec_b64 s[30:31], vcc
	s_cbranch_execz .LBB7_113
; %bb.112:                              ;   in Loop: Header=BB7_107 Depth=2
	v_lshl_add_u32 v18, v16, 4, v13
	ds_add_f32 v18, v17
	s_xor_b64 s[28:29], exec, -1
.LBB7_113:                              ;   in Loop: Header=BB7_107 Depth=2
	s_or_b64 exec, exec, s[30:31]
	s_andn2_b64 s[24:25], s[24:25], exec
	s_and_b64 s[28:29], s[28:29], exec
	s_or_b64 s[24:25], s[24:25], s[28:29]
.LBB7_114:                              ;   in Loop: Header=BB7_107 Depth=2
	s_or_b64 exec, exec, s[26:27]
	s_and_b64 s[24:25], s[24:25], exec
.LBB7_115:                              ;   in Loop: Header=BB7_107 Depth=2
	s_andn2_saveexec_b64 s[20:21], s[20:21]
	s_cbranch_execz .LBB7_106
; %bb.116:                              ;   in Loop: Header=BB7_107 Depth=2
	v_lshl_add_u32 v18, v16, 4, v13
	ds_add_f32 v18, v17
	s_andn2_b64 s[24:25], s[24:25], exec
	s_branch .LBB7_106
.LBB7_117:
	s_or_b64 exec, exec, s[12:13]
.LBB7_118:
	v_mov_b32_e32 v2, s7
	v_add_co_u32_e32 v0, vcc, s6, v0
	v_addc_co_u32_e32 v1, vcc, v2, v1, vcc
	s_waitcnt lgkmcnt(0)
	global_load_dword v3, v[0:1], off
	s_cmp_eq_u32 s16, 0
	v_lshlrev_b32_e32 v1, 4, v8
	v_lshl_add_u32 v2, v8, 2, v9
	v_or_b32_e32 v0, -16, v8
	s_cselect_b32 s4, 4, 8
	s_cselect_b32 s5, 8, 4
	v_lshl_or_b32 v1, v7, 9, v1
	v_or_b32_e32 v2, 0x2000, v2
	s_mov_b64 s[0:1], 0
	s_waitcnt vmcnt(0)
	v_subrev_u32_e32 v3, s22, v3
	s_branch .LBB7_120
.LBB7_119:                              ;   in Loop: Header=BB7_120 Depth=1
	s_or_b64 exec, exec, s[2:3]
	v_add_co_u32_e32 v0, vcc, 16, v0
	s_xor_b64 s[2:3], vcc, -1
	s_and_b64 s[2:3], exec, s[2:3]
	v_add_u32_e32 v1, 0x100, v1
	s_or_b64 s[0:1], s[2:3], s[0:1]
	v_add_u32_e32 v2, 64, v2
	s_andn2_b64 exec, exec, s[0:1]
	s_cbranch_execz .LBB7_122
.LBB7_120:                              ; =>This Inner Loop Header: Depth=1
	ds_read_b32 v4, v2
	s_waitcnt lgkmcnt(0)
	v_cmp_gt_i32_e32 vcc, s18, v4
	s_and_saveexec_b64 s[2:3], vcc
	s_cbranch_execz .LBB7_119
; %bb.121:                              ;   in Loop: Header=BB7_120 Depth=1
	ds_read_b128 v[8:11], v6
	ds_read_b128 v[12:15], v6 offset:16
	ds_read_b128 v[16:19], v6 offset:32
	;; [unrolled: 1-line block ×3, first 2 shown]
	s_waitcnt lgkmcnt(3)
	v_cmp_gt_i32_e32 vcc, v4, v8
	v_cndmask_b32_e64 v5, 0, 1, vcc
	v_cmp_gt_i32_e32 vcc, v4, v9
	v_addc_co_u32_e32 v5, vcc, v3, v5, vcc
	v_cmp_gt_i32_e32 vcc, v4, v10
	v_cndmask_b32_e64 v7, 0, 1, vcc
	v_cmp_gt_i32_e32 vcc, v4, v11
	v_addc_co_u32_e32 v5, vcc, v5, v7, vcc
	s_waitcnt lgkmcnt(2)
	v_cmp_gt_i32_e32 vcc, v4, v12
	v_cndmask_b32_e64 v7, 0, 1, vcc
	v_cmp_gt_i32_e32 vcc, v4, v13
	v_addc_co_u32_e32 v5, vcc, v5, v7, vcc
	v_cmp_gt_i32_e32 vcc, v4, v14
	v_cndmask_b32_e64 v7, 0, 1, vcc
	v_cmp_gt_i32_e32 vcc, v4, v15
	v_addc_co_u32_e32 v5, vcc, v5, v7, vcc
	;; [unrolled: 9-line block ×3, first 2 shown]
	s_waitcnt lgkmcnt(0)
	v_cmp_gt_i32_e32 vcc, v4, v20
	v_cndmask_b32_e64 v7, 0, 1, vcc
	v_cmp_gt_i32_e32 vcc, v4, v21
	ds_read_b128 v[8:11], v6 offset:64
	ds_read_b128 v[12:15], v6 offset:80
	v_addc_co_u32_e32 v5, vcc, v5, v7, vcc
	v_cmp_gt_i32_e32 vcc, v4, v22
	v_cndmask_b32_e64 v7, 0, 1, vcc
	v_cmp_gt_i32_e32 vcc, v4, v23
	v_addc_co_u32_e32 v5, vcc, v5, v7, vcc
	s_waitcnt lgkmcnt(1)
	v_cmp_gt_i32_e32 vcc, v4, v8
	v_cndmask_b32_e64 v7, 0, 1, vcc
	v_cmp_gt_i32_e32 vcc, v4, v9
	v_addc_co_u32_e32 v5, vcc, v5, v7, vcc
	v_cmp_gt_i32_e32 vcc, v4, v10
	v_cndmask_b32_e64 v7, 0, 1, vcc
	v_cmp_gt_i32_e32 vcc, v4, v11
	v_addc_co_u32_e32 v5, vcc, v5, v7, vcc
	s_waitcnt lgkmcnt(0)
	v_cmp_gt_i32_e32 vcc, v4, v12
	v_cndmask_b32_e64 v7, 0, 1, vcc
	v_cmp_gt_i32_e32 vcc, v4, v13
	ds_read_b128 v[8:11], v6 offset:96
	v_addc_co_u32_e32 v5, vcc, v5, v7, vcc
	v_cmp_gt_i32_e32 vcc, v4, v14
	v_cndmask_b32_e64 v7, 0, 1, vcc
	v_cmp_gt_i32_e32 vcc, v4, v15
	ds_read_b128 v[12:15], v6 offset:112
	v_addc_co_u32_e32 v5, vcc, v5, v7, vcc
	s_waitcnt lgkmcnt(1)
	v_cmp_gt_i32_e32 vcc, v4, v8
	v_cndmask_b32_e64 v7, 0, 1, vcc
	v_cmp_gt_i32_e32 vcc, v4, v9
	v_addc_co_u32_e32 v5, vcc, v5, v7, vcc
	v_cmp_gt_i32_e32 vcc, v4, v10
	v_cndmask_b32_e64 v7, 0, 1, vcc
	v_cmp_gt_i32_e32 vcc, v4, v11
	v_addc_co_u32_e32 v5, vcc, v5, v7, vcc
	s_waitcnt lgkmcnt(0)
	v_cmp_gt_i32_e32 vcc, v4, v12
	v_cndmask_b32_e64 v7, 0, 1, vcc
	v_cmp_gt_i32_e32 vcc, v4, v13
	v_addc_co_u32_e32 v5, vcc, v5, v7, vcc
	v_cmp_gt_i32_e32 vcc, v4, v14
	v_cndmask_b32_e64 v7, 0, 1, vcc
	v_cmp_gt_i32_e32 vcc, v4, v15
	v_addc_co_u32_e32 v8, vcc, v5, v7, vcc
	v_ashrrev_i32_e32 v9, 31, v8
	v_add_u32_e32 v7, s22, v4
	v_lshlrev_b64 v[4:5], 2, v[8:9]
	v_mov_b32_e32 v9, s9
	v_add_co_u32_e32 v4, vcc, s8, v4
	v_addc_co_u32_e32 v5, vcc, v9, v5, vcc
	global_store_dword v[4:5], v7, off
	v_lshlrev_b32_e32 v4, 2, v8
	v_add_u32_e32 v8, s4, v1
	v_add_u32_e32 v10, s5, v1
	ds_read_b32 v9, v8
	ds_read_b32 v10, v10
	ds_read2_b32 v[12:13], v1 offset1:3
	v_ashrrev_i32_e32 v5, 31, v4
	v_lshlrev_b64 v[4:5], 2, v[4:5]
	v_mov_b32_e32 v7, s11
	v_add_co_u32_e32 v4, vcc, s10, v4
	v_addc_co_u32_e32 v5, vcc, v7, v5, vcc
	s_waitcnt lgkmcnt(0)
	v_mov_b32_e32 v8, v12
	v_mov_b32_e32 v11, v13
	global_store_dwordx4 v[4:5], v[8:11], off
	s_branch .LBB7_119
.LBB7_122:
	s_endpgm
	.section	.rodata,"a",@progbits
	.p2align	6, 0x0
	.amdhsa_kernel _ZN9rocsparseL27bsrgemm_fill_wf_per_row_2x2ILj256ELj16ELj32ELj137EiifEEv20rocsparse_direction_T4_S2_PKS2_S4_NS_24const_host_device_scalarIT5_EEPKT3_S4_PKS6_SA_S4_SC_S7_SA_S4_SC_SA_PS2_PS6_21rocsparse_index_base_SF_SF_SF_bbb
		.amdhsa_group_segment_fixed_size 10240
		.amdhsa_private_segment_fixed_size 0
		.amdhsa_kernarg_size 164
		.amdhsa_user_sgpr_count 6
		.amdhsa_user_sgpr_private_segment_buffer 1
		.amdhsa_user_sgpr_dispatch_ptr 0
		.amdhsa_user_sgpr_queue_ptr 0
		.amdhsa_user_sgpr_kernarg_segment_ptr 1
		.amdhsa_user_sgpr_dispatch_id 0
		.amdhsa_user_sgpr_flat_scratch_init 0
		.amdhsa_user_sgpr_kernarg_preload_length 0
		.amdhsa_user_sgpr_kernarg_preload_offset 0
		.amdhsa_user_sgpr_private_segment_size 0
		.amdhsa_uses_dynamic_stack 0
		.amdhsa_system_sgpr_private_segment_wavefront_offset 0
		.amdhsa_system_sgpr_workgroup_id_x 1
		.amdhsa_system_sgpr_workgroup_id_y 0
		.amdhsa_system_sgpr_workgroup_id_z 0
		.amdhsa_system_sgpr_workgroup_info 0
		.amdhsa_system_vgpr_workitem_id 0
		.amdhsa_next_free_vgpr 34
		.amdhsa_next_free_sgpr 46
		.amdhsa_accum_offset 36
		.amdhsa_reserve_vcc 1
		.amdhsa_reserve_flat_scratch 0
		.amdhsa_float_round_mode_32 0
		.amdhsa_float_round_mode_16_64 0
		.amdhsa_float_denorm_mode_32 3
		.amdhsa_float_denorm_mode_16_64 3
		.amdhsa_dx10_clamp 1
		.amdhsa_ieee_mode 1
		.amdhsa_fp16_overflow 0
		.amdhsa_tg_split 0
		.amdhsa_exception_fp_ieee_invalid_op 0
		.amdhsa_exception_fp_denorm_src 0
		.amdhsa_exception_fp_ieee_div_zero 0
		.amdhsa_exception_fp_ieee_overflow 0
		.amdhsa_exception_fp_ieee_underflow 0
		.amdhsa_exception_fp_ieee_inexact 0
		.amdhsa_exception_int_div_zero 0
	.end_amdhsa_kernel
	.section	.text._ZN9rocsparseL27bsrgemm_fill_wf_per_row_2x2ILj256ELj16ELj32ELj137EiifEEv20rocsparse_direction_T4_S2_PKS2_S4_NS_24const_host_device_scalarIT5_EEPKT3_S4_PKS6_SA_S4_SC_S7_SA_S4_SC_SA_PS2_PS6_21rocsparse_index_base_SF_SF_SF_bbb,"axG",@progbits,_ZN9rocsparseL27bsrgemm_fill_wf_per_row_2x2ILj256ELj16ELj32ELj137EiifEEv20rocsparse_direction_T4_S2_PKS2_S4_NS_24const_host_device_scalarIT5_EEPKT3_S4_PKS6_SA_S4_SC_S7_SA_S4_SC_SA_PS2_PS6_21rocsparse_index_base_SF_SF_SF_bbb,comdat
.Lfunc_end7:
	.size	_ZN9rocsparseL27bsrgemm_fill_wf_per_row_2x2ILj256ELj16ELj32ELj137EiifEEv20rocsparse_direction_T4_S2_PKS2_S4_NS_24const_host_device_scalarIT5_EEPKT3_S4_PKS6_SA_S4_SC_S7_SA_S4_SC_SA_PS2_PS6_21rocsparse_index_base_SF_SF_SF_bbb, .Lfunc_end7-_ZN9rocsparseL27bsrgemm_fill_wf_per_row_2x2ILj256ELj16ELj32ELj137EiifEEv20rocsparse_direction_T4_S2_PKS2_S4_NS_24const_host_device_scalarIT5_EEPKT3_S4_PKS6_SA_S4_SC_S7_SA_S4_SC_SA_PS2_PS6_21rocsparse_index_base_SF_SF_SF_bbb
                                        ; -- End function
	.section	.AMDGPU.csdata,"",@progbits
; Kernel info:
; codeLenInByte = 3740
; NumSgprs: 50
; NumVgprs: 34
; NumAgprs: 0
; TotalNumVgprs: 34
; ScratchSize: 0
; MemoryBound: 0
; FloatMode: 240
; IeeeMode: 1
; LDSByteSize: 10240 bytes/workgroup (compile time only)
; SGPRBlocks: 6
; VGPRBlocks: 4
; NumSGPRsForWavesPerEU: 50
; NumVGPRsForWavesPerEU: 34
; AccumOffset: 36
; Occupancy: 6
; WaveLimiterHint : 1
; COMPUTE_PGM_RSRC2:SCRATCH_EN: 0
; COMPUTE_PGM_RSRC2:USER_SGPR: 6
; COMPUTE_PGM_RSRC2:TRAP_HANDLER: 0
; COMPUTE_PGM_RSRC2:TGID_X_EN: 1
; COMPUTE_PGM_RSRC2:TGID_Y_EN: 0
; COMPUTE_PGM_RSRC2:TGID_Z_EN: 0
; COMPUTE_PGM_RSRC2:TIDIG_COMP_CNT: 0
; COMPUTE_PGM_RSRC3_GFX90A:ACCUM_OFFSET: 8
; COMPUTE_PGM_RSRC3_GFX90A:TG_SPLIT: 0
	.section	.text._ZN9rocsparseL30bsrgemm_fill_block_per_row_2x2ILj256ELj16ELj64ELj137EiifEEv20rocsparse_direction_T4_S2_PKS2_S4_NS_24const_host_device_scalarIT5_EEPKT3_S4_PKS6_SA_S4_SC_S7_SA_S4_SC_SA_PS2_PS6_21rocsparse_index_base_SF_SF_SF_bbb,"axG",@progbits,_ZN9rocsparseL30bsrgemm_fill_block_per_row_2x2ILj256ELj16ELj64ELj137EiifEEv20rocsparse_direction_T4_S2_PKS2_S4_NS_24const_host_device_scalarIT5_EEPKT3_S4_PKS6_SA_S4_SC_S7_SA_S4_SC_SA_PS2_PS6_21rocsparse_index_base_SF_SF_SF_bbb,comdat
	.globl	_ZN9rocsparseL30bsrgemm_fill_block_per_row_2x2ILj256ELj16ELj64ELj137EiifEEv20rocsparse_direction_T4_S2_PKS2_S4_NS_24const_host_device_scalarIT5_EEPKT3_S4_PKS6_SA_S4_SC_S7_SA_S4_SC_SA_PS2_PS6_21rocsparse_index_base_SF_SF_SF_bbb ; -- Begin function _ZN9rocsparseL30bsrgemm_fill_block_per_row_2x2ILj256ELj16ELj64ELj137EiifEEv20rocsparse_direction_T4_S2_PKS2_S4_NS_24const_host_device_scalarIT5_EEPKT3_S4_PKS6_SA_S4_SC_S7_SA_S4_SC_SA_PS2_PS6_21rocsparse_index_base_SF_SF_SF_bbb
	.p2align	8
	.type	_ZN9rocsparseL30bsrgemm_fill_block_per_row_2x2ILj256ELj16ELj64ELj137EiifEEv20rocsparse_direction_T4_S2_PKS2_S4_NS_24const_host_device_scalarIT5_EEPKT3_S4_PKS6_SA_S4_SC_S7_SA_S4_SC_SA_PS2_PS6_21rocsparse_index_base_SF_SF_SF_bbb,@function
_ZN9rocsparseL30bsrgemm_fill_block_per_row_2x2ILj256ELj16ELj64ELj137EiifEEv20rocsparse_direction_T4_S2_PKS2_S4_NS_24const_host_device_scalarIT5_EEPKT3_S4_PKS6_SA_S4_SC_S7_SA_S4_SC_SA_PS2_PS6_21rocsparse_index_base_SF_SF_SF_bbb: ; @_ZN9rocsparseL30bsrgemm_fill_block_per_row_2x2ILj256ELj16ELj64ELj137EiifEEv20rocsparse_direction_T4_S2_PKS2_S4_NS_24const_host_device_scalarIT5_EEPKT3_S4_PKS6_SA_S4_SC_S7_SA_S4_SC_SA_PS2_PS6_21rocsparse_index_base_SF_SF_SF_bbb
; %bb.0:
	s_load_dword s7, s[4:5], 0xa0
	s_load_dwordx2 s[2:3], s[4:5], 0x20
	s_load_dwordx2 s[0:1], s[4:5], 0x58
	s_waitcnt lgkmcnt(0)
	s_bitcmp1_b32 s7, 0
	s_cselect_b64 s[8:9], -1, 0
	s_bitcmp1_b32 s7, 16
	s_cselect_b64 s[10:11], -1, 0
	s_xor_b64 s[12:13], s[8:9], -1
	s_or_b64 s[12:13], s[12:13], s[10:11]
	s_and_b64 vcc, exec, s[12:13]
	s_cbranch_vccnz .LBB8_2
; %bb.1:
	s_load_dword s2, s[2:3], 0x0
	s_waitcnt lgkmcnt(0)
	v_mov_b32_e32 v8, s2
	s_branch .LBB8_3
.LBB8_2:
	v_mov_b32_e32 v1, s2
	v_cndmask_b32_e64 v8, 0, v1, s[8:9]
.LBB8_3:
	s_bitcmp1_b32 s7, 8
	s_cselect_b64 s[2:3], -1, 0
	s_xor_b64 s[12:13], s[2:3], -1
	s_or_b64 s[10:11], s[12:13], s[10:11]
	s_and_b64 vcc, exec, s[10:11]
	s_cbranch_vccnz .LBB8_5
; %bb.4:
	s_load_dword s0, s[0:1], 0x0
	s_waitcnt lgkmcnt(0)
	v_mov_b32_e32 v7, s0
	s_branch .LBB8_6
.LBB8_5:
	v_mov_b32_e32 v1, s0
	v_cndmask_b32_e64 v7, 0, v1, s[2:3]
.LBB8_6:
	s_load_dword s33, s[4:5], 0x8
	v_cmp_gt_u32_e64 s[0:1], 64, v0
	v_lshl_add_u32 v1, v0, 2, 0
	s_and_saveexec_b64 s[10:11], s[0:1]
	s_cbranch_execz .LBB8_8
; %bb.7:
	s_waitcnt lgkmcnt(0)
	v_mov_b32_e32 v2, s33
	ds_write_b32 v1, v2
.LBB8_8:
	s_or_b64 exec, exec, s[10:11]
	s_load_dwordx4 s[16:19], s[4:5], 0x90
	s_load_dwordx2 s[10:11], s[4:5], 0x18
	s_movk_i32 s7, 0x100
	v_cmp_gt_u32_e32 vcc, s7, v0
	s_and_saveexec_b64 s[12:13], vcc
	s_cbranch_execz .LBB8_10
; %bb.9:
	v_mov_b32_e32 v2, 0
	ds_write_b32 v1, v2 offset:256
.LBB8_10:
	s_or_b64 exec, exec, s[12:13]
	s_waitcnt lgkmcnt(0)
	s_cmp_eq_u64 s[10:11], 0
	s_barrier
	s_cbranch_scc1 .LBB8_12
; %bb.11:
	s_load_dwordx2 s[12:13], s[4:5], 0x10
	s_waitcnt lgkmcnt(0)
	s_load_dword s7, s[12:13], 0x0
	s_waitcnt lgkmcnt(0)
	s_add_i32 s6, s7, s6
	s_mov_b32 s7, 0
	s_lshl_b64 s[6:7], s[6:7], 2
	s_add_u32 s6, s10, s6
	s_addc_u32 s7, s11, s7
	s_load_dword s6, s[6:7], 0x0
.LBB8_12:
	s_nop 0
	s_load_dword s44, s[4:5], 0x0
	s_andn2_b64 vcc, exec, s[8:9]
	s_waitcnt lgkmcnt(0)
	s_ashr_i32 s7, s6, 31
	s_cbranch_vccnz .LBB8_68
; %bb.13:
	s_load_dwordx2 s[8:9], s[4:5], 0x28
	s_lshl_b64 s[10:11], s[6:7], 2
	v_lshrrev_b32_e32 v2, 4, v0
	v_subrev_u32_e32 v2, s16, v2
	s_waitcnt lgkmcnt(0)
	s_add_u32 s8, s8, s10
	s_addc_u32 s9, s9, s11
	s_load_dwordx2 s[8:9], s[8:9], 0x0
	s_waitcnt lgkmcnt(0)
	s_sub_i32 s45, s9, s16
	v_add_u32_e32 v2, s8, v2
	v_cmp_gt_i32_e32 vcc, s45, v2
	s_and_saveexec_b64 s[20:21], vcc
	s_cbranch_execz .LBB8_67
; %bb.14:
	s_load_dwordx2 s[22:23], s[4:5], 0x50
	s_load_dwordx8 s[8:15], s[4:5], 0x30
	v_and_b32_e32 v3, 15, v0
	s_cmp_eq_u32 s44, 0
	v_subrev_u32_e32 v9, s17, v3
	s_cselect_b32 s46, 1, 2
	s_cselect_b32 s47, 2, 1
	s_mov_b64 s[24:25], 0
	s_waitcnt lgkmcnt(0)
	v_mov_b32_e32 v10, s9
	v_mov_b32_e32 v11, s13
	s_branch .LBB8_16
.LBB8_15:                               ;   in Loop: Header=BB8_16 Depth=1
	s_or_b64 exec, exec, s[26:27]
	v_add_u32_e32 v2, 16, v2
	v_cmp_le_i32_e32 vcc, s45, v2
	s_or_b64 s[24:25], vcc, s[24:25]
	s_andn2_b64 exec, exec, s[24:25]
	s_cbranch_execz .LBB8_67
.LBB8_16:                               ; =>This Loop Header: Depth=1
                                        ;     Child Loop BB8_19 Depth 2
                                        ;       Child Loop BB8_21 Depth 3
                                        ;       Child Loop BB8_33 Depth 3
                                        ;       Child Loop BB8_45 Depth 3
                                        ;       Child Loop BB8_57 Depth 3
	v_ashrrev_i32_e32 v3, 31, v2
	v_lshlrev_b64 v[4:5], 2, v[2:3]
	v_add_co_u32_e32 v4, vcc, s8, v4
	v_addc_co_u32_e32 v5, vcc, v10, v5, vcc
	global_load_dword v3, v[4:5], off
	s_waitcnt vmcnt(0)
	v_subrev_u32_e32 v4, s16, v3
	v_ashrrev_i32_e32 v5, 31, v4
	v_lshlrev_b64 v[4:5], 2, v[4:5]
	v_add_co_u32_e32 v4, vcc, s12, v4
	v_addc_co_u32_e32 v5, vcc, v11, v5, vcc
	global_load_dwordx2 v[4:5], v[4:5], off
	s_waitcnt vmcnt(0)
	v_subrev_u32_e32 v3, s17, v5
	v_add_u32_e32 v4, v4, v9
	v_cmp_lt_i32_e32 vcc, v4, v3
	s_and_saveexec_b64 s[26:27], vcc
	s_cbranch_execz .LBB8_15
; %bb.17:                               ;   in Loop: Header=BB8_16 Depth=1
	v_lshlrev_b32_e32 v12, 2, v2
	v_ashrrev_i32_e32 v13, 31, v12
	v_or_b32_e32 v14, s46, v12
	v_or_b32_e32 v16, s47, v12
	v_lshlrev_b64 v[12:13], 2, v[12:13]
	v_mov_b32_e32 v5, s11
	v_add_co_u32_e32 v12, vcc, s10, v12
	v_ashrrev_i32_e32 v17, 31, v16
	v_addc_co_u32_e32 v13, vcc, v5, v13, vcc
	v_lshlrev_b64 v[16:17], 2, v[16:17]
	v_add_co_u32_e32 v16, vcc, s10, v16
	v_ashrrev_i32_e32 v15, 31, v14
	v_addc_co_u32_e32 v17, vcc, v5, v17, vcc
	v_lshlrev_b64 v[14:15], 2, v[14:15]
	v_add_co_u32_e32 v14, vcc, s10, v14
	v_addc_co_u32_e32 v15, vcc, v5, v15, vcc
	global_load_dword v5, v[12:13], off offset:12
	global_load_dword v6, v[16:17], off
	global_load_dword v18, v[14:15], off
	;; [unrolled: 1-line block ×3, first 2 shown]
	s_mov_b64 s[28:29], 0
	s_waitcnt vmcnt(3)
	v_mul_f32_e32 v12, v8, v5
	s_waitcnt vmcnt(2)
	v_mul_f32_e32 v13, v8, v6
	;; [unrolled: 2-line block ×4, first 2 shown]
	s_branch .LBB8_19
.LBB8_18:                               ;   in Loop: Header=BB8_19 Depth=2
	s_or_b64 exec, exec, s[30:31]
	v_add_u32_e32 v4, 16, v4
	v_cmp_ge_i32_e32 vcc, v4, v3
	s_or_b64 s[28:29], vcc, s[28:29]
	s_andn2_b64 exec, exec, s[28:29]
	s_cbranch_execz .LBB8_15
.LBB8_19:                               ;   Parent Loop BB8_16 Depth=1
                                        ; =>  This Loop Header: Depth=2
                                        ;       Child Loop BB8_21 Depth 3
                                        ;       Child Loop BB8_33 Depth 3
	;; [unrolled: 1-line block ×4, first 2 shown]
	v_ashrrev_i32_e32 v5, 31, v4
	v_lshlrev_b64 v[16:17], 2, v[4:5]
	v_mov_b32_e32 v5, s15
	v_add_co_u32_e32 v16, vcc, s14, v16
	v_addc_co_u32_e32 v17, vcc, v5, v17, vcc
	global_load_dword v5, v[16:17], off
	v_lshlrev_b32_e32 v16, 2, v4
	v_ashrrev_i32_e32 v17, 31, v16
	v_or_b32_e32 v20, s46, v16
	v_or_b32_e32 v22, s47, v16
	v_lshlrev_b64 v[16:17], 2, v[16:17]
	v_mov_b32_e32 v6, s23
	v_add_co_u32_e32 v24, vcc, s22, v16
	v_ashrrev_i32_e32 v21, 31, v20
	v_ashrrev_i32_e32 v23, 31, v22
	v_addc_co_u32_e32 v25, vcc, v6, v17, vcc
	v_lshlrev_b64 v[16:17], 2, v[20:21]
	v_lshlrev_b64 v[20:21], 2, v[22:23]
	v_add_co_u32_e32 v20, vcc, s22, v20
	v_addc_co_u32_e32 v21, vcc, v6, v21, vcc
	global_load_dword v19, v[24:25], off
	v_add_co_u32_e32 v22, vcc, s22, v16
	global_load_dword v20, v[20:21], off
	v_addc_co_u32_e32 v23, vcc, v6, v17, vcc
	global_load_dword v17, v[22:23], off
	global_load_dword v18, v[24:25], off offset:12
	s_mov_b64 s[30:31], 0
	s_waitcnt vmcnt(4)
	v_subrev_u32_e32 v5, s17, v5
	v_lshl_add_u32 v6, v5, 3, v5
	v_and_b32_e32 v16, 63, v6
	v_mov_b32_e32 v22, v16
	s_waitcnt vmcnt(2)
	v_mul_f32_e32 v21, v14, v20
	v_fmac_f32_e32 v21, v15, v19
	s_branch .LBB8_21
.LBB8_20:                               ;   in Loop: Header=BB8_21 Depth=3
	s_or_b64 exec, exec, s[34:35]
	s_xor_b64 s[34:35], s[36:37], -1
	s_and_b64 s[34:35], exec, s[34:35]
	s_or_b64 s[30:31], s[34:35], s[30:31]
	s_andn2_b64 exec, exec, s[30:31]
	s_cbranch_execz .LBB8_31
.LBB8_21:                               ;   Parent Loop BB8_16 Depth=1
                                        ;     Parent Loop BB8_19 Depth=2
                                        ; =>    This Inner Loop Header: Depth=3
	v_lshl_add_u32 v6, v22, 2, 0
	ds_read_b32 v23, v6
                                        ; implicit-def: $sgpr36_sgpr37
	s_waitcnt lgkmcnt(0)
	v_cmp_ne_u32_e32 vcc, v23, v5
	s_and_saveexec_b64 s[34:35], vcc
	s_xor_b64 s[34:35], exec, s[34:35]
	s_cbranch_execz .LBB8_29
; %bb.22:                               ;   in Loop: Header=BB8_21 Depth=3
	v_cmp_ne_u32_e32 vcc, s33, v23
                                        ; implicit-def: $sgpr36_sgpr37
	s_and_saveexec_b64 s[38:39], vcc
	s_xor_b64 s[38:39], exec, s[38:39]
; %bb.23:                               ;   in Loop: Header=BB8_21 Depth=3
	v_add_u32_e32 v6, 1, v22
	v_and_b32_e32 v22, 63, v6
	s_mov_b64 s[36:37], -1
                                        ; implicit-def: $vgpr6
; %bb.24:                               ;   in Loop: Header=BB8_21 Depth=3
	s_andn2_saveexec_b64 s[38:39], s[38:39]
	s_cbranch_execz .LBB8_28
; %bb.25:                               ;   in Loop: Header=BB8_21 Depth=3
	v_mov_b32_e32 v23, s33
	ds_cmpst_rtn_b32 v23, v6, v23, v5
	s_mov_b64 s[40:41], -1
	s_waitcnt lgkmcnt(0)
	v_cmp_eq_u32_e32 vcc, s33, v23
	s_and_saveexec_b64 s[42:43], vcc
	s_cbranch_execz .LBB8_27
; %bb.26:                               ;   in Loop: Header=BB8_21 Depth=3
	v_mad_u64_u32 v[24:25], s[40:41], v22, 12, v[6:7]
	ds_add_f32 v24, v21 offset:256
	s_xor_b64 s[40:41], exec, -1
.LBB8_27:                               ;   in Loop: Header=BB8_21 Depth=3
	s_or_b64 exec, exec, s[42:43]
	s_andn2_b64 s[36:37], s[36:37], exec
	s_and_b64 s[40:41], s[40:41], exec
	s_or_b64 s[36:37], s[36:37], s[40:41]
.LBB8_28:                               ;   in Loop: Header=BB8_21 Depth=3
	s_or_b64 exec, exec, s[38:39]
	s_and_b64 s[36:37], s[36:37], exec
                                        ; implicit-def: $vgpr6
.LBB8_29:                               ;   in Loop: Header=BB8_21 Depth=3
	s_andn2_saveexec_b64 s[34:35], s[34:35]
	s_cbranch_execz .LBB8_20
; %bb.30:                               ;   in Loop: Header=BB8_21 Depth=3
	v_mad_u64_u32 v[24:25], s[38:39], v22, 12, v[6:7]
	ds_add_f32 v24, v21 offset:256
	s_andn2_b64 s[36:37], s[36:37], exec
	s_branch .LBB8_20
.LBB8_31:                               ;   in Loop: Header=BB8_19 Depth=2
	s_or_b64 exec, exec, s[30:31]
	s_waitcnt vmcnt(0)
	v_mul_f32_e32 v21, v14, v18
	v_fmac_f32_e32 v21, v15, v17
	s_mov_b64 s[30:31], 0
	v_mov_b32_e32 v22, v16
	s_branch .LBB8_33
.LBB8_32:                               ;   in Loop: Header=BB8_33 Depth=3
	s_or_b64 exec, exec, s[34:35]
	s_xor_b64 s[34:35], s[36:37], -1
	s_and_b64 s[34:35], exec, s[34:35]
	s_or_b64 s[30:31], s[34:35], s[30:31]
	s_andn2_b64 exec, exec, s[30:31]
	s_cbranch_execz .LBB8_43
.LBB8_33:                               ;   Parent Loop BB8_16 Depth=1
                                        ;     Parent Loop BB8_19 Depth=2
                                        ; =>    This Inner Loop Header: Depth=3
	v_lshl_add_u32 v6, v22, 2, 0
	ds_read_b32 v23, v6
                                        ; implicit-def: $sgpr36_sgpr37
	s_waitcnt lgkmcnt(0)
	v_cmp_ne_u32_e32 vcc, v23, v5
	s_and_saveexec_b64 s[34:35], vcc
	s_xor_b64 s[34:35], exec, s[34:35]
	s_cbranch_execz .LBB8_41
; %bb.34:                               ;   in Loop: Header=BB8_33 Depth=3
	v_cmp_ne_u32_e32 vcc, s33, v23
                                        ; implicit-def: $sgpr36_sgpr37
	s_and_saveexec_b64 s[38:39], vcc
	s_xor_b64 s[38:39], exec, s[38:39]
; %bb.35:                               ;   in Loop: Header=BB8_33 Depth=3
	v_add_u32_e32 v6, 1, v22
	v_and_b32_e32 v22, 63, v6
	s_mov_b64 s[36:37], -1
                                        ; implicit-def: $vgpr6
; %bb.36:                               ;   in Loop: Header=BB8_33 Depth=3
	s_andn2_saveexec_b64 s[38:39], s[38:39]
	s_cbranch_execz .LBB8_40
; %bb.37:                               ;   in Loop: Header=BB8_33 Depth=3
	v_mov_b32_e32 v23, s33
	ds_cmpst_rtn_b32 v23, v6, v23, v5
	s_mov_b64 s[40:41], -1
	s_waitcnt lgkmcnt(0)
	v_cmp_eq_u32_e32 vcc, s33, v23
	s_and_saveexec_b64 s[42:43], vcc
	s_cbranch_execz .LBB8_39
; %bb.38:                               ;   in Loop: Header=BB8_33 Depth=3
	v_mad_u64_u32 v[24:25], s[40:41], v22, 12, v[6:7]
	ds_add_f32 v24, v21 offset:260
	s_xor_b64 s[40:41], exec, -1
.LBB8_39:                               ;   in Loop: Header=BB8_33 Depth=3
	s_or_b64 exec, exec, s[42:43]
	s_andn2_b64 s[36:37], s[36:37], exec
	s_and_b64 s[40:41], s[40:41], exec
	s_or_b64 s[36:37], s[36:37], s[40:41]
.LBB8_40:                               ;   in Loop: Header=BB8_33 Depth=3
	s_or_b64 exec, exec, s[38:39]
	s_and_b64 s[36:37], s[36:37], exec
                                        ; implicit-def: $vgpr6
.LBB8_41:                               ;   in Loop: Header=BB8_33 Depth=3
	s_andn2_saveexec_b64 s[34:35], s[34:35]
	s_cbranch_execz .LBB8_32
; %bb.42:                               ;   in Loop: Header=BB8_33 Depth=3
	v_mad_u64_u32 v[24:25], s[38:39], v22, 12, v[6:7]
	ds_add_f32 v24, v21 offset:260
	s_andn2_b64 s[36:37], s[36:37], exec
	s_branch .LBB8_32
.LBB8_43:                               ;   in Loop: Header=BB8_19 Depth=2
	s_or_b64 exec, exec, s[30:31]
	v_mul_f32_e32 v20, v12, v20
	v_fmac_f32_e32 v20, v13, v19
	s_mov_b64 s[30:31], 0
	v_mov_b32_e32 v19, v16
	s_branch .LBB8_45
.LBB8_44:                               ;   in Loop: Header=BB8_45 Depth=3
	s_or_b64 exec, exec, s[34:35]
	s_xor_b64 s[34:35], s[36:37], -1
	s_and_b64 s[34:35], exec, s[34:35]
	s_or_b64 s[30:31], s[34:35], s[30:31]
	s_andn2_b64 exec, exec, s[30:31]
	s_cbranch_execz .LBB8_55
.LBB8_45:                               ;   Parent Loop BB8_16 Depth=1
                                        ;     Parent Loop BB8_19 Depth=2
                                        ; =>    This Inner Loop Header: Depth=3
	v_lshl_add_u32 v6, v19, 2, 0
	ds_read_b32 v21, v6
                                        ; implicit-def: $sgpr36_sgpr37
	s_waitcnt lgkmcnt(0)
	v_cmp_ne_u32_e32 vcc, v21, v5
	s_and_saveexec_b64 s[34:35], vcc
	s_xor_b64 s[34:35], exec, s[34:35]
	s_cbranch_execz .LBB8_53
; %bb.46:                               ;   in Loop: Header=BB8_45 Depth=3
	v_cmp_ne_u32_e32 vcc, s33, v21
                                        ; implicit-def: $sgpr36_sgpr37
	s_and_saveexec_b64 s[38:39], vcc
	s_xor_b64 s[38:39], exec, s[38:39]
; %bb.47:                               ;   in Loop: Header=BB8_45 Depth=3
	v_add_u32_e32 v6, 1, v19
	v_and_b32_e32 v19, 63, v6
	s_mov_b64 s[36:37], -1
                                        ; implicit-def: $vgpr6
; %bb.48:                               ;   in Loop: Header=BB8_45 Depth=3
	s_andn2_saveexec_b64 s[38:39], s[38:39]
	s_cbranch_execz .LBB8_52
; %bb.49:                               ;   in Loop: Header=BB8_45 Depth=3
	v_mov_b32_e32 v21, s33
	ds_cmpst_rtn_b32 v21, v6, v21, v5
	s_mov_b64 s[40:41], -1
	s_waitcnt lgkmcnt(0)
	v_cmp_eq_u32_e32 vcc, s33, v21
	s_and_saveexec_b64 s[42:43], vcc
	s_cbranch_execz .LBB8_51
; %bb.50:                               ;   in Loop: Header=BB8_45 Depth=3
	v_mad_u64_u32 v[22:23], s[40:41], v19, 12, v[6:7]
	ds_add_f32 v22, v20 offset:264
	s_xor_b64 s[40:41], exec, -1
.LBB8_51:                               ;   in Loop: Header=BB8_45 Depth=3
	s_or_b64 exec, exec, s[42:43]
	s_andn2_b64 s[36:37], s[36:37], exec
	s_and_b64 s[40:41], s[40:41], exec
	s_or_b64 s[36:37], s[36:37], s[40:41]
.LBB8_52:                               ;   in Loop: Header=BB8_45 Depth=3
	s_or_b64 exec, exec, s[38:39]
	s_and_b64 s[36:37], s[36:37], exec
                                        ; implicit-def: $vgpr6
.LBB8_53:                               ;   in Loop: Header=BB8_45 Depth=3
	s_andn2_saveexec_b64 s[34:35], s[34:35]
	s_cbranch_execz .LBB8_44
; %bb.54:                               ;   in Loop: Header=BB8_45 Depth=3
	v_mad_u64_u32 v[22:23], s[38:39], v19, 12, v[6:7]
	ds_add_f32 v22, v20 offset:264
	s_andn2_b64 s[36:37], s[36:37], exec
	s_branch .LBB8_44
.LBB8_55:                               ;   in Loop: Header=BB8_19 Depth=2
	s_or_b64 exec, exec, s[30:31]
	v_mul_f32_e32 v18, v12, v18
	v_fmac_f32_e32 v18, v13, v17
	s_mov_b64 s[30:31], 0
	s_branch .LBB8_57
.LBB8_56:                               ;   in Loop: Header=BB8_57 Depth=3
	s_or_b64 exec, exec, s[34:35]
	s_xor_b64 s[34:35], s[36:37], -1
	s_and_b64 s[34:35], exec, s[34:35]
	s_or_b64 s[30:31], s[34:35], s[30:31]
	s_andn2_b64 exec, exec, s[30:31]
	s_cbranch_execz .LBB8_18
.LBB8_57:                               ;   Parent Loop BB8_16 Depth=1
                                        ;     Parent Loop BB8_19 Depth=2
                                        ; =>    This Inner Loop Header: Depth=3
	v_lshl_add_u32 v6, v16, 2, 0
	ds_read_b32 v17, v6
                                        ; implicit-def: $sgpr36_sgpr37
	s_waitcnt lgkmcnt(0)
	v_cmp_ne_u32_e32 vcc, v17, v5
	s_and_saveexec_b64 s[34:35], vcc
	s_xor_b64 s[34:35], exec, s[34:35]
	s_cbranch_execz .LBB8_65
; %bb.58:                               ;   in Loop: Header=BB8_57 Depth=3
	v_cmp_ne_u32_e32 vcc, s33, v17
                                        ; implicit-def: $sgpr36_sgpr37
	s_and_saveexec_b64 s[38:39], vcc
	s_xor_b64 s[38:39], exec, s[38:39]
; %bb.59:                               ;   in Loop: Header=BB8_57 Depth=3
	v_add_u32_e32 v6, 1, v16
	v_and_b32_e32 v16, 63, v6
	s_mov_b64 s[36:37], -1
                                        ; implicit-def: $vgpr6
; %bb.60:                               ;   in Loop: Header=BB8_57 Depth=3
	s_andn2_saveexec_b64 s[38:39], s[38:39]
	s_cbranch_execz .LBB8_64
; %bb.61:                               ;   in Loop: Header=BB8_57 Depth=3
	v_mov_b32_e32 v17, s33
	ds_cmpst_rtn_b32 v17, v6, v17, v5
	s_mov_b64 s[40:41], -1
	s_waitcnt lgkmcnt(0)
	v_cmp_eq_u32_e32 vcc, s33, v17
	s_and_saveexec_b64 s[42:43], vcc
	s_cbranch_execz .LBB8_63
; %bb.62:                               ;   in Loop: Header=BB8_57 Depth=3
	v_mad_u64_u32 v[20:21], s[40:41], v16, 12, v[6:7]
	ds_add_f32 v20, v18 offset:268
	s_xor_b64 s[40:41], exec, -1
.LBB8_63:                               ;   in Loop: Header=BB8_57 Depth=3
	s_or_b64 exec, exec, s[42:43]
	s_andn2_b64 s[36:37], s[36:37], exec
	s_and_b64 s[40:41], s[40:41], exec
	s_or_b64 s[36:37], s[36:37], s[40:41]
.LBB8_64:                               ;   in Loop: Header=BB8_57 Depth=3
	s_or_b64 exec, exec, s[38:39]
	s_and_b64 s[36:37], s[36:37], exec
                                        ; implicit-def: $vgpr6
.LBB8_65:                               ;   in Loop: Header=BB8_57 Depth=3
	s_andn2_saveexec_b64 s[34:35], s[34:35]
	s_cbranch_execz .LBB8_56
; %bb.66:                               ;   in Loop: Header=BB8_57 Depth=3
	v_mad_u64_u32 v[20:21], s[38:39], v16, 12, v[6:7]
	ds_add_f32 v20, v18 offset:268
	s_andn2_b64 s[36:37], s[36:37], exec
	s_branch .LBB8_56
.LBB8_67:
	s_or_b64 exec, exec, s[20:21]
.LBB8_68:
	s_andn2_b64 vcc, exec, s[2:3]
	s_waitcnt lgkmcnt(0)
	s_barrier
	s_cbranch_vccnz .LBB8_121
; %bb.69:
	s_load_dwordx2 s[2:3], s[4:5], 0x60
	s_lshl_b64 s[8:9], s[6:7], 2
	v_subrev_u32_e32 v2, s19, v0
	s_waitcnt lgkmcnt(0)
	s_add_u32 s2, s2, s8
	s_addc_u32 s3, s3, s9
	s_load_dwordx2 s[2:3], s[2:3], 0x0
	s_waitcnt lgkmcnt(0)
	s_sub_i32 s28, s3, s19
	v_add_u32_e32 v2, s2, v2
	v_cmp_gt_i32_e32 vcc, s28, v2
	s_and_saveexec_b64 s[2:3], vcc
	s_cbranch_execz .LBB8_120
; %bb.70:
	s_load_dwordx4 s[8:11], s[4:5], 0x68
	s_cmp_eq_u32 s44, 0
	s_mov_b64 s[12:13], 0
	s_cselect_b32 s29, 1, 2
	s_cselect_b32 s30, 2, 1
	s_waitcnt lgkmcnt(0)
	v_mov_b32_e32 v5, s11
	v_mov_b32_e32 v6, s9
	s_branch .LBB8_72
.LBB8_71:                               ;   in Loop: Header=BB8_72 Depth=1
	s_or_b64 exec, exec, s[14:15]
	v_add_u32_e32 v2, 0x100, v2
	v_cmp_le_i32_e32 vcc, s28, v2
	s_or_b64 s[12:13], vcc, s[12:13]
	s_andn2_b64 exec, exec, s[12:13]
	s_cbranch_execz .LBB8_120
.LBB8_72:                               ; =>This Loop Header: Depth=1
                                        ;     Child Loop BB8_74 Depth 2
                                        ;     Child Loop BB8_86 Depth 2
	;; [unrolled: 1-line block ×4, first 2 shown]
	v_lshlrev_b32_e32 v8, 2, v2
	v_ashrrev_i32_e32 v9, 31, v8
	v_or_b32_e32 v10, s29, v8
	v_or_b32_e32 v12, s30, v8
	v_lshlrev_b64 v[8:9], 2, v[8:9]
	v_add_co_u32_e32 v14, vcc, s10, v8
	v_ashrrev_i32_e32 v11, 31, v10
	v_addc_co_u32_e32 v15, vcc, v5, v9, vcc
	v_lshlrev_b64 v[8:9], 2, v[10:11]
	v_add_co_u32_e32 v16, vcc, s10, v8
	v_ashrrev_i32_e32 v3, 31, v2
	v_addc_co_u32_e32 v17, vcc, v5, v9, vcc
	;; [unrolled: 4-line block ×3, first 2 shown]
	v_lshlrev_b64 v[8:9], 2, v[12:13]
	global_load_dword v3, v[10:11], off
	global_load_dword v4, v[14:15], off
	v_add_co_u32_e32 v12, vcc, s10, v8
	v_addc_co_u32_e32 v13, vcc, v5, v9, vcc
	global_load_dword v10, v[12:13], off
	global_load_dword v11, v[16:17], off
	global_load_dword v9, v[14:15], off offset:12
	s_mov_b64 s[14:15], 0
	s_waitcnt vmcnt(4)
	v_subrev_u32_e32 v3, s19, v3
	s_waitcnt vmcnt(3)
	v_mul_f32_e32 v12, v7, v4
	v_lshl_add_u32 v4, v3, 3, v3
	v_and_b32_e32 v8, 63, v4
	v_mov_b32_e32 v13, v8
	s_branch .LBB8_74
.LBB8_73:                               ;   in Loop: Header=BB8_74 Depth=2
	s_or_b64 exec, exec, s[16:17]
	s_xor_b64 s[16:17], s[20:21], -1
	s_and_b64 s[16:17], exec, s[16:17]
	s_or_b64 s[14:15], s[16:17], s[14:15]
	s_andn2_b64 exec, exec, s[14:15]
	s_cbranch_execz .LBB8_84
.LBB8_74:                               ;   Parent Loop BB8_72 Depth=1
                                        ; =>  This Inner Loop Header: Depth=2
	v_lshl_add_u32 v4, v13, 2, 0
	ds_read_b32 v14, v4
                                        ; implicit-def: $sgpr20_sgpr21
	s_waitcnt lgkmcnt(0)
	v_cmp_ne_u32_e32 vcc, v14, v3
	s_and_saveexec_b64 s[16:17], vcc
	s_xor_b64 s[16:17], exec, s[16:17]
	s_cbranch_execz .LBB8_82
; %bb.75:                               ;   in Loop: Header=BB8_74 Depth=2
	v_cmp_ne_u32_e32 vcc, s33, v14
                                        ; implicit-def: $sgpr20_sgpr21
	s_and_saveexec_b64 s[22:23], vcc
	s_xor_b64 s[22:23], exec, s[22:23]
; %bb.76:                               ;   in Loop: Header=BB8_74 Depth=2
	v_add_u32_e32 v4, 1, v13
	v_and_b32_e32 v13, 63, v4
	s_mov_b64 s[20:21], -1
                                        ; implicit-def: $vgpr4
; %bb.77:                               ;   in Loop: Header=BB8_74 Depth=2
	s_andn2_saveexec_b64 s[22:23], s[22:23]
	s_cbranch_execz .LBB8_81
; %bb.78:                               ;   in Loop: Header=BB8_74 Depth=2
	v_mov_b32_e32 v14, s33
	ds_cmpst_rtn_b32 v14, v4, v14, v3
	s_mov_b64 s[24:25], -1
	s_waitcnt lgkmcnt(0)
	v_cmp_eq_u32_e32 vcc, s33, v14
	s_and_saveexec_b64 s[26:27], vcc
	s_cbranch_execz .LBB8_80
; %bb.79:                               ;   in Loop: Header=BB8_74 Depth=2
	v_mad_u64_u32 v[14:15], s[24:25], v13, 12, v[4:5]
	ds_add_f32 v14, v12 offset:256
	s_xor_b64 s[24:25], exec, -1
.LBB8_80:                               ;   in Loop: Header=BB8_74 Depth=2
	s_or_b64 exec, exec, s[26:27]
	s_andn2_b64 s[20:21], s[20:21], exec
	s_and_b64 s[24:25], s[24:25], exec
	s_or_b64 s[20:21], s[20:21], s[24:25]
.LBB8_81:                               ;   in Loop: Header=BB8_74 Depth=2
	s_or_b64 exec, exec, s[22:23]
	s_and_b64 s[20:21], s[20:21], exec
                                        ; implicit-def: $vgpr4
.LBB8_82:                               ;   in Loop: Header=BB8_74 Depth=2
	s_andn2_saveexec_b64 s[16:17], s[16:17]
	s_cbranch_execz .LBB8_73
; %bb.83:                               ;   in Loop: Header=BB8_74 Depth=2
	v_mad_u64_u32 v[14:15], s[22:23], v13, 12, v[4:5]
	ds_add_f32 v14, v12 offset:256
	s_andn2_b64 s[20:21], s[20:21], exec
	s_branch .LBB8_73
.LBB8_84:                               ;   in Loop: Header=BB8_72 Depth=1
	s_or_b64 exec, exec, s[14:15]
	s_waitcnt vmcnt(1)
	v_mul_f32_e32 v11, v7, v11
	s_mov_b64 s[14:15], 0
	v_mov_b32_e32 v12, v8
	s_branch .LBB8_86
.LBB8_85:                               ;   in Loop: Header=BB8_86 Depth=2
	s_or_b64 exec, exec, s[16:17]
	s_xor_b64 s[16:17], s[20:21], -1
	s_and_b64 s[16:17], exec, s[16:17]
	s_or_b64 s[14:15], s[16:17], s[14:15]
	s_andn2_b64 exec, exec, s[14:15]
	s_cbranch_execz .LBB8_96
.LBB8_86:                               ;   Parent Loop BB8_72 Depth=1
                                        ; =>  This Inner Loop Header: Depth=2
	v_lshl_add_u32 v4, v12, 2, 0
	ds_read_b32 v13, v4
                                        ; implicit-def: $sgpr20_sgpr21
	s_waitcnt lgkmcnt(0)
	v_cmp_ne_u32_e32 vcc, v13, v3
	s_and_saveexec_b64 s[16:17], vcc
	s_xor_b64 s[16:17], exec, s[16:17]
	s_cbranch_execz .LBB8_94
; %bb.87:                               ;   in Loop: Header=BB8_86 Depth=2
	v_cmp_ne_u32_e32 vcc, s33, v13
                                        ; implicit-def: $sgpr20_sgpr21
	s_and_saveexec_b64 s[22:23], vcc
	s_xor_b64 s[22:23], exec, s[22:23]
; %bb.88:                               ;   in Loop: Header=BB8_86 Depth=2
	v_add_u32_e32 v4, 1, v12
	v_and_b32_e32 v12, 63, v4
	s_mov_b64 s[20:21], -1
                                        ; implicit-def: $vgpr4
; %bb.89:                               ;   in Loop: Header=BB8_86 Depth=2
	s_andn2_saveexec_b64 s[22:23], s[22:23]
	s_cbranch_execz .LBB8_93
; %bb.90:                               ;   in Loop: Header=BB8_86 Depth=2
	v_mov_b32_e32 v13, s33
	ds_cmpst_rtn_b32 v13, v4, v13, v3
	s_mov_b64 s[24:25], -1
	s_waitcnt lgkmcnt(0)
	v_cmp_eq_u32_e32 vcc, s33, v13
	s_and_saveexec_b64 s[26:27], vcc
	s_cbranch_execz .LBB8_92
; %bb.91:                               ;   in Loop: Header=BB8_86 Depth=2
	v_mad_u64_u32 v[14:15], s[24:25], v12, 12, v[4:5]
	ds_add_f32 v14, v11 offset:260
	s_xor_b64 s[24:25], exec, -1
.LBB8_92:                               ;   in Loop: Header=BB8_86 Depth=2
	s_or_b64 exec, exec, s[26:27]
	s_andn2_b64 s[20:21], s[20:21], exec
	s_and_b64 s[24:25], s[24:25], exec
	s_or_b64 s[20:21], s[20:21], s[24:25]
.LBB8_93:                               ;   in Loop: Header=BB8_86 Depth=2
	s_or_b64 exec, exec, s[22:23]
	s_and_b64 s[20:21], s[20:21], exec
                                        ; implicit-def: $vgpr4
.LBB8_94:                               ;   in Loop: Header=BB8_86 Depth=2
	s_andn2_saveexec_b64 s[16:17], s[16:17]
	s_cbranch_execz .LBB8_85
; %bb.95:                               ;   in Loop: Header=BB8_86 Depth=2
	v_mad_u64_u32 v[14:15], s[22:23], v12, 12, v[4:5]
	ds_add_f32 v14, v11 offset:260
	s_andn2_b64 s[20:21], s[20:21], exec
	s_branch .LBB8_85
.LBB8_96:                               ;   in Loop: Header=BB8_72 Depth=1
	s_or_b64 exec, exec, s[14:15]
	v_mul_f32_e32 v10, v7, v10
	s_mov_b64 s[14:15], 0
	v_mov_b32_e32 v11, v8
	s_branch .LBB8_98
.LBB8_97:                               ;   in Loop: Header=BB8_98 Depth=2
	s_or_b64 exec, exec, s[16:17]
	s_xor_b64 s[16:17], s[20:21], -1
	s_and_b64 s[16:17], exec, s[16:17]
	s_or_b64 s[14:15], s[16:17], s[14:15]
	s_andn2_b64 exec, exec, s[14:15]
	s_cbranch_execz .LBB8_108
.LBB8_98:                               ;   Parent Loop BB8_72 Depth=1
                                        ; =>  This Inner Loop Header: Depth=2
	v_lshl_add_u32 v4, v11, 2, 0
	ds_read_b32 v12, v4
                                        ; implicit-def: $sgpr20_sgpr21
	s_waitcnt lgkmcnt(0)
	v_cmp_ne_u32_e32 vcc, v12, v3
	s_and_saveexec_b64 s[16:17], vcc
	s_xor_b64 s[16:17], exec, s[16:17]
	s_cbranch_execz .LBB8_106
; %bb.99:                               ;   in Loop: Header=BB8_98 Depth=2
	v_cmp_ne_u32_e32 vcc, s33, v12
                                        ; implicit-def: $sgpr20_sgpr21
	s_and_saveexec_b64 s[22:23], vcc
	s_xor_b64 s[22:23], exec, s[22:23]
; %bb.100:                              ;   in Loop: Header=BB8_98 Depth=2
	v_add_u32_e32 v4, 1, v11
	v_and_b32_e32 v11, 63, v4
	s_mov_b64 s[20:21], -1
                                        ; implicit-def: $vgpr4
; %bb.101:                              ;   in Loop: Header=BB8_98 Depth=2
	s_andn2_saveexec_b64 s[22:23], s[22:23]
	s_cbranch_execz .LBB8_105
; %bb.102:                              ;   in Loop: Header=BB8_98 Depth=2
	v_mov_b32_e32 v12, s33
	ds_cmpst_rtn_b32 v12, v4, v12, v3
	s_mov_b64 s[24:25], -1
	s_waitcnt lgkmcnt(0)
	v_cmp_eq_u32_e32 vcc, s33, v12
	s_and_saveexec_b64 s[26:27], vcc
	s_cbranch_execz .LBB8_104
; %bb.103:                              ;   in Loop: Header=BB8_98 Depth=2
	v_mad_u64_u32 v[12:13], s[24:25], v11, 12, v[4:5]
	ds_add_f32 v12, v10 offset:264
	s_xor_b64 s[24:25], exec, -1
.LBB8_104:                              ;   in Loop: Header=BB8_98 Depth=2
	s_or_b64 exec, exec, s[26:27]
	s_andn2_b64 s[20:21], s[20:21], exec
	s_and_b64 s[24:25], s[24:25], exec
	s_or_b64 s[20:21], s[20:21], s[24:25]
.LBB8_105:                              ;   in Loop: Header=BB8_98 Depth=2
	s_or_b64 exec, exec, s[22:23]
	s_and_b64 s[20:21], s[20:21], exec
                                        ; implicit-def: $vgpr4
.LBB8_106:                              ;   in Loop: Header=BB8_98 Depth=2
	s_andn2_saveexec_b64 s[16:17], s[16:17]
	s_cbranch_execz .LBB8_97
; %bb.107:                              ;   in Loop: Header=BB8_98 Depth=2
	v_mad_u64_u32 v[12:13], s[22:23], v11, 12, v[4:5]
	ds_add_f32 v12, v10 offset:264
	s_andn2_b64 s[20:21], s[20:21], exec
	s_branch .LBB8_97
.LBB8_108:                              ;   in Loop: Header=BB8_72 Depth=1
	s_or_b64 exec, exec, s[14:15]
	s_waitcnt vmcnt(0)
	v_mul_f32_e32 v9, v7, v9
	s_mov_b64 s[14:15], 0
	s_branch .LBB8_110
.LBB8_109:                              ;   in Loop: Header=BB8_110 Depth=2
	s_or_b64 exec, exec, s[16:17]
	s_xor_b64 s[16:17], s[20:21], -1
	s_and_b64 s[16:17], exec, s[16:17]
	s_or_b64 s[14:15], s[16:17], s[14:15]
	s_andn2_b64 exec, exec, s[14:15]
	s_cbranch_execz .LBB8_71
.LBB8_110:                              ;   Parent Loop BB8_72 Depth=1
                                        ; =>  This Inner Loop Header: Depth=2
	v_lshl_add_u32 v4, v8, 2, 0
	ds_read_b32 v10, v4
                                        ; implicit-def: $sgpr20_sgpr21
	s_waitcnt lgkmcnt(0)
	v_cmp_ne_u32_e32 vcc, v10, v3
	s_and_saveexec_b64 s[16:17], vcc
	s_xor_b64 s[16:17], exec, s[16:17]
	s_cbranch_execz .LBB8_118
; %bb.111:                              ;   in Loop: Header=BB8_110 Depth=2
	v_cmp_ne_u32_e32 vcc, s33, v10
                                        ; implicit-def: $sgpr20_sgpr21
	s_and_saveexec_b64 s[22:23], vcc
	s_xor_b64 s[22:23], exec, s[22:23]
; %bb.112:                              ;   in Loop: Header=BB8_110 Depth=2
	v_add_u32_e32 v4, 1, v8
	v_and_b32_e32 v8, 63, v4
	s_mov_b64 s[20:21], -1
                                        ; implicit-def: $vgpr4
; %bb.113:                              ;   in Loop: Header=BB8_110 Depth=2
	s_andn2_saveexec_b64 s[22:23], s[22:23]
	s_cbranch_execz .LBB8_117
; %bb.114:                              ;   in Loop: Header=BB8_110 Depth=2
	v_mov_b32_e32 v10, s33
	ds_cmpst_rtn_b32 v10, v4, v10, v3
	s_mov_b64 s[24:25], -1
	s_waitcnt lgkmcnt(0)
	v_cmp_eq_u32_e32 vcc, s33, v10
	s_and_saveexec_b64 s[26:27], vcc
	s_cbranch_execz .LBB8_116
; %bb.115:                              ;   in Loop: Header=BB8_110 Depth=2
	v_mad_u64_u32 v[10:11], s[24:25], v8, 12, v[4:5]
	ds_add_f32 v10, v9 offset:268
	s_xor_b64 s[24:25], exec, -1
.LBB8_116:                              ;   in Loop: Header=BB8_110 Depth=2
	s_or_b64 exec, exec, s[26:27]
	s_andn2_b64 s[20:21], s[20:21], exec
	s_and_b64 s[24:25], s[24:25], exec
	s_or_b64 s[20:21], s[20:21], s[24:25]
.LBB8_117:                              ;   in Loop: Header=BB8_110 Depth=2
	s_or_b64 exec, exec, s[22:23]
	s_and_b64 s[20:21], s[20:21], exec
                                        ; implicit-def: $vgpr4
.LBB8_118:                              ;   in Loop: Header=BB8_110 Depth=2
	s_andn2_saveexec_b64 s[16:17], s[16:17]
	s_cbranch_execz .LBB8_109
; %bb.119:                              ;   in Loop: Header=BB8_110 Depth=2
	v_mad_u64_u32 v[10:11], s[22:23], v8, 12, v[4:5]
	ds_add_f32 v10, v9 offset:268
	s_andn2_b64 s[20:21], s[20:21], exec
	s_branch .LBB8_109
.LBB8_120:
	s_or_b64 exec, exec, s[2:3]
.LBB8_121:
	s_waitcnt lgkmcnt(0)
	s_barrier
	s_and_saveexec_b64 s[2:3], s[0:1]
	s_cbranch_execz .LBB8_124
; %bb.122:
	ds_read_b32 v1, v1
	s_waitcnt lgkmcnt(0)
	v_cmp_gt_i32_e32 vcc, s33, v1
	s_and_b64 exec, exec, vcc
	s_cbranch_execz .LBB8_124
; %bb.123:
	s_load_dwordx4 s[0:3], s[4:5], 0x78
	s_load_dwordx2 s[8:9], s[4:5], 0x88
	s_lshl_b64 s[4:5], s[6:7], 2
	v_mov_b32_e32 v10, 0
	s_waitcnt lgkmcnt(0)
	s_add_u32 s0, s0, s4
	s_addc_u32 s1, s1, s5
	s_load_dword s1, s[0:1], 0x0
	ds_read2_b32 v[2:3], v10 offset1:1
	ds_read2_b32 v[4:5], v10 offset0:2 offset1:3
	ds_read2_b32 v[6:7], v10 offset0:4 offset1:5
	;; [unrolled: 1-line block ×3, first 2 shown]
	s_add_i32 s0, 0, 0x100
	s_waitcnt lgkmcnt(0)
	v_cmp_gt_i32_e32 vcc, v1, v2
	v_cndmask_b32_e64 v2, 0, 1, vcc
	s_sub_i32 s1, s1, s18
	v_mov_b32_e32 v11, s1
	v_cmp_gt_i32_e32 vcc, v1, v3
	v_addc_co_u32_e32 v2, vcc, v11, v2, vcc
	v_cmp_gt_i32_e32 vcc, v1, v4
	v_cndmask_b32_e64 v3, 0, 1, vcc
	v_cmp_gt_i32_e32 vcc, v1, v5
	v_addc_co_u32_e32 v2, vcc, v2, v3, vcc
	v_cmp_gt_i32_e32 vcc, v1, v6
	v_cndmask_b32_e64 v3, 0, 1, vcc
	v_cmp_gt_i32_e32 vcc, v1, v7
	v_addc_co_u32_e32 v4, vcc, v2, v3, vcc
	ds_read2_b32 v[2:3], v10 offset0:8 offset1:9
	v_cmp_gt_i32_e32 vcc, v1, v8
	v_cndmask_b32_e64 v5, 0, 1, vcc
	v_cmp_gt_i32_e32 vcc, v1, v9
	v_addc_co_u32_e32 v11, vcc, v4, v5, vcc
	ds_read2_b32 v[4:5], v10 offset0:10 offset1:11
	ds_read2_b32 v[6:7], v10 offset0:12 offset1:13
	ds_read2_b32 v[8:9], v10 offset0:14 offset1:15
	s_waitcnt lgkmcnt(3)
	v_cmp_gt_i32_e32 vcc, v1, v2
	v_cndmask_b32_e64 v2, 0, 1, vcc
	v_cmp_gt_i32_e32 vcc, v1, v3
	v_addc_co_u32_e32 v2, vcc, v11, v2, vcc
	s_waitcnt lgkmcnt(2)
	v_cmp_gt_i32_e32 vcc, v1, v4
	v_cndmask_b32_e64 v3, 0, 1, vcc
	v_cmp_gt_i32_e32 vcc, v1, v5
	v_addc_co_u32_e32 v2, vcc, v2, v3, vcc
	s_waitcnt lgkmcnt(1)
	v_cmp_gt_i32_e32 vcc, v1, v6
	v_cndmask_b32_e64 v3, 0, 1, vcc
	v_cmp_gt_i32_e32 vcc, v1, v7
	v_addc_co_u32_e32 v4, vcc, v2, v3, vcc
	ds_read2_b32 v[2:3], v10 offset0:16 offset1:17
	s_waitcnt lgkmcnt(1)
	v_cmp_gt_i32_e32 vcc, v1, v8
	v_cndmask_b32_e64 v5, 0, 1, vcc
	v_cmp_gt_i32_e32 vcc, v1, v9
	v_addc_co_u32_e32 v11, vcc, v4, v5, vcc
	ds_read2_b32 v[4:5], v10 offset0:18 offset1:19
	ds_read2_b32 v[6:7], v10 offset0:20 offset1:21
	ds_read2_b32 v[8:9], v10 offset0:22 offset1:23
	s_waitcnt lgkmcnt(3)
	v_cmp_gt_i32_e32 vcc, v1, v2
	v_cndmask_b32_e64 v2, 0, 1, vcc
	v_cmp_gt_i32_e32 vcc, v1, v3
	v_addc_co_u32_e32 v2, vcc, v11, v2, vcc
	s_waitcnt lgkmcnt(2)
	v_cmp_gt_i32_e32 vcc, v1, v4
	v_cndmask_b32_e64 v3, 0, 1, vcc
	v_cmp_gt_i32_e32 vcc, v1, v5
	v_addc_co_u32_e32 v2, vcc, v2, v3, vcc
	s_waitcnt lgkmcnt(1)
	v_cmp_gt_i32_e32 vcc, v1, v6
	v_cndmask_b32_e64 v3, 0, 1, vcc
	v_cmp_gt_i32_e32 vcc, v1, v7
	v_addc_co_u32_e32 v4, vcc, v2, v3, vcc
	ds_read2_b32 v[2:3], v10 offset0:24 offset1:25
	s_waitcnt lgkmcnt(1)
	;; [unrolled: 24-line block ×6, first 2 shown]
	v_cmp_gt_i32_e32 vcc, v1, v8
	v_cndmask_b32_e64 v5, 0, 1, vcc
	v_cmp_gt_i32_e32 vcc, v1, v9
	v_addc_co_u32_e32 v11, vcc, v4, v5, vcc
	ds_read2_b32 v[4:5], v10 offset0:58 offset1:59
	ds_read2_b32 v[6:7], v10 offset0:60 offset1:61
	ds_read2_b32 v[8:9], v10 offset0:62 offset1:63
	s_waitcnt lgkmcnt(3)
	v_cmp_gt_i32_e32 vcc, v1, v2
	v_cndmask_b32_e64 v2, 0, 1, vcc
	v_cmp_gt_i32_e32 vcc, v1, v3
	v_addc_co_u32_e32 v2, vcc, v11, v2, vcc
	s_waitcnt lgkmcnt(2)
	v_cmp_gt_i32_e32 vcc, v1, v4
	v_cndmask_b32_e64 v3, 0, 1, vcc
	v_cmp_gt_i32_e32 vcc, v1, v5
	v_addc_co_u32_e32 v2, vcc, v2, v3, vcc
	;; [unrolled: 5-line block ×4, first 2 shown]
	v_ashrrev_i32_e32 v3, 31, v2
	v_lshlrev_b64 v[4:5], 2, v[2:3]
	v_mov_b32_e32 v3, s3
	v_add_co_u32_e32 v4, vcc, s2, v4
	v_lshlrev_b32_e32 v2, 2, v2
	s_cmp_eq_u32 s44, 0
	v_add_u32_e32 v1, s18, v1
	v_addc_co_u32_e32 v5, vcc, v3, v5, vcc
	v_lshlrev_b32_e32 v6, 4, v0
	v_ashrrev_i32_e32 v3, 31, v2
	global_store_dword v[4:5], v1, off
	v_lshlrev_b32_e32 v1, 2, v0
	v_lshlrev_b64 v[4:5], 2, v[2:3]
	v_add_u32_e32 v3, s0, v6
	s_cselect_b32 s0, 1, 2
	s_cselect_b32 s1, 2, 1
	v_or_b32_e32 v2, s0, v1
	v_or_b32_e32 v1, s1, v1
	v_add_u32_e32 v0, 0, v6
	v_lshl_add_u32 v1, v1, 2, 0
	ds_read_b32 v0, v0 offset:256
	v_lshl_add_u32 v6, v2, 2, 0
	ds_read_b32 v2, v1 offset:256
	ds_read_b32 v1, v6 offset:256
	;; [unrolled: 1-line block ×3, first 2 shown]
	v_mov_b32_e32 v7, s9
	v_add_co_u32_e32 v4, vcc, s8, v4
	v_addc_co_u32_e32 v5, vcc, v7, v5, vcc
	s_waitcnt lgkmcnt(0)
	global_store_dwordx4 v[4:5], v[0:3], off
.LBB8_124:
	s_endpgm
	.section	.rodata,"a",@progbits
	.p2align	6, 0x0
	.amdhsa_kernel _ZN9rocsparseL30bsrgemm_fill_block_per_row_2x2ILj256ELj16ELj64ELj137EiifEEv20rocsparse_direction_T4_S2_PKS2_S4_NS_24const_host_device_scalarIT5_EEPKT3_S4_PKS6_SA_S4_SC_S7_SA_S4_SC_SA_PS2_PS6_21rocsparse_index_base_SF_SF_SF_bbb
		.amdhsa_group_segment_fixed_size 0
		.amdhsa_private_segment_fixed_size 0
		.amdhsa_kernarg_size 164
		.amdhsa_user_sgpr_count 6
		.amdhsa_user_sgpr_private_segment_buffer 1
		.amdhsa_user_sgpr_dispatch_ptr 0
		.amdhsa_user_sgpr_queue_ptr 0
		.amdhsa_user_sgpr_kernarg_segment_ptr 1
		.amdhsa_user_sgpr_dispatch_id 0
		.amdhsa_user_sgpr_flat_scratch_init 0
		.amdhsa_user_sgpr_kernarg_preload_length 0
		.amdhsa_user_sgpr_kernarg_preload_offset 0
		.amdhsa_user_sgpr_private_segment_size 0
		.amdhsa_uses_dynamic_stack 0
		.amdhsa_system_sgpr_private_segment_wavefront_offset 0
		.amdhsa_system_sgpr_workgroup_id_x 1
		.amdhsa_system_sgpr_workgroup_id_y 0
		.amdhsa_system_sgpr_workgroup_id_z 0
		.amdhsa_system_sgpr_workgroup_info 0
		.amdhsa_system_vgpr_workitem_id 0
		.amdhsa_next_free_vgpr 26
		.amdhsa_next_free_sgpr 48
		.amdhsa_accum_offset 28
		.amdhsa_reserve_vcc 1
		.amdhsa_reserve_flat_scratch 0
		.amdhsa_float_round_mode_32 0
		.amdhsa_float_round_mode_16_64 0
		.amdhsa_float_denorm_mode_32 3
		.amdhsa_float_denorm_mode_16_64 3
		.amdhsa_dx10_clamp 1
		.amdhsa_ieee_mode 1
		.amdhsa_fp16_overflow 0
		.amdhsa_tg_split 0
		.amdhsa_exception_fp_ieee_invalid_op 0
		.amdhsa_exception_fp_denorm_src 0
		.amdhsa_exception_fp_ieee_div_zero 0
		.amdhsa_exception_fp_ieee_overflow 0
		.amdhsa_exception_fp_ieee_underflow 0
		.amdhsa_exception_fp_ieee_inexact 0
		.amdhsa_exception_int_div_zero 0
	.end_amdhsa_kernel
	.section	.text._ZN9rocsparseL30bsrgemm_fill_block_per_row_2x2ILj256ELj16ELj64ELj137EiifEEv20rocsparse_direction_T4_S2_PKS2_S4_NS_24const_host_device_scalarIT5_EEPKT3_S4_PKS6_SA_S4_SC_S7_SA_S4_SC_SA_PS2_PS6_21rocsparse_index_base_SF_SF_SF_bbb,"axG",@progbits,_ZN9rocsparseL30bsrgemm_fill_block_per_row_2x2ILj256ELj16ELj64ELj137EiifEEv20rocsparse_direction_T4_S2_PKS2_S4_NS_24const_host_device_scalarIT5_EEPKT3_S4_PKS6_SA_S4_SC_S7_SA_S4_SC_SA_PS2_PS6_21rocsparse_index_base_SF_SF_SF_bbb,comdat
.Lfunc_end8:
	.size	_ZN9rocsparseL30bsrgemm_fill_block_per_row_2x2ILj256ELj16ELj64ELj137EiifEEv20rocsparse_direction_T4_S2_PKS2_S4_NS_24const_host_device_scalarIT5_EEPKT3_S4_PKS6_SA_S4_SC_S7_SA_S4_SC_SA_PS2_PS6_21rocsparse_index_base_SF_SF_SF_bbb, .Lfunc_end8-_ZN9rocsparseL30bsrgemm_fill_block_per_row_2x2ILj256ELj16ELj64ELj137EiifEEv20rocsparse_direction_T4_S2_PKS2_S4_NS_24const_host_device_scalarIT5_EEPKT3_S4_PKS6_SA_S4_SC_S7_SA_S4_SC_SA_PS2_PS6_21rocsparse_index_base_SF_SF_SF_bbb
                                        ; -- End function
	.section	.AMDGPU.csdata,"",@progbits
; Kernel info:
; codeLenInByte = 4268
; NumSgprs: 52
; NumVgprs: 26
; NumAgprs: 0
; TotalNumVgprs: 26
; ScratchSize: 0
; MemoryBound: 0
; FloatMode: 240
; IeeeMode: 1
; LDSByteSize: 0 bytes/workgroup (compile time only)
; SGPRBlocks: 6
; VGPRBlocks: 3
; NumSGPRsForWavesPerEU: 52
; NumVGPRsForWavesPerEU: 26
; AccumOffset: 28
; Occupancy: 8
; WaveLimiterHint : 1
; COMPUTE_PGM_RSRC2:SCRATCH_EN: 0
; COMPUTE_PGM_RSRC2:USER_SGPR: 6
; COMPUTE_PGM_RSRC2:TRAP_HANDLER: 0
; COMPUTE_PGM_RSRC2:TGID_X_EN: 1
; COMPUTE_PGM_RSRC2:TGID_Y_EN: 0
; COMPUTE_PGM_RSRC2:TGID_Z_EN: 0
; COMPUTE_PGM_RSRC2:TIDIG_COMP_CNT: 0
; COMPUTE_PGM_RSRC3_GFX90A:ACCUM_OFFSET: 6
; COMPUTE_PGM_RSRC3_GFX90A:TG_SPLIT: 0
	.section	.text._ZN9rocsparseL30bsrgemm_fill_block_per_row_2x2ILj256ELj16ELj128ELj137EiifEEv20rocsparse_direction_T4_S2_PKS2_S4_NS_24const_host_device_scalarIT5_EEPKT3_S4_PKS6_SA_S4_SC_S7_SA_S4_SC_SA_PS2_PS6_21rocsparse_index_base_SF_SF_SF_bbb,"axG",@progbits,_ZN9rocsparseL30bsrgemm_fill_block_per_row_2x2ILj256ELj16ELj128ELj137EiifEEv20rocsparse_direction_T4_S2_PKS2_S4_NS_24const_host_device_scalarIT5_EEPKT3_S4_PKS6_SA_S4_SC_S7_SA_S4_SC_SA_PS2_PS6_21rocsparse_index_base_SF_SF_SF_bbb,comdat
	.globl	_ZN9rocsparseL30bsrgemm_fill_block_per_row_2x2ILj256ELj16ELj128ELj137EiifEEv20rocsparse_direction_T4_S2_PKS2_S4_NS_24const_host_device_scalarIT5_EEPKT3_S4_PKS6_SA_S4_SC_S7_SA_S4_SC_SA_PS2_PS6_21rocsparse_index_base_SF_SF_SF_bbb ; -- Begin function _ZN9rocsparseL30bsrgemm_fill_block_per_row_2x2ILj256ELj16ELj128ELj137EiifEEv20rocsparse_direction_T4_S2_PKS2_S4_NS_24const_host_device_scalarIT5_EEPKT3_S4_PKS6_SA_S4_SC_S7_SA_S4_SC_SA_PS2_PS6_21rocsparse_index_base_SF_SF_SF_bbb
	.p2align	8
	.type	_ZN9rocsparseL30bsrgemm_fill_block_per_row_2x2ILj256ELj16ELj128ELj137EiifEEv20rocsparse_direction_T4_S2_PKS2_S4_NS_24const_host_device_scalarIT5_EEPKT3_S4_PKS6_SA_S4_SC_S7_SA_S4_SC_SA_PS2_PS6_21rocsparse_index_base_SF_SF_SF_bbb,@function
_ZN9rocsparseL30bsrgemm_fill_block_per_row_2x2ILj256ELj16ELj128ELj137EiifEEv20rocsparse_direction_T4_S2_PKS2_S4_NS_24const_host_device_scalarIT5_EEPKT3_S4_PKS6_SA_S4_SC_S7_SA_S4_SC_SA_PS2_PS6_21rocsparse_index_base_SF_SF_SF_bbb: ; @_ZN9rocsparseL30bsrgemm_fill_block_per_row_2x2ILj256ELj16ELj128ELj137EiifEEv20rocsparse_direction_T4_S2_PKS2_S4_NS_24const_host_device_scalarIT5_EEPKT3_S4_PKS6_SA_S4_SC_S7_SA_S4_SC_SA_PS2_PS6_21rocsparse_index_base_SF_SF_SF_bbb
; %bb.0:
	s_load_dword s7, s[4:5], 0xa0
	s_load_dwordx2 s[2:3], s[4:5], 0x20
	s_load_dwordx2 s[0:1], s[4:5], 0x58
	s_waitcnt lgkmcnt(0)
	s_bitcmp1_b32 s7, 0
	s_cselect_b64 s[8:9], -1, 0
	s_bitcmp1_b32 s7, 16
	s_cselect_b64 s[10:11], -1, 0
	s_xor_b64 s[12:13], s[8:9], -1
	s_or_b64 s[12:13], s[12:13], s[10:11]
	s_and_b64 vcc, exec, s[12:13]
	s_cbranch_vccnz .LBB9_2
; %bb.1:
	s_load_dword s2, s[2:3], 0x0
	s_waitcnt lgkmcnt(0)
	v_mov_b32_e32 v8, s2
	s_branch .LBB9_3
.LBB9_2:
	v_mov_b32_e32 v1, s2
	v_cndmask_b32_e64 v8, 0, v1, s[8:9]
.LBB9_3:
	s_bitcmp1_b32 s7, 8
	s_cselect_b64 s[2:3], -1, 0
	s_xor_b64 s[12:13], s[2:3], -1
	s_or_b64 s[10:11], s[12:13], s[10:11]
	s_and_b64 vcc, exec, s[10:11]
	s_cbranch_vccnz .LBB9_5
; %bb.4:
	s_load_dword s0, s[0:1], 0x0
	s_waitcnt lgkmcnt(0)
	v_mov_b32_e32 v7, s0
	s_branch .LBB9_6
.LBB9_5:
	v_mov_b32_e32 v1, s0
	v_cndmask_b32_e64 v7, 0, v1, s[2:3]
.LBB9_6:
	s_load_dwordx4 s[36:39], s[4:5], 0x90
	s_load_dword s33, s[4:5], 0x8
	s_movk_i32 s0, 0x80
	v_cmp_gt_u32_e64 s[0:1], s0, v0
	v_lshl_add_u32 v1, v0, 2, 0
	s_and_saveexec_b64 s[10:11], s[0:1]
	s_cbranch_execz .LBB9_8
; %bb.7:
	s_waitcnt lgkmcnt(0)
	v_mov_b32_e32 v2, s33
	ds_write_b32 v1, v2
.LBB9_8:
	s_or_b64 exec, exec, s[10:11]
	s_load_dwordx4 s[28:31], s[4:5], 0x80
	s_load_dwordx8 s[12:19], s[4:5], 0x60
	s_load_dwordx4 s[40:43], s[4:5], 0x48
	s_load_dwordx4 s[44:47], s[4:5], 0x10
	s_load_dwordx8 s[20:27], s[4:5], 0x28
	s_movk_i32 s7, 0x200
	v_cmp_gt_u32_e32 vcc, s7, v0
	s_and_saveexec_b64 s[10:11], vcc
	s_cbranch_execz .LBB9_15
; %bb.9:
	s_mov_b32 s7, 0
	v_add_u32_e32 v2, 0x200, v1
	s_mov_b64 s[34:35], 0
	v_mov_b32_e32 v3, 0
	s_branch .LBB9_11
.LBB9_10:                               ;   in Loop: Header=BB9_11 Depth=1
	s_or_b64 exec, exec, s[50:51]
	s_add_i32 s7, s7, 2
	v_cmp_eq_u32_e64 s[48:49], 2, s7
	s_or_b64 s[34:35], s[48:49], s[34:35]
	v_add_u32_e32 v2, 0x800, v2
	s_andn2_b64 exec, exec, s[34:35]
	s_cbranch_execz .LBB9_15
.LBB9_11:                               ; =>This Inner Loop Header: Depth=1
	s_or_b32 s48, s7, 1
	v_cmp_le_u32_e64 s[48:49], s48, 1
	v_cmp_le_u32_e64 s[52:53], s7, 1
	s_and_saveexec_b64 s[50:51], s[52:53]
	s_cbranch_execz .LBB9_13
; %bb.12:                               ;   in Loop: Header=BB9_11 Depth=1
	ds_write_b32 v2, v3
.LBB9_13:                               ;   in Loop: Header=BB9_11 Depth=1
	s_or_b64 exec, exec, s[50:51]
	s_and_saveexec_b64 s[50:51], s[48:49]
	s_cbranch_execz .LBB9_10
; %bb.14:                               ;   in Loop: Header=BB9_11 Depth=1
	ds_write_b32 v2, v3 offset:1024
	s_branch .LBB9_10
.LBB9_15:
	s_or_b64 exec, exec, s[10:11]
	s_waitcnt lgkmcnt(0)
	s_cmp_eq_u64 s[46:47], 0
	s_barrier
	s_cbranch_scc1 .LBB9_17
; %bb.16:
	s_load_dword s7, s[44:45], 0x0
	s_waitcnt lgkmcnt(0)
	s_add_i32 s6, s7, s6
	s_mov_b32 s7, 0
	s_lshl_b64 s[6:7], s[6:7], 2
	s_add_u32 s6, s46, s6
	s_addc_u32 s7, s47, s7
	s_load_dword s6, s[6:7], 0x0
.LBB9_17:
	s_nop 0
	s_load_dword s54, s[4:5], 0x0
	s_andn2_b64 vcc, exec, s[8:9]
	s_waitcnt lgkmcnt(0)
	s_ashr_i32 s7, s6, 31
	s_cbranch_vccnz .LBB9_73
; %bb.18:
	s_lshl_b64 s[4:5], s[6:7], 2
	s_add_u32 s4, s20, s4
	s_addc_u32 s5, s21, s5
	s_load_dwordx2 s[4:5], s[4:5], 0x0
	v_lshrrev_b32_e32 v2, 4, v0
	v_subrev_u32_e32 v2, s36, v2
	s_waitcnt lgkmcnt(0)
	s_sub_i32 s55, s5, s36
	v_add_u32_e32 v2, s4, v2
	v_cmp_gt_i32_e32 vcc, s55, v2
	s_and_saveexec_b64 s[4:5], vcc
	s_cbranch_execz .LBB9_72
; %bb.19:
	v_and_b32_e32 v3, 15, v0
	s_cmp_eq_u32 s54, 0
	v_subrev_u32_e32 v9, s37, v3
	s_cselect_b32 s56, 1, 2
	s_cselect_b32 s57, 2, 1
	s_mov_b64 s[8:9], 0
	v_mov_b32_e32 v10, s23
	v_mov_b32_e32 v11, s27
	s_branch .LBB9_21
.LBB9_20:                               ;   in Loop: Header=BB9_21 Depth=1
	s_or_b64 exec, exec, s[10:11]
	v_add_u32_e32 v2, 16, v2
	v_cmp_le_i32_e32 vcc, s55, v2
	s_or_b64 s[8:9], vcc, s[8:9]
	s_andn2_b64 exec, exec, s[8:9]
	s_cbranch_execz .LBB9_72
.LBB9_21:                               ; =>This Loop Header: Depth=1
                                        ;     Child Loop BB9_24 Depth 2
                                        ;       Child Loop BB9_26 Depth 3
                                        ;       Child Loop BB9_38 Depth 3
	;; [unrolled: 1-line block ×4, first 2 shown]
	v_ashrrev_i32_e32 v3, 31, v2
	v_lshlrev_b64 v[4:5], 2, v[2:3]
	v_add_co_u32_e32 v4, vcc, s22, v4
	v_addc_co_u32_e32 v5, vcc, v10, v5, vcc
	global_load_dword v3, v[4:5], off
	s_waitcnt vmcnt(0)
	v_subrev_u32_e32 v4, s36, v3
	v_ashrrev_i32_e32 v5, 31, v4
	v_lshlrev_b64 v[4:5], 2, v[4:5]
	v_add_co_u32_e32 v4, vcc, s26, v4
	v_addc_co_u32_e32 v5, vcc, v11, v5, vcc
	global_load_dwordx2 v[4:5], v[4:5], off
	s_waitcnt vmcnt(0)
	v_subrev_u32_e32 v3, s37, v5
	v_add_u32_e32 v4, v4, v9
	v_cmp_lt_i32_e32 vcc, v4, v3
	s_and_saveexec_b64 s[10:11], vcc
	s_cbranch_execz .LBB9_20
; %bb.22:                               ;   in Loop: Header=BB9_21 Depth=1
	v_lshlrev_b32_e32 v12, 2, v2
	v_ashrrev_i32_e32 v13, 31, v12
	v_or_b32_e32 v14, s56, v12
	v_or_b32_e32 v16, s57, v12
	v_lshlrev_b64 v[12:13], 2, v[12:13]
	v_mov_b32_e32 v5, s25
	v_add_co_u32_e32 v12, vcc, s24, v12
	v_ashrrev_i32_e32 v17, 31, v16
	v_addc_co_u32_e32 v13, vcc, v5, v13, vcc
	v_lshlrev_b64 v[16:17], 2, v[16:17]
	v_add_co_u32_e32 v16, vcc, s24, v16
	v_ashrrev_i32_e32 v15, 31, v14
	v_addc_co_u32_e32 v17, vcc, v5, v17, vcc
	v_lshlrev_b64 v[14:15], 2, v[14:15]
	v_add_co_u32_e32 v14, vcc, s24, v14
	v_addc_co_u32_e32 v15, vcc, v5, v15, vcc
	global_load_dword v5, v[12:13], off offset:12
	global_load_dword v6, v[16:17], off
	global_load_dword v18, v[14:15], off
	;; [unrolled: 1-line block ×3, first 2 shown]
	s_mov_b64 s[20:21], 0
	s_waitcnt vmcnt(3)
	v_mul_f32_e32 v12, v8, v5
	s_waitcnt vmcnt(2)
	v_mul_f32_e32 v13, v8, v6
	;; [unrolled: 2-line block ×4, first 2 shown]
	s_branch .LBB9_24
.LBB9_23:                               ;   in Loop: Header=BB9_24 Depth=2
	s_or_b64 exec, exec, s[34:35]
	v_add_u32_e32 v4, 16, v4
	v_cmp_ge_i32_e32 vcc, v4, v3
	s_or_b64 s[20:21], vcc, s[20:21]
	s_andn2_b64 exec, exec, s[20:21]
	s_cbranch_execz .LBB9_20
.LBB9_24:                               ;   Parent Loop BB9_21 Depth=1
                                        ; =>  This Loop Header: Depth=2
                                        ;       Child Loop BB9_26 Depth 3
                                        ;       Child Loop BB9_38 Depth 3
                                        ;       Child Loop BB9_50 Depth 3
                                        ;       Child Loop BB9_62 Depth 3
	v_ashrrev_i32_e32 v5, 31, v4
	v_lshlrev_b64 v[16:17], 2, v[4:5]
	v_mov_b32_e32 v5, s41
	v_add_co_u32_e32 v16, vcc, s40, v16
	v_addc_co_u32_e32 v17, vcc, v5, v17, vcc
	global_load_dword v5, v[16:17], off
	v_lshlrev_b32_e32 v16, 2, v4
	v_ashrrev_i32_e32 v17, 31, v16
	v_or_b32_e32 v20, s56, v16
	v_or_b32_e32 v22, s57, v16
	v_lshlrev_b64 v[16:17], 2, v[16:17]
	v_mov_b32_e32 v6, s43
	v_add_co_u32_e32 v24, vcc, s42, v16
	v_ashrrev_i32_e32 v21, 31, v20
	v_ashrrev_i32_e32 v23, 31, v22
	v_addc_co_u32_e32 v25, vcc, v6, v17, vcc
	v_lshlrev_b64 v[16:17], 2, v[20:21]
	v_lshlrev_b64 v[20:21], 2, v[22:23]
	v_add_co_u32_e32 v20, vcc, s42, v20
	v_addc_co_u32_e32 v21, vcc, v6, v21, vcc
	global_load_dword v19, v[24:25], off
	v_add_co_u32_e32 v22, vcc, s42, v16
	global_load_dword v20, v[20:21], off
	v_addc_co_u32_e32 v23, vcc, v6, v17, vcc
	global_load_dword v17, v[22:23], off
	global_load_dword v18, v[24:25], off offset:12
	s_mov_b64 s[34:35], 0
	s_waitcnt vmcnt(4)
	v_subrev_u32_e32 v5, s37, v5
	v_lshl_add_u32 v6, v5, 3, v5
	v_and_b32_e32 v16, 0x7f, v6
	v_mov_b32_e32 v22, v16
	s_waitcnt vmcnt(2)
	v_mul_f32_e32 v21, v14, v20
	v_fmac_f32_e32 v21, v15, v19
	s_branch .LBB9_26
.LBB9_25:                               ;   in Loop: Header=BB9_26 Depth=3
	s_or_b64 exec, exec, s[44:45]
	s_xor_b64 s[44:45], s[46:47], -1
	s_and_b64 s[44:45], exec, s[44:45]
	s_or_b64 s[34:35], s[44:45], s[34:35]
	s_andn2_b64 exec, exec, s[34:35]
	s_cbranch_execz .LBB9_36
.LBB9_26:                               ;   Parent Loop BB9_21 Depth=1
                                        ;     Parent Loop BB9_24 Depth=2
                                        ; =>    This Inner Loop Header: Depth=3
	v_lshl_add_u32 v6, v22, 2, 0
	ds_read_b32 v23, v6
                                        ; implicit-def: $sgpr46_sgpr47
	s_waitcnt lgkmcnt(0)
	v_cmp_ne_u32_e32 vcc, v23, v5
	s_and_saveexec_b64 s[44:45], vcc
	s_xor_b64 s[44:45], exec, s[44:45]
	s_cbranch_execz .LBB9_34
; %bb.27:                               ;   in Loop: Header=BB9_26 Depth=3
	v_cmp_ne_u32_e32 vcc, s33, v23
                                        ; implicit-def: $sgpr46_sgpr47
	s_and_saveexec_b64 s[48:49], vcc
	s_xor_b64 s[48:49], exec, s[48:49]
; %bb.28:                               ;   in Loop: Header=BB9_26 Depth=3
	v_add_u32_e32 v6, 1, v22
	v_and_b32_e32 v22, 0x7f, v6
	s_mov_b64 s[46:47], -1
                                        ; implicit-def: $vgpr6
; %bb.29:                               ;   in Loop: Header=BB9_26 Depth=3
	s_andn2_saveexec_b64 s[48:49], s[48:49]
	s_cbranch_execz .LBB9_33
; %bb.30:                               ;   in Loop: Header=BB9_26 Depth=3
	v_mov_b32_e32 v23, s33
	ds_cmpst_rtn_b32 v23, v6, v23, v5
	s_mov_b64 s[50:51], -1
	s_waitcnt lgkmcnt(0)
	v_cmp_eq_u32_e32 vcc, s33, v23
	s_and_saveexec_b64 s[52:53], vcc
	s_cbranch_execz .LBB9_32
; %bb.31:                               ;   in Loop: Header=BB9_26 Depth=3
	v_mad_u64_u32 v[24:25], s[50:51], v22, 12, v[6:7]
	ds_add_f32 v24, v21 offset:512
	s_xor_b64 s[50:51], exec, -1
.LBB9_32:                               ;   in Loop: Header=BB9_26 Depth=3
	s_or_b64 exec, exec, s[52:53]
	s_andn2_b64 s[46:47], s[46:47], exec
	s_and_b64 s[50:51], s[50:51], exec
	s_or_b64 s[46:47], s[46:47], s[50:51]
.LBB9_33:                               ;   in Loop: Header=BB9_26 Depth=3
	s_or_b64 exec, exec, s[48:49]
	s_and_b64 s[46:47], s[46:47], exec
                                        ; implicit-def: $vgpr6
.LBB9_34:                               ;   in Loop: Header=BB9_26 Depth=3
	s_andn2_saveexec_b64 s[44:45], s[44:45]
	s_cbranch_execz .LBB9_25
; %bb.35:                               ;   in Loop: Header=BB9_26 Depth=3
	v_mad_u64_u32 v[24:25], s[48:49], v22, 12, v[6:7]
	ds_add_f32 v24, v21 offset:512
	s_andn2_b64 s[46:47], s[46:47], exec
	s_branch .LBB9_25
.LBB9_36:                               ;   in Loop: Header=BB9_24 Depth=2
	s_or_b64 exec, exec, s[34:35]
	s_waitcnt vmcnt(0)
	v_mul_f32_e32 v21, v14, v18
	v_fmac_f32_e32 v21, v15, v17
	s_mov_b64 s[34:35], 0
	v_mov_b32_e32 v22, v16
	s_branch .LBB9_38
.LBB9_37:                               ;   in Loop: Header=BB9_38 Depth=3
	s_or_b64 exec, exec, s[44:45]
	s_xor_b64 s[44:45], s[46:47], -1
	s_and_b64 s[44:45], exec, s[44:45]
	s_or_b64 s[34:35], s[44:45], s[34:35]
	s_andn2_b64 exec, exec, s[34:35]
	s_cbranch_execz .LBB9_48
.LBB9_38:                               ;   Parent Loop BB9_21 Depth=1
                                        ;     Parent Loop BB9_24 Depth=2
                                        ; =>    This Inner Loop Header: Depth=3
	v_lshl_add_u32 v6, v22, 2, 0
	ds_read_b32 v23, v6
                                        ; implicit-def: $sgpr46_sgpr47
	s_waitcnt lgkmcnt(0)
	v_cmp_ne_u32_e32 vcc, v23, v5
	s_and_saveexec_b64 s[44:45], vcc
	s_xor_b64 s[44:45], exec, s[44:45]
	s_cbranch_execz .LBB9_46
; %bb.39:                               ;   in Loop: Header=BB9_38 Depth=3
	v_cmp_ne_u32_e32 vcc, s33, v23
                                        ; implicit-def: $sgpr46_sgpr47
	s_and_saveexec_b64 s[48:49], vcc
	s_xor_b64 s[48:49], exec, s[48:49]
; %bb.40:                               ;   in Loop: Header=BB9_38 Depth=3
	v_add_u32_e32 v6, 1, v22
	v_and_b32_e32 v22, 0x7f, v6
	s_mov_b64 s[46:47], -1
                                        ; implicit-def: $vgpr6
; %bb.41:                               ;   in Loop: Header=BB9_38 Depth=3
	s_andn2_saveexec_b64 s[48:49], s[48:49]
	s_cbranch_execz .LBB9_45
; %bb.42:                               ;   in Loop: Header=BB9_38 Depth=3
	v_mov_b32_e32 v23, s33
	ds_cmpst_rtn_b32 v23, v6, v23, v5
	s_mov_b64 s[50:51], -1
	s_waitcnt lgkmcnt(0)
	v_cmp_eq_u32_e32 vcc, s33, v23
	s_and_saveexec_b64 s[52:53], vcc
	s_cbranch_execz .LBB9_44
; %bb.43:                               ;   in Loop: Header=BB9_38 Depth=3
	v_mad_u64_u32 v[24:25], s[50:51], v22, 12, v[6:7]
	ds_add_f32 v24, v21 offset:516
	s_xor_b64 s[50:51], exec, -1
.LBB9_44:                               ;   in Loop: Header=BB9_38 Depth=3
	s_or_b64 exec, exec, s[52:53]
	s_andn2_b64 s[46:47], s[46:47], exec
	s_and_b64 s[50:51], s[50:51], exec
	s_or_b64 s[46:47], s[46:47], s[50:51]
.LBB9_45:                               ;   in Loop: Header=BB9_38 Depth=3
	s_or_b64 exec, exec, s[48:49]
	s_and_b64 s[46:47], s[46:47], exec
                                        ; implicit-def: $vgpr6
.LBB9_46:                               ;   in Loop: Header=BB9_38 Depth=3
	s_andn2_saveexec_b64 s[44:45], s[44:45]
	s_cbranch_execz .LBB9_37
; %bb.47:                               ;   in Loop: Header=BB9_38 Depth=3
	v_mad_u64_u32 v[24:25], s[48:49], v22, 12, v[6:7]
	ds_add_f32 v24, v21 offset:516
	s_andn2_b64 s[46:47], s[46:47], exec
	s_branch .LBB9_37
.LBB9_48:                               ;   in Loop: Header=BB9_24 Depth=2
	s_or_b64 exec, exec, s[34:35]
	v_mul_f32_e32 v20, v12, v20
	v_fmac_f32_e32 v20, v13, v19
	s_mov_b64 s[34:35], 0
	v_mov_b32_e32 v19, v16
	s_branch .LBB9_50
.LBB9_49:                               ;   in Loop: Header=BB9_50 Depth=3
	s_or_b64 exec, exec, s[44:45]
	s_xor_b64 s[44:45], s[46:47], -1
	s_and_b64 s[44:45], exec, s[44:45]
	s_or_b64 s[34:35], s[44:45], s[34:35]
	s_andn2_b64 exec, exec, s[34:35]
	s_cbranch_execz .LBB9_60
.LBB9_50:                               ;   Parent Loop BB9_21 Depth=1
                                        ;     Parent Loop BB9_24 Depth=2
                                        ; =>    This Inner Loop Header: Depth=3
	v_lshl_add_u32 v6, v19, 2, 0
	ds_read_b32 v21, v6
                                        ; implicit-def: $sgpr46_sgpr47
	s_waitcnt lgkmcnt(0)
	v_cmp_ne_u32_e32 vcc, v21, v5
	s_and_saveexec_b64 s[44:45], vcc
	s_xor_b64 s[44:45], exec, s[44:45]
	s_cbranch_execz .LBB9_58
; %bb.51:                               ;   in Loop: Header=BB9_50 Depth=3
	v_cmp_ne_u32_e32 vcc, s33, v21
                                        ; implicit-def: $sgpr46_sgpr47
	s_and_saveexec_b64 s[48:49], vcc
	s_xor_b64 s[48:49], exec, s[48:49]
; %bb.52:                               ;   in Loop: Header=BB9_50 Depth=3
	v_add_u32_e32 v6, 1, v19
	v_and_b32_e32 v19, 0x7f, v6
	s_mov_b64 s[46:47], -1
                                        ; implicit-def: $vgpr6
; %bb.53:                               ;   in Loop: Header=BB9_50 Depth=3
	s_andn2_saveexec_b64 s[48:49], s[48:49]
	s_cbranch_execz .LBB9_57
; %bb.54:                               ;   in Loop: Header=BB9_50 Depth=3
	v_mov_b32_e32 v21, s33
	ds_cmpst_rtn_b32 v21, v6, v21, v5
	s_mov_b64 s[50:51], -1
	s_waitcnt lgkmcnt(0)
	v_cmp_eq_u32_e32 vcc, s33, v21
	s_and_saveexec_b64 s[52:53], vcc
	s_cbranch_execz .LBB9_56
; %bb.55:                               ;   in Loop: Header=BB9_50 Depth=3
	v_mad_u64_u32 v[22:23], s[50:51], v19, 12, v[6:7]
	ds_add_f32 v22, v20 offset:520
	s_xor_b64 s[50:51], exec, -1
.LBB9_56:                               ;   in Loop: Header=BB9_50 Depth=3
	s_or_b64 exec, exec, s[52:53]
	s_andn2_b64 s[46:47], s[46:47], exec
	s_and_b64 s[50:51], s[50:51], exec
	s_or_b64 s[46:47], s[46:47], s[50:51]
.LBB9_57:                               ;   in Loop: Header=BB9_50 Depth=3
	s_or_b64 exec, exec, s[48:49]
	s_and_b64 s[46:47], s[46:47], exec
                                        ; implicit-def: $vgpr6
.LBB9_58:                               ;   in Loop: Header=BB9_50 Depth=3
	s_andn2_saveexec_b64 s[44:45], s[44:45]
	s_cbranch_execz .LBB9_49
; %bb.59:                               ;   in Loop: Header=BB9_50 Depth=3
	v_mad_u64_u32 v[22:23], s[48:49], v19, 12, v[6:7]
	ds_add_f32 v22, v20 offset:520
	s_andn2_b64 s[46:47], s[46:47], exec
	s_branch .LBB9_49
.LBB9_60:                               ;   in Loop: Header=BB9_24 Depth=2
	s_or_b64 exec, exec, s[34:35]
	v_mul_f32_e32 v18, v12, v18
	v_fmac_f32_e32 v18, v13, v17
	s_mov_b64 s[34:35], 0
	s_branch .LBB9_62
.LBB9_61:                               ;   in Loop: Header=BB9_62 Depth=3
	s_or_b64 exec, exec, s[44:45]
	s_xor_b64 s[44:45], s[46:47], -1
	s_and_b64 s[44:45], exec, s[44:45]
	s_or_b64 s[34:35], s[44:45], s[34:35]
	s_andn2_b64 exec, exec, s[34:35]
	s_cbranch_execz .LBB9_23
.LBB9_62:                               ;   Parent Loop BB9_21 Depth=1
                                        ;     Parent Loop BB9_24 Depth=2
                                        ; =>    This Inner Loop Header: Depth=3
	v_lshl_add_u32 v6, v16, 2, 0
	ds_read_b32 v17, v6
                                        ; implicit-def: $sgpr46_sgpr47
	s_waitcnt lgkmcnt(0)
	v_cmp_ne_u32_e32 vcc, v17, v5
	s_and_saveexec_b64 s[44:45], vcc
	s_xor_b64 s[44:45], exec, s[44:45]
	s_cbranch_execz .LBB9_70
; %bb.63:                               ;   in Loop: Header=BB9_62 Depth=3
	v_cmp_ne_u32_e32 vcc, s33, v17
                                        ; implicit-def: $sgpr46_sgpr47
	s_and_saveexec_b64 s[48:49], vcc
	s_xor_b64 s[48:49], exec, s[48:49]
; %bb.64:                               ;   in Loop: Header=BB9_62 Depth=3
	v_add_u32_e32 v6, 1, v16
	v_and_b32_e32 v16, 0x7f, v6
	s_mov_b64 s[46:47], -1
                                        ; implicit-def: $vgpr6
; %bb.65:                               ;   in Loop: Header=BB9_62 Depth=3
	s_andn2_saveexec_b64 s[48:49], s[48:49]
	s_cbranch_execz .LBB9_69
; %bb.66:                               ;   in Loop: Header=BB9_62 Depth=3
	v_mov_b32_e32 v17, s33
	ds_cmpst_rtn_b32 v17, v6, v17, v5
	s_mov_b64 s[50:51], -1
	s_waitcnt lgkmcnt(0)
	v_cmp_eq_u32_e32 vcc, s33, v17
	s_and_saveexec_b64 s[52:53], vcc
	s_cbranch_execz .LBB9_68
; %bb.67:                               ;   in Loop: Header=BB9_62 Depth=3
	v_mad_u64_u32 v[20:21], s[50:51], v16, 12, v[6:7]
	ds_add_f32 v20, v18 offset:524
	s_xor_b64 s[50:51], exec, -1
.LBB9_68:                               ;   in Loop: Header=BB9_62 Depth=3
	s_or_b64 exec, exec, s[52:53]
	s_andn2_b64 s[46:47], s[46:47], exec
	s_and_b64 s[50:51], s[50:51], exec
	s_or_b64 s[46:47], s[46:47], s[50:51]
.LBB9_69:                               ;   in Loop: Header=BB9_62 Depth=3
	s_or_b64 exec, exec, s[48:49]
	s_and_b64 s[46:47], s[46:47], exec
                                        ; implicit-def: $vgpr6
.LBB9_70:                               ;   in Loop: Header=BB9_62 Depth=3
	s_andn2_saveexec_b64 s[44:45], s[44:45]
	s_cbranch_execz .LBB9_61
; %bb.71:                               ;   in Loop: Header=BB9_62 Depth=3
	v_mad_u64_u32 v[20:21], s[48:49], v16, 12, v[6:7]
	ds_add_f32 v20, v18 offset:524
	s_andn2_b64 s[46:47], s[46:47], exec
	s_branch .LBB9_61
.LBB9_72:
	s_or_b64 exec, exec, s[4:5]
.LBB9_73:
	s_andn2_b64 vcc, exec, s[2:3]
	s_waitcnt lgkmcnt(0)
	s_barrier
	s_cbranch_vccnz .LBB9_126
; %bb.74:
	s_lshl_b64 s[2:3], s[6:7], 2
	s_add_u32 s2, s12, s2
	s_addc_u32 s3, s13, s3
	s_load_dwordx2 s[2:3], s[2:3], 0x0
	v_subrev_u32_e32 v2, s39, v0
	s_waitcnt lgkmcnt(0)
	s_sub_i32 s26, s3, s39
	v_add_u32_e32 v2, s2, v2
	v_cmp_gt_i32_e32 vcc, s26, v2
	s_and_saveexec_b64 s[2:3], vcc
	s_cbranch_execz .LBB9_125
; %bb.75:
	s_cmp_eq_u32 s54, 0
	s_cselect_b32 s27, 1, 2
	s_cselect_b32 s34, 2, 1
	s_mov_b64 s[4:5], 0
	v_mov_b32_e32 v5, s17
	v_mov_b32_e32 v6, s15
	s_branch .LBB9_77
.LBB9_76:                               ;   in Loop: Header=BB9_77 Depth=1
	s_or_b64 exec, exec, s[8:9]
	v_add_u32_e32 v2, 0x100, v2
	v_cmp_le_i32_e32 vcc, s26, v2
	s_or_b64 s[4:5], vcc, s[4:5]
	s_andn2_b64 exec, exec, s[4:5]
	s_cbranch_execz .LBB9_125
.LBB9_77:                               ; =>This Loop Header: Depth=1
                                        ;     Child Loop BB9_79 Depth 2
                                        ;     Child Loop BB9_91 Depth 2
	;; [unrolled: 1-line block ×4, first 2 shown]
	v_lshlrev_b32_e32 v8, 2, v2
	v_ashrrev_i32_e32 v9, 31, v8
	v_or_b32_e32 v10, s27, v8
	v_or_b32_e32 v12, s34, v8
	v_lshlrev_b64 v[8:9], 2, v[8:9]
	v_add_co_u32_e32 v14, vcc, s16, v8
	v_ashrrev_i32_e32 v11, 31, v10
	v_addc_co_u32_e32 v15, vcc, v5, v9, vcc
	v_lshlrev_b64 v[8:9], 2, v[10:11]
	v_add_co_u32_e32 v16, vcc, s16, v8
	v_ashrrev_i32_e32 v3, 31, v2
	v_addc_co_u32_e32 v17, vcc, v5, v9, vcc
	;; [unrolled: 4-line block ×3, first 2 shown]
	v_lshlrev_b64 v[8:9], 2, v[12:13]
	global_load_dword v3, v[10:11], off
	global_load_dword v4, v[14:15], off
	v_add_co_u32_e32 v12, vcc, s16, v8
	v_addc_co_u32_e32 v13, vcc, v5, v9, vcc
	global_load_dword v10, v[12:13], off
	global_load_dword v11, v[16:17], off
	global_load_dword v9, v[14:15], off offset:12
	s_mov_b64 s[8:9], 0
	s_waitcnt vmcnt(4)
	v_subrev_u32_e32 v3, s39, v3
	s_waitcnt vmcnt(3)
	v_mul_f32_e32 v12, v7, v4
	v_lshl_add_u32 v4, v3, 3, v3
	v_and_b32_e32 v8, 0x7f, v4
	v_mov_b32_e32 v13, v8
	s_branch .LBB9_79
.LBB9_78:                               ;   in Loop: Header=BB9_79 Depth=2
	s_or_b64 exec, exec, s[10:11]
	s_xor_b64 s[10:11], s[12:13], -1
	s_and_b64 s[10:11], exec, s[10:11]
	s_or_b64 s[8:9], s[10:11], s[8:9]
	s_andn2_b64 exec, exec, s[8:9]
	s_cbranch_execz .LBB9_89
.LBB9_79:                               ;   Parent Loop BB9_77 Depth=1
                                        ; =>  This Inner Loop Header: Depth=2
	v_lshl_add_u32 v4, v13, 2, 0
	ds_read_b32 v14, v4
                                        ; implicit-def: $sgpr12_sgpr13
	s_waitcnt lgkmcnt(0)
	v_cmp_ne_u32_e32 vcc, v14, v3
	s_and_saveexec_b64 s[10:11], vcc
	s_xor_b64 s[10:11], exec, s[10:11]
	s_cbranch_execz .LBB9_87
; %bb.80:                               ;   in Loop: Header=BB9_79 Depth=2
	v_cmp_ne_u32_e32 vcc, s33, v14
                                        ; implicit-def: $sgpr12_sgpr13
	s_and_saveexec_b64 s[20:21], vcc
	s_xor_b64 s[20:21], exec, s[20:21]
; %bb.81:                               ;   in Loop: Header=BB9_79 Depth=2
	v_add_u32_e32 v4, 1, v13
	v_and_b32_e32 v13, 0x7f, v4
	s_mov_b64 s[12:13], -1
                                        ; implicit-def: $vgpr4
; %bb.82:                               ;   in Loop: Header=BB9_79 Depth=2
	s_andn2_saveexec_b64 s[20:21], s[20:21]
	s_cbranch_execz .LBB9_86
; %bb.83:                               ;   in Loop: Header=BB9_79 Depth=2
	v_mov_b32_e32 v14, s33
	ds_cmpst_rtn_b32 v14, v4, v14, v3
	s_mov_b64 s[22:23], -1
	s_waitcnt lgkmcnt(0)
	v_cmp_eq_u32_e32 vcc, s33, v14
	s_and_saveexec_b64 s[24:25], vcc
	s_cbranch_execz .LBB9_85
; %bb.84:                               ;   in Loop: Header=BB9_79 Depth=2
	v_mad_u64_u32 v[14:15], s[22:23], v13, 12, v[4:5]
	ds_add_f32 v14, v12 offset:512
	s_xor_b64 s[22:23], exec, -1
.LBB9_85:                               ;   in Loop: Header=BB9_79 Depth=2
	s_or_b64 exec, exec, s[24:25]
	s_andn2_b64 s[12:13], s[12:13], exec
	s_and_b64 s[22:23], s[22:23], exec
	s_or_b64 s[12:13], s[12:13], s[22:23]
.LBB9_86:                               ;   in Loop: Header=BB9_79 Depth=2
	s_or_b64 exec, exec, s[20:21]
	s_and_b64 s[12:13], s[12:13], exec
                                        ; implicit-def: $vgpr4
.LBB9_87:                               ;   in Loop: Header=BB9_79 Depth=2
	s_andn2_saveexec_b64 s[10:11], s[10:11]
	s_cbranch_execz .LBB9_78
; %bb.88:                               ;   in Loop: Header=BB9_79 Depth=2
	v_mad_u64_u32 v[14:15], s[20:21], v13, 12, v[4:5]
	ds_add_f32 v14, v12 offset:512
	s_andn2_b64 s[12:13], s[12:13], exec
	s_branch .LBB9_78
.LBB9_89:                               ;   in Loop: Header=BB9_77 Depth=1
	s_or_b64 exec, exec, s[8:9]
	s_waitcnt vmcnt(1)
	v_mul_f32_e32 v11, v7, v11
	s_mov_b64 s[8:9], 0
	v_mov_b32_e32 v12, v8
	s_branch .LBB9_91
.LBB9_90:                               ;   in Loop: Header=BB9_91 Depth=2
	s_or_b64 exec, exec, s[10:11]
	s_xor_b64 s[10:11], s[12:13], -1
	s_and_b64 s[10:11], exec, s[10:11]
	s_or_b64 s[8:9], s[10:11], s[8:9]
	s_andn2_b64 exec, exec, s[8:9]
	s_cbranch_execz .LBB9_101
.LBB9_91:                               ;   Parent Loop BB9_77 Depth=1
                                        ; =>  This Inner Loop Header: Depth=2
	v_lshl_add_u32 v4, v12, 2, 0
	ds_read_b32 v13, v4
                                        ; implicit-def: $sgpr12_sgpr13
	s_waitcnt lgkmcnt(0)
	v_cmp_ne_u32_e32 vcc, v13, v3
	s_and_saveexec_b64 s[10:11], vcc
	s_xor_b64 s[10:11], exec, s[10:11]
	s_cbranch_execz .LBB9_99
; %bb.92:                               ;   in Loop: Header=BB9_91 Depth=2
	v_cmp_ne_u32_e32 vcc, s33, v13
                                        ; implicit-def: $sgpr12_sgpr13
	s_and_saveexec_b64 s[20:21], vcc
	s_xor_b64 s[20:21], exec, s[20:21]
; %bb.93:                               ;   in Loop: Header=BB9_91 Depth=2
	v_add_u32_e32 v4, 1, v12
	v_and_b32_e32 v12, 0x7f, v4
	s_mov_b64 s[12:13], -1
                                        ; implicit-def: $vgpr4
; %bb.94:                               ;   in Loop: Header=BB9_91 Depth=2
	s_andn2_saveexec_b64 s[20:21], s[20:21]
	s_cbranch_execz .LBB9_98
; %bb.95:                               ;   in Loop: Header=BB9_91 Depth=2
	v_mov_b32_e32 v13, s33
	ds_cmpst_rtn_b32 v13, v4, v13, v3
	s_mov_b64 s[22:23], -1
	s_waitcnt lgkmcnt(0)
	v_cmp_eq_u32_e32 vcc, s33, v13
	s_and_saveexec_b64 s[24:25], vcc
	s_cbranch_execz .LBB9_97
; %bb.96:                               ;   in Loop: Header=BB9_91 Depth=2
	v_mad_u64_u32 v[14:15], s[22:23], v12, 12, v[4:5]
	ds_add_f32 v14, v11 offset:516
	s_xor_b64 s[22:23], exec, -1
.LBB9_97:                               ;   in Loop: Header=BB9_91 Depth=2
	s_or_b64 exec, exec, s[24:25]
	s_andn2_b64 s[12:13], s[12:13], exec
	s_and_b64 s[22:23], s[22:23], exec
	s_or_b64 s[12:13], s[12:13], s[22:23]
.LBB9_98:                               ;   in Loop: Header=BB9_91 Depth=2
	s_or_b64 exec, exec, s[20:21]
	s_and_b64 s[12:13], s[12:13], exec
                                        ; implicit-def: $vgpr4
.LBB9_99:                               ;   in Loop: Header=BB9_91 Depth=2
	s_andn2_saveexec_b64 s[10:11], s[10:11]
	s_cbranch_execz .LBB9_90
; %bb.100:                              ;   in Loop: Header=BB9_91 Depth=2
	v_mad_u64_u32 v[14:15], s[20:21], v12, 12, v[4:5]
	ds_add_f32 v14, v11 offset:516
	s_andn2_b64 s[12:13], s[12:13], exec
	s_branch .LBB9_90
.LBB9_101:                              ;   in Loop: Header=BB9_77 Depth=1
	s_or_b64 exec, exec, s[8:9]
	v_mul_f32_e32 v10, v7, v10
	s_mov_b64 s[8:9], 0
	v_mov_b32_e32 v11, v8
	s_branch .LBB9_103
.LBB9_102:                              ;   in Loop: Header=BB9_103 Depth=2
	s_or_b64 exec, exec, s[10:11]
	s_xor_b64 s[10:11], s[12:13], -1
	s_and_b64 s[10:11], exec, s[10:11]
	s_or_b64 s[8:9], s[10:11], s[8:9]
	s_andn2_b64 exec, exec, s[8:9]
	s_cbranch_execz .LBB9_113
.LBB9_103:                              ;   Parent Loop BB9_77 Depth=1
                                        ; =>  This Inner Loop Header: Depth=2
	v_lshl_add_u32 v4, v11, 2, 0
	ds_read_b32 v12, v4
                                        ; implicit-def: $sgpr12_sgpr13
	s_waitcnt lgkmcnt(0)
	v_cmp_ne_u32_e32 vcc, v12, v3
	s_and_saveexec_b64 s[10:11], vcc
	s_xor_b64 s[10:11], exec, s[10:11]
	s_cbranch_execz .LBB9_111
; %bb.104:                              ;   in Loop: Header=BB9_103 Depth=2
	v_cmp_ne_u32_e32 vcc, s33, v12
                                        ; implicit-def: $sgpr12_sgpr13
	s_and_saveexec_b64 s[20:21], vcc
	s_xor_b64 s[20:21], exec, s[20:21]
; %bb.105:                              ;   in Loop: Header=BB9_103 Depth=2
	v_add_u32_e32 v4, 1, v11
	v_and_b32_e32 v11, 0x7f, v4
	s_mov_b64 s[12:13], -1
                                        ; implicit-def: $vgpr4
; %bb.106:                              ;   in Loop: Header=BB9_103 Depth=2
	s_andn2_saveexec_b64 s[20:21], s[20:21]
	s_cbranch_execz .LBB9_110
; %bb.107:                              ;   in Loop: Header=BB9_103 Depth=2
	v_mov_b32_e32 v12, s33
	ds_cmpst_rtn_b32 v12, v4, v12, v3
	s_mov_b64 s[22:23], -1
	s_waitcnt lgkmcnt(0)
	v_cmp_eq_u32_e32 vcc, s33, v12
	s_and_saveexec_b64 s[24:25], vcc
	s_cbranch_execz .LBB9_109
; %bb.108:                              ;   in Loop: Header=BB9_103 Depth=2
	v_mad_u64_u32 v[12:13], s[22:23], v11, 12, v[4:5]
	ds_add_f32 v12, v10 offset:520
	s_xor_b64 s[22:23], exec, -1
.LBB9_109:                              ;   in Loop: Header=BB9_103 Depth=2
	s_or_b64 exec, exec, s[24:25]
	s_andn2_b64 s[12:13], s[12:13], exec
	s_and_b64 s[22:23], s[22:23], exec
	s_or_b64 s[12:13], s[12:13], s[22:23]
.LBB9_110:                              ;   in Loop: Header=BB9_103 Depth=2
	s_or_b64 exec, exec, s[20:21]
	s_and_b64 s[12:13], s[12:13], exec
                                        ; implicit-def: $vgpr4
.LBB9_111:                              ;   in Loop: Header=BB9_103 Depth=2
	s_andn2_saveexec_b64 s[10:11], s[10:11]
	s_cbranch_execz .LBB9_102
; %bb.112:                              ;   in Loop: Header=BB9_103 Depth=2
	v_mad_u64_u32 v[12:13], s[20:21], v11, 12, v[4:5]
	ds_add_f32 v12, v10 offset:520
	s_andn2_b64 s[12:13], s[12:13], exec
	s_branch .LBB9_102
.LBB9_113:                              ;   in Loop: Header=BB9_77 Depth=1
	s_or_b64 exec, exec, s[8:9]
	s_waitcnt vmcnt(0)
	v_mul_f32_e32 v9, v7, v9
	s_mov_b64 s[8:9], 0
	s_branch .LBB9_115
.LBB9_114:                              ;   in Loop: Header=BB9_115 Depth=2
	s_or_b64 exec, exec, s[10:11]
	s_xor_b64 s[10:11], s[12:13], -1
	s_and_b64 s[10:11], exec, s[10:11]
	s_or_b64 s[8:9], s[10:11], s[8:9]
	s_andn2_b64 exec, exec, s[8:9]
	s_cbranch_execz .LBB9_76
.LBB9_115:                              ;   Parent Loop BB9_77 Depth=1
                                        ; =>  This Inner Loop Header: Depth=2
	v_lshl_add_u32 v4, v8, 2, 0
	ds_read_b32 v10, v4
                                        ; implicit-def: $sgpr12_sgpr13
	s_waitcnt lgkmcnt(0)
	v_cmp_ne_u32_e32 vcc, v10, v3
	s_and_saveexec_b64 s[10:11], vcc
	s_xor_b64 s[10:11], exec, s[10:11]
	s_cbranch_execz .LBB9_123
; %bb.116:                              ;   in Loop: Header=BB9_115 Depth=2
	v_cmp_ne_u32_e32 vcc, s33, v10
                                        ; implicit-def: $sgpr12_sgpr13
	s_and_saveexec_b64 s[20:21], vcc
	s_xor_b64 s[20:21], exec, s[20:21]
; %bb.117:                              ;   in Loop: Header=BB9_115 Depth=2
	v_add_u32_e32 v4, 1, v8
	v_and_b32_e32 v8, 0x7f, v4
	s_mov_b64 s[12:13], -1
                                        ; implicit-def: $vgpr4
; %bb.118:                              ;   in Loop: Header=BB9_115 Depth=2
	s_andn2_saveexec_b64 s[20:21], s[20:21]
	s_cbranch_execz .LBB9_122
; %bb.119:                              ;   in Loop: Header=BB9_115 Depth=2
	v_mov_b32_e32 v10, s33
	ds_cmpst_rtn_b32 v10, v4, v10, v3
	s_mov_b64 s[22:23], -1
	s_waitcnt lgkmcnt(0)
	v_cmp_eq_u32_e32 vcc, s33, v10
	s_and_saveexec_b64 s[24:25], vcc
	s_cbranch_execz .LBB9_121
; %bb.120:                              ;   in Loop: Header=BB9_115 Depth=2
	v_mad_u64_u32 v[10:11], s[22:23], v8, 12, v[4:5]
	ds_add_f32 v10, v9 offset:524
	s_xor_b64 s[22:23], exec, -1
.LBB9_121:                              ;   in Loop: Header=BB9_115 Depth=2
	s_or_b64 exec, exec, s[24:25]
	s_andn2_b64 s[12:13], s[12:13], exec
	s_and_b64 s[22:23], s[22:23], exec
	s_or_b64 s[12:13], s[12:13], s[22:23]
.LBB9_122:                              ;   in Loop: Header=BB9_115 Depth=2
	s_or_b64 exec, exec, s[20:21]
	s_and_b64 s[12:13], s[12:13], exec
                                        ; implicit-def: $vgpr4
.LBB9_123:                              ;   in Loop: Header=BB9_115 Depth=2
	s_andn2_saveexec_b64 s[10:11], s[10:11]
	s_cbranch_execz .LBB9_114
; %bb.124:                              ;   in Loop: Header=BB9_115 Depth=2
	v_mad_u64_u32 v[10:11], s[20:21], v8, 12, v[4:5]
	ds_add_f32 v10, v9 offset:524
	s_andn2_b64 s[12:13], s[12:13], exec
	s_branch .LBB9_114
.LBB9_125:
	s_or_b64 exec, exec, s[2:3]
.LBB9_126:
	s_waitcnt lgkmcnt(0)
	s_barrier
	s_and_saveexec_b64 s[2:3], s[0:1]
	s_cbranch_execz .LBB9_129
; %bb.127:
	ds_read_b32 v1, v1
	s_waitcnt lgkmcnt(0)
	v_cmp_gt_i32_e32 vcc, s33, v1
	s_and_b64 exec, exec, vcc
	s_cbranch_execz .LBB9_129
; %bb.128:
	s_lshl_b64 s[0:1], s[6:7], 2
	s_add_u32 s0, s18, s0
	s_addc_u32 s1, s19, s1
	v_mov_b32_e32 v2, 0
	s_load_dword s1, s[0:1], 0x0
	ds_read2_b32 v[4:5], v2 offset1:1
	ds_read2_b32 v[6:7], v2 offset0:2 offset1:3
	ds_read2_b32 v[8:9], v2 offset0:4 offset1:5
	;; [unrolled: 1-line block ×3, first 2 shown]
	s_add_i32 s0, 0, 0x200
	s_waitcnt lgkmcnt(0)
	s_sub_i32 s1, s1, s38
	v_cmp_gt_i32_e32 vcc, v1, v4
	v_cndmask_b32_e64 v3, 0, 1, vcc
	v_mov_b32_e32 v4, s1
	v_cmp_gt_i32_e32 vcc, v1, v5
	v_addc_co_u32_e32 v3, vcc, v4, v3, vcc
	v_cmp_gt_i32_e32 vcc, v1, v6
	v_cndmask_b32_e64 v4, 0, 1, vcc
	v_cmp_gt_i32_e32 vcc, v1, v7
	v_addc_co_u32_e32 v3, vcc, v3, v4, vcc
	v_cmp_gt_i32_e32 vcc, v1, v8
	v_cndmask_b32_e64 v4, 0, 1, vcc
	v_cmp_gt_i32_e32 vcc, v1, v9
	v_addc_co_u32_e32 v3, vcc, v3, v4, vcc
	ds_read2_b32 v[4:5], v2 offset0:8 offset1:9
	v_cmp_gt_i32_e32 vcc, v1, v10
	v_cndmask_b32_e64 v6, 0, 1, vcc
	v_cmp_gt_i32_e32 vcc, v1, v11
	v_addc_co_u32_e32 v3, vcc, v3, v6, vcc
	ds_read2_b32 v[6:7], v2 offset0:10 offset1:11
	ds_read2_b32 v[8:9], v2 offset0:12 offset1:13
	ds_read2_b32 v[10:11], v2 offset0:14 offset1:15
	s_waitcnt lgkmcnt(3)
	v_cmp_gt_i32_e32 vcc, v1, v4
	v_cndmask_b32_e64 v4, 0, 1, vcc
	v_cmp_gt_i32_e32 vcc, v1, v5
	v_addc_co_u32_e32 v3, vcc, v3, v4, vcc
	s_waitcnt lgkmcnt(2)
	v_cmp_gt_i32_e32 vcc, v1, v6
	v_cndmask_b32_e64 v4, 0, 1, vcc
	v_cmp_gt_i32_e32 vcc, v1, v7
	v_addc_co_u32_e32 v3, vcc, v3, v4, vcc
	s_waitcnt lgkmcnt(1)
	v_cmp_gt_i32_e32 vcc, v1, v8
	v_cndmask_b32_e64 v4, 0, 1, vcc
	v_cmp_gt_i32_e32 vcc, v1, v9
	v_addc_co_u32_e32 v3, vcc, v3, v4, vcc
	ds_read2_b32 v[4:5], v2 offset0:16 offset1:17
	s_waitcnt lgkmcnt(1)
	v_cmp_gt_i32_e32 vcc, v1, v10
	v_cndmask_b32_e64 v6, 0, 1, vcc
	v_cmp_gt_i32_e32 vcc, v1, v11
	v_addc_co_u32_e32 v3, vcc, v3, v6, vcc
	ds_read2_b32 v[6:7], v2 offset0:18 offset1:19
	ds_read2_b32 v[8:9], v2 offset0:20 offset1:21
	ds_read2_b32 v[10:11], v2 offset0:22 offset1:23
	s_waitcnt lgkmcnt(3)
	v_cmp_gt_i32_e32 vcc, v1, v4
	v_cndmask_b32_e64 v4, 0, 1, vcc
	v_cmp_gt_i32_e32 vcc, v1, v5
	v_addc_co_u32_e32 v3, vcc, v3, v4, vcc
	s_waitcnt lgkmcnt(2)
	v_cmp_gt_i32_e32 vcc, v1, v6
	v_cndmask_b32_e64 v4, 0, 1, vcc
	v_cmp_gt_i32_e32 vcc, v1, v7
	v_addc_co_u32_e32 v3, vcc, v3, v4, vcc
	s_waitcnt lgkmcnt(1)
	v_cmp_gt_i32_e32 vcc, v1, v8
	v_cndmask_b32_e64 v4, 0, 1, vcc
	v_cmp_gt_i32_e32 vcc, v1, v9
	v_addc_co_u32_e32 v3, vcc, v3, v4, vcc
	ds_read2_b32 v[4:5], v2 offset0:24 offset1:25
	s_waitcnt lgkmcnt(1)
	;; [unrolled: 24-line block ×14, first 2 shown]
	v_cmp_gt_i32_e32 vcc, v1, v10
	v_cndmask_b32_e64 v6, 0, 1, vcc
	v_cmp_gt_i32_e32 vcc, v1, v11
	v_addc_co_u32_e32 v10, vcc, v3, v6, vcc
	ds_read2_b32 v[6:7], v2 offset0:122 offset1:123
	ds_read2_b32 v[8:9], v2 offset0:124 offset1:125
	;; [unrolled: 1-line block ×3, first 2 shown]
	s_waitcnt lgkmcnt(3)
	v_cmp_gt_i32_e32 vcc, v1, v4
	v_cndmask_b32_e64 v4, 0, 1, vcc
	v_cmp_gt_i32_e32 vcc, v1, v5
	v_addc_co_u32_e32 v4, vcc, v10, v4, vcc
	s_waitcnt lgkmcnt(2)
	v_cmp_gt_i32_e32 vcc, v1, v6
	v_cndmask_b32_e64 v5, 0, 1, vcc
	v_cmp_gt_i32_e32 vcc, v1, v7
	v_addc_co_u32_e32 v4, vcc, v4, v5, vcc
	;; [unrolled: 5-line block ×4, first 2 shown]
	v_ashrrev_i32_e32 v3, 31, v2
	v_lshlrev_b64 v[4:5], 2, v[2:3]
	v_mov_b32_e32 v3, s29
	v_add_co_u32_e32 v4, vcc, s28, v4
	v_lshlrev_b32_e32 v2, 2, v2
	s_cmp_eq_u32 s54, 0
	v_add_u32_e32 v1, s38, v1
	v_addc_co_u32_e32 v5, vcc, v3, v5, vcc
	v_lshlrev_b32_e32 v6, 4, v0
	v_ashrrev_i32_e32 v3, 31, v2
	global_store_dword v[4:5], v1, off
	v_lshlrev_b32_e32 v1, 2, v0
	v_lshlrev_b64 v[4:5], 2, v[2:3]
	v_add_u32_e32 v3, s0, v6
	s_cselect_b32 s0, 1, 2
	s_cselect_b32 s1, 2, 1
	v_or_b32_e32 v2, s0, v1
	v_or_b32_e32 v1, s1, v1
	v_add_u32_e32 v0, 0, v6
	v_lshl_add_u32 v1, v1, 2, 0
	ds_read_b32 v0, v0 offset:512
	v_lshl_add_u32 v6, v2, 2, 0
	ds_read_b32 v2, v1 offset:512
	ds_read_b32 v1, v6 offset:512
	;; [unrolled: 1-line block ×3, first 2 shown]
	v_mov_b32_e32 v7, s31
	v_add_co_u32_e32 v4, vcc, s30, v4
	v_addc_co_u32_e32 v5, vcc, v7, v5, vcc
	s_waitcnt lgkmcnt(0)
	global_store_dwordx4 v[4:5], v[0:3], off
.LBB9_129:
	s_endpgm
	.section	.rodata,"a",@progbits
	.p2align	6, 0x0
	.amdhsa_kernel _ZN9rocsparseL30bsrgemm_fill_block_per_row_2x2ILj256ELj16ELj128ELj137EiifEEv20rocsparse_direction_T4_S2_PKS2_S4_NS_24const_host_device_scalarIT5_EEPKT3_S4_PKS6_SA_S4_SC_S7_SA_S4_SC_SA_PS2_PS6_21rocsparse_index_base_SF_SF_SF_bbb
		.amdhsa_group_segment_fixed_size 0
		.amdhsa_private_segment_fixed_size 0
		.amdhsa_kernarg_size 164
		.amdhsa_user_sgpr_count 6
		.amdhsa_user_sgpr_private_segment_buffer 1
		.amdhsa_user_sgpr_dispatch_ptr 0
		.amdhsa_user_sgpr_queue_ptr 0
		.amdhsa_user_sgpr_kernarg_segment_ptr 1
		.amdhsa_user_sgpr_dispatch_id 0
		.amdhsa_user_sgpr_flat_scratch_init 0
		.amdhsa_user_sgpr_kernarg_preload_length 0
		.amdhsa_user_sgpr_kernarg_preload_offset 0
		.amdhsa_user_sgpr_private_segment_size 0
		.amdhsa_uses_dynamic_stack 0
		.amdhsa_system_sgpr_private_segment_wavefront_offset 0
		.amdhsa_system_sgpr_workgroup_id_x 1
		.amdhsa_system_sgpr_workgroup_id_y 0
		.amdhsa_system_sgpr_workgroup_id_z 0
		.amdhsa_system_sgpr_workgroup_info 0
		.amdhsa_system_vgpr_workitem_id 0
		.amdhsa_next_free_vgpr 26
		.amdhsa_next_free_sgpr 58
		.amdhsa_accum_offset 28
		.amdhsa_reserve_vcc 1
		.amdhsa_reserve_flat_scratch 0
		.amdhsa_float_round_mode_32 0
		.amdhsa_float_round_mode_16_64 0
		.amdhsa_float_denorm_mode_32 3
		.amdhsa_float_denorm_mode_16_64 3
		.amdhsa_dx10_clamp 1
		.amdhsa_ieee_mode 1
		.amdhsa_fp16_overflow 0
		.amdhsa_tg_split 0
		.amdhsa_exception_fp_ieee_invalid_op 0
		.amdhsa_exception_fp_denorm_src 0
		.amdhsa_exception_fp_ieee_div_zero 0
		.amdhsa_exception_fp_ieee_overflow 0
		.amdhsa_exception_fp_ieee_underflow 0
		.amdhsa_exception_fp_ieee_inexact 0
		.amdhsa_exception_int_div_zero 0
	.end_amdhsa_kernel
	.section	.text._ZN9rocsparseL30bsrgemm_fill_block_per_row_2x2ILj256ELj16ELj128ELj137EiifEEv20rocsparse_direction_T4_S2_PKS2_S4_NS_24const_host_device_scalarIT5_EEPKT3_S4_PKS6_SA_S4_SC_S7_SA_S4_SC_SA_PS2_PS6_21rocsparse_index_base_SF_SF_SF_bbb,"axG",@progbits,_ZN9rocsparseL30bsrgemm_fill_block_per_row_2x2ILj256ELj16ELj128ELj137EiifEEv20rocsparse_direction_T4_S2_PKS2_S4_NS_24const_host_device_scalarIT5_EEPKT3_S4_PKS6_SA_S4_SC_S7_SA_S4_SC_SA_PS2_PS6_21rocsparse_index_base_SF_SF_SF_bbb,comdat
.Lfunc_end9:
	.size	_ZN9rocsparseL30bsrgemm_fill_block_per_row_2x2ILj256ELj16ELj128ELj137EiifEEv20rocsparse_direction_T4_S2_PKS2_S4_NS_24const_host_device_scalarIT5_EEPKT3_S4_PKS6_SA_S4_SC_S7_SA_S4_SC_SA_PS2_PS6_21rocsparse_index_base_SF_SF_SF_bbb, .Lfunc_end9-_ZN9rocsparseL30bsrgemm_fill_block_per_row_2x2ILj256ELj16ELj128ELj137EiifEEv20rocsparse_direction_T4_S2_PKS2_S4_NS_24const_host_device_scalarIT5_EEPKT3_S4_PKS6_SA_S4_SC_S7_SA_S4_SC_SA_PS2_PS6_21rocsparse_index_base_SF_SF_SF_bbb
                                        ; -- End function
	.section	.AMDGPU.csdata,"",@progbits
; Kernel info:
; codeLenInByte = 5388
; NumSgprs: 62
; NumVgprs: 26
; NumAgprs: 0
; TotalNumVgprs: 26
; ScratchSize: 0
; MemoryBound: 0
; FloatMode: 240
; IeeeMode: 1
; LDSByteSize: 0 bytes/workgroup (compile time only)
; SGPRBlocks: 7
; VGPRBlocks: 3
; NumSGPRsForWavesPerEU: 62
; NumVGPRsForWavesPerEU: 26
; AccumOffset: 28
; Occupancy: 8
; WaveLimiterHint : 1
; COMPUTE_PGM_RSRC2:SCRATCH_EN: 0
; COMPUTE_PGM_RSRC2:USER_SGPR: 6
; COMPUTE_PGM_RSRC2:TRAP_HANDLER: 0
; COMPUTE_PGM_RSRC2:TGID_X_EN: 1
; COMPUTE_PGM_RSRC2:TGID_Y_EN: 0
; COMPUTE_PGM_RSRC2:TGID_Z_EN: 0
; COMPUTE_PGM_RSRC2:TIDIG_COMP_CNT: 0
; COMPUTE_PGM_RSRC3_GFX90A:ACCUM_OFFSET: 6
; COMPUTE_PGM_RSRC3_GFX90A:TG_SPLIT: 0
	.section	.text._ZN9rocsparseL30bsrgemm_fill_block_per_row_2x2ILj256ELj16ELj256ELj137EiifEEv20rocsparse_direction_T4_S2_PKS2_S4_NS_24const_host_device_scalarIT5_EEPKT3_S4_PKS6_SA_S4_SC_S7_SA_S4_SC_SA_PS2_PS6_21rocsparse_index_base_SF_SF_SF_bbb,"axG",@progbits,_ZN9rocsparseL30bsrgemm_fill_block_per_row_2x2ILj256ELj16ELj256ELj137EiifEEv20rocsparse_direction_T4_S2_PKS2_S4_NS_24const_host_device_scalarIT5_EEPKT3_S4_PKS6_SA_S4_SC_S7_SA_S4_SC_SA_PS2_PS6_21rocsparse_index_base_SF_SF_SF_bbb,comdat
	.globl	_ZN9rocsparseL30bsrgemm_fill_block_per_row_2x2ILj256ELj16ELj256ELj137EiifEEv20rocsparse_direction_T4_S2_PKS2_S4_NS_24const_host_device_scalarIT5_EEPKT3_S4_PKS6_SA_S4_SC_S7_SA_S4_SC_SA_PS2_PS6_21rocsparse_index_base_SF_SF_SF_bbb ; -- Begin function _ZN9rocsparseL30bsrgemm_fill_block_per_row_2x2ILj256ELj16ELj256ELj137EiifEEv20rocsparse_direction_T4_S2_PKS2_S4_NS_24const_host_device_scalarIT5_EEPKT3_S4_PKS6_SA_S4_SC_S7_SA_S4_SC_SA_PS2_PS6_21rocsparse_index_base_SF_SF_SF_bbb
	.p2align	8
	.type	_ZN9rocsparseL30bsrgemm_fill_block_per_row_2x2ILj256ELj16ELj256ELj137EiifEEv20rocsparse_direction_T4_S2_PKS2_S4_NS_24const_host_device_scalarIT5_EEPKT3_S4_PKS6_SA_S4_SC_S7_SA_S4_SC_SA_PS2_PS6_21rocsparse_index_base_SF_SF_SF_bbb,@function
_ZN9rocsparseL30bsrgemm_fill_block_per_row_2x2ILj256ELj16ELj256ELj137EiifEEv20rocsparse_direction_T4_S2_PKS2_S4_NS_24const_host_device_scalarIT5_EEPKT3_S4_PKS6_SA_S4_SC_S7_SA_S4_SC_SA_PS2_PS6_21rocsparse_index_base_SF_SF_SF_bbb: ; @_ZN9rocsparseL30bsrgemm_fill_block_per_row_2x2ILj256ELj16ELj256ELj137EiifEEv20rocsparse_direction_T4_S2_PKS2_S4_NS_24const_host_device_scalarIT5_EEPKT3_S4_PKS6_SA_S4_SC_S7_SA_S4_SC_SA_PS2_PS6_21rocsparse_index_base_SF_SF_SF_bbb
; %bb.0:
	s_load_dword s7, s[4:5], 0xa0
	s_load_dwordx2 s[2:3], s[4:5], 0x20
	s_load_dwordx2 s[0:1], s[4:5], 0x58
	s_waitcnt lgkmcnt(0)
	s_bitcmp1_b32 s7, 0
	s_cselect_b64 s[8:9], -1, 0
	s_bitcmp1_b32 s7, 16
	s_cselect_b64 s[10:11], -1, 0
	s_xor_b64 s[12:13], s[8:9], -1
	s_or_b64 s[12:13], s[12:13], s[10:11]
	s_and_b64 vcc, exec, s[12:13]
	s_cbranch_vccnz .LBB10_2
; %bb.1:
	s_load_dword s2, s[2:3], 0x0
	s_waitcnt lgkmcnt(0)
	v_mov_b32_e32 v9, s2
	s_branch .LBB10_3
.LBB10_2:
	v_mov_b32_e32 v1, s2
	v_cndmask_b32_e64 v9, 0, v1, s[8:9]
.LBB10_3:
	s_load_dwordx4 s[36:39], s[4:5], 0x90
	s_bitcmp1_b32 s7, 8
	s_cselect_b64 s[2:3], -1, 0
	s_xor_b64 s[12:13], s[2:3], -1
	s_or_b64 s[10:11], s[12:13], s[10:11]
	s_and_b64 vcc, exec, s[10:11]
	s_cbranch_vccnz .LBB10_5
; %bb.4:
	s_load_dword s0, s[0:1], 0x0
	s_waitcnt lgkmcnt(0)
	v_mov_b32_e32 v1, s0
	s_branch .LBB10_6
.LBB10_5:
	v_mov_b32_e32 v1, s0
	v_cndmask_b32_e64 v1, 0, v1, s[2:3]
.LBB10_6:
	s_load_dwordx4 s[28:31], s[4:5], 0x80
	s_load_dwordx8 s[12:19], s[4:5], 0x60
	s_load_dwordx4 s[40:43], s[4:5], 0x48
	s_load_dwordx8 s[20:27], s[4:5], 0x28
	s_load_dwordx4 s[44:47], s[4:5], 0x10
	s_load_dword s54, s[4:5], 0x8
	s_movk_i32 s0, 0x100
	v_cmp_gt_u32_e64 s[0:1], s0, v0
	v_lshl_add_u32 v7, v0, 2, 0
	s_and_saveexec_b64 s[10:11], s[0:1]
	s_cbranch_execz .LBB10_8
; %bb.7:
	s_waitcnt lgkmcnt(0)
	v_mov_b32_e32 v2, s54
	ds_write_b32 v7, v2
.LBB10_8:
	s_or_b64 exec, exec, s[10:11]
	v_lshlrev_b32_e32 v8, 2, v0
	v_add_u32_e32 v2, 0, v8
	s_mov_b32 s7, 0
	v_add_u32_e32 v2, 0x400, v2
	s_mov_b64 s[10:11], 0
	v_mov_b32_e32 v3, 0
	s_branch .LBB10_10
.LBB10_9:                               ;   in Loop: Header=BB10_10 Depth=1
	s_or_b64 exec, exec, s[48:49]
	s_add_i32 s7, s7, 2
	v_cmp_eq_u32_e64 s[34:35], 4, s7
	s_or_b64 s[10:11], s[34:35], s[10:11]
	v_add_u32_e32 v2, 0x800, v2
	s_andn2_b64 exec, exec, s[10:11]
	s_cbranch_execz .LBB10_14
.LBB10_10:                              ; =>This Inner Loop Header: Depth=1
	s_or_b32 s33, s7, 1
	v_cmp_le_u32_e64 s[34:35], s33, 3
	v_cmp_le_u32_e64 s[50:51], s7, 3
	s_and_saveexec_b64 s[48:49], s[50:51]
	s_cbranch_execz .LBB10_12
; %bb.11:                               ;   in Loop: Header=BB10_10 Depth=1
	ds_write_b32 v2, v3
.LBB10_12:                              ;   in Loop: Header=BB10_10 Depth=1
	s_or_b64 exec, exec, s[48:49]
	s_and_saveexec_b64 s[48:49], s[34:35]
	s_cbranch_execz .LBB10_9
; %bb.13:                               ;   in Loop: Header=BB10_10 Depth=1
	ds_write_b32 v2, v3 offset:1024
	s_branch .LBB10_9
.LBB10_14:
	s_or_b64 exec, exec, s[10:11]
	s_waitcnt lgkmcnt(0)
	s_cmp_eq_u64 s[46:47], 0
	s_barrier
	s_cbranch_scc1 .LBB10_16
; %bb.15:
	s_load_dword s7, s[44:45], 0x0
	s_waitcnt lgkmcnt(0)
	s_add_i32 s6, s7, s6
	s_mov_b32 s7, 0
	s_lshl_b64 s[6:7], s[6:7], 2
	s_add_u32 s6, s46, s6
	s_addc_u32 s7, s47, s7
	s_load_dword s6, s[6:7], 0x0
.LBB10_16:
	s_nop 0
	s_load_dword s33, s[4:5], 0x0
	s_andn2_b64 vcc, exec, s[8:9]
	s_waitcnt lgkmcnt(0)
	s_ashr_i32 s7, s6, 31
	s_cbranch_vccnz .LBB10_72
; %bb.17:
	s_lshl_b64 s[4:5], s[6:7], 2
	s_add_u32 s4, s20, s4
	s_addc_u32 s5, s21, s5
	s_load_dwordx2 s[4:5], s[4:5], 0x0
	v_lshrrev_b32_e32 v2, 4, v0
	v_subrev_u32_e32 v2, s36, v2
	s_waitcnt lgkmcnt(0)
	s_sub_i32 s55, s5, s36
	v_add_u32_e32 v2, s4, v2
	v_cmp_gt_i32_e32 vcc, s55, v2
	s_and_saveexec_b64 s[4:5], vcc
	s_cbranch_execz .LBB10_71
; %bb.18:
	v_and_b32_e32 v3, 15, v0
	s_cmp_eq_u32 s33, 0
	v_subrev_u32_e32 v10, s37, v3
	s_cselect_b32 s56, 1, 2
	s_cselect_b32 s57, 2, 1
	s_mov_b64 s[8:9], 0
	v_mov_b32_e32 v11, s23
	v_mov_b32_e32 v12, s27
	s_movk_i32 s23, 0x89
	s_branch .LBB10_20
.LBB10_19:                              ;   in Loop: Header=BB10_20 Depth=1
	s_or_b64 exec, exec, s[10:11]
	v_add_u32_e32 v2, 16, v2
	v_cmp_le_i32_e32 vcc, s55, v2
	s_or_b64 s[8:9], vcc, s[8:9]
	s_andn2_b64 exec, exec, s[8:9]
	s_cbranch_execz .LBB10_71
.LBB10_20:                              ; =>This Loop Header: Depth=1
                                        ;     Child Loop BB10_23 Depth 2
                                        ;       Child Loop BB10_25 Depth 3
                                        ;       Child Loop BB10_37 Depth 3
	;; [unrolled: 1-line block ×4, first 2 shown]
	v_ashrrev_i32_e32 v3, 31, v2
	v_lshlrev_b64 v[4:5], 2, v[2:3]
	v_add_co_u32_e32 v4, vcc, s22, v4
	v_addc_co_u32_e32 v5, vcc, v11, v5, vcc
	global_load_dword v3, v[4:5], off
	s_waitcnt vmcnt(0)
	v_subrev_u32_e32 v4, s36, v3
	v_ashrrev_i32_e32 v5, 31, v4
	v_lshlrev_b64 v[4:5], 2, v[4:5]
	v_add_co_u32_e32 v4, vcc, s26, v4
	v_addc_co_u32_e32 v5, vcc, v12, v5, vcc
	global_load_dwordx2 v[4:5], v[4:5], off
	s_waitcnt vmcnt(0)
	v_subrev_u32_e32 v3, s37, v5
	v_add_u32_e32 v4, v4, v10
	v_cmp_lt_i32_e32 vcc, v4, v3
	s_and_saveexec_b64 s[10:11], vcc
	s_cbranch_execz .LBB10_19
; %bb.21:                               ;   in Loop: Header=BB10_20 Depth=1
	v_lshlrev_b32_e32 v14, 2, v2
	v_ashrrev_i32_e32 v15, 31, v14
	v_or_b32_e32 v16, s56, v14
	v_or_b32_e32 v18, s57, v14
	v_lshlrev_b64 v[14:15], 2, v[14:15]
	v_mov_b32_e32 v5, s25
	v_add_co_u32_e32 v14, vcc, s24, v14
	v_ashrrev_i32_e32 v19, 31, v18
	v_addc_co_u32_e32 v15, vcc, v5, v15, vcc
	v_lshlrev_b64 v[18:19], 2, v[18:19]
	v_add_co_u32_e32 v18, vcc, s24, v18
	v_ashrrev_i32_e32 v17, 31, v16
	v_addc_co_u32_e32 v19, vcc, v5, v19, vcc
	v_lshlrev_b64 v[16:17], 2, v[16:17]
	v_add_co_u32_e32 v16, vcc, s24, v16
	v_addc_co_u32_e32 v17, vcc, v5, v17, vcc
	global_load_dword v5, v[14:15], off offset:12
	global_load_dword v6, v[18:19], off
	global_load_dword v20, v[16:17], off
	;; [unrolled: 1-line block ×3, first 2 shown]
	s_mov_b64 s[20:21], 0
	s_waitcnt vmcnt(3)
	v_mul_f32_e32 v13, v9, v5
	s_waitcnt vmcnt(2)
	v_mul_f32_e32 v14, v9, v6
	;; [unrolled: 2-line block ×4, first 2 shown]
	s_branch .LBB10_23
.LBB10_22:                              ;   in Loop: Header=BB10_23 Depth=2
	s_or_b64 exec, exec, s[34:35]
	v_add_u32_e32 v4, 16, v4
	v_cmp_ge_i32_e32 vcc, v4, v3
	s_or_b64 s[20:21], vcc, s[20:21]
	s_andn2_b64 exec, exec, s[20:21]
	s_cbranch_execz .LBB10_19
.LBB10_23:                              ;   Parent Loop BB10_20 Depth=1
                                        ; =>  This Loop Header: Depth=2
                                        ;       Child Loop BB10_25 Depth 3
                                        ;       Child Loop BB10_37 Depth 3
	;; [unrolled: 1-line block ×4, first 2 shown]
	v_ashrrev_i32_e32 v5, 31, v4
	v_lshlrev_b64 v[18:19], 2, v[4:5]
	v_mov_b32_e32 v5, s41
	v_add_co_u32_e32 v18, vcc, s40, v18
	v_addc_co_u32_e32 v19, vcc, v5, v19, vcc
	global_load_dword v5, v[18:19], off
	v_lshlrev_b32_e32 v18, 2, v4
	v_ashrrev_i32_e32 v19, 31, v18
	v_or_b32_e32 v22, s56, v18
	v_or_b32_e32 v24, s57, v18
	v_lshlrev_b64 v[18:19], 2, v[18:19]
	v_mov_b32_e32 v6, s43
	v_add_co_u32_e32 v26, vcc, s42, v18
	v_ashrrev_i32_e32 v23, 31, v22
	v_ashrrev_i32_e32 v25, 31, v24
	v_addc_co_u32_e32 v27, vcc, v6, v19, vcc
	v_lshlrev_b64 v[18:19], 2, v[22:23]
	v_lshlrev_b64 v[22:23], 2, v[24:25]
	v_add_co_u32_e32 v22, vcc, s42, v22
	v_addc_co_u32_e32 v23, vcc, v6, v23, vcc
	global_load_dword v20, v[26:27], off
	global_load_dword v21, v[22:23], off
	v_add_co_u32_e32 v18, vcc, s42, v18
	v_addc_co_u32_e32 v19, vcc, v6, v19, vcc
	global_load_dword v18, v[18:19], off
	s_nop 0
	global_load_dword v19, v[26:27], off offset:12
	s_mov_b64 s[34:35], 0
	s_waitcnt vmcnt(4)
	v_subrev_u32_e32 v5, s37, v5
	v_mul_lo_u32 v6, v5, s23
	v_and_b32_e32 v17, 0xff, v6
	v_mov_b32_e32 v23, v17
	s_waitcnt vmcnt(2)
	v_mul_f32_e32 v22, v15, v21
	v_fmac_f32_e32 v22, v16, v20
	s_branch .LBB10_25
.LBB10_24:                              ;   in Loop: Header=BB10_25 Depth=3
	s_or_b64 exec, exec, s[44:45]
	s_xor_b64 s[44:45], s[46:47], -1
	s_and_b64 s[44:45], exec, s[44:45]
	s_or_b64 s[34:35], s[44:45], s[34:35]
	s_andn2_b64 exec, exec, s[34:35]
	s_cbranch_execz .LBB10_35
.LBB10_25:                              ;   Parent Loop BB10_20 Depth=1
                                        ;     Parent Loop BB10_23 Depth=2
                                        ; =>    This Inner Loop Header: Depth=3
	v_lshl_add_u32 v6, v23, 2, 0
	ds_read_b32 v24, v6
                                        ; implicit-def: $sgpr46_sgpr47
	s_waitcnt lgkmcnt(0)
	v_cmp_ne_u32_e32 vcc, v24, v5
	s_and_saveexec_b64 s[44:45], vcc
	s_xor_b64 s[44:45], exec, s[44:45]
	s_cbranch_execz .LBB10_33
; %bb.26:                               ;   in Loop: Header=BB10_25 Depth=3
	v_cmp_ne_u32_e32 vcc, s54, v24
                                        ; implicit-def: $sgpr46_sgpr47
	s_and_saveexec_b64 s[48:49], vcc
	s_xor_b64 s[48:49], exec, s[48:49]
; %bb.27:                               ;   in Loop: Header=BB10_25 Depth=3
	v_add_u32_e32 v6, 1, v23
	v_and_b32_e32 v23, 0xff, v6
	s_mov_b64 s[46:47], -1
                                        ; implicit-def: $vgpr6
; %bb.28:                               ;   in Loop: Header=BB10_25 Depth=3
	s_andn2_saveexec_b64 s[48:49], s[48:49]
	s_cbranch_execz .LBB10_32
; %bb.29:                               ;   in Loop: Header=BB10_25 Depth=3
	v_mov_b32_e32 v24, s54
	ds_cmpst_rtn_b32 v24, v6, v24, v5
	s_mov_b64 s[50:51], -1
	s_waitcnt lgkmcnt(0)
	v_cmp_eq_u32_e32 vcc, s54, v24
	s_and_saveexec_b64 s[52:53], vcc
	s_cbranch_execz .LBB10_31
; %bb.30:                               ;   in Loop: Header=BB10_25 Depth=3
	v_mad_u64_u32 v[24:25], s[50:51], v23, 12, v[6:7]
	ds_add_f32 v24, v22 offset:1024
	s_xor_b64 s[50:51], exec, -1
.LBB10_31:                              ;   in Loop: Header=BB10_25 Depth=3
	s_or_b64 exec, exec, s[52:53]
	s_andn2_b64 s[46:47], s[46:47], exec
	s_and_b64 s[50:51], s[50:51], exec
	s_or_b64 s[46:47], s[46:47], s[50:51]
.LBB10_32:                              ;   in Loop: Header=BB10_25 Depth=3
	s_or_b64 exec, exec, s[48:49]
	s_and_b64 s[46:47], s[46:47], exec
                                        ; implicit-def: $vgpr6
.LBB10_33:                              ;   in Loop: Header=BB10_25 Depth=3
	s_andn2_saveexec_b64 s[44:45], s[44:45]
	s_cbranch_execz .LBB10_24
; %bb.34:                               ;   in Loop: Header=BB10_25 Depth=3
	v_mad_u64_u32 v[24:25], s[48:49], v23, 12, v[6:7]
	ds_add_f32 v24, v22 offset:1024
	s_andn2_b64 s[46:47], s[46:47], exec
	s_branch .LBB10_24
.LBB10_35:                              ;   in Loop: Header=BB10_23 Depth=2
	s_or_b64 exec, exec, s[34:35]
	s_waitcnt vmcnt(0)
	v_mul_f32_e32 v22, v15, v19
	v_fmac_f32_e32 v22, v16, v18
	s_mov_b64 s[34:35], 0
	v_mov_b32_e32 v23, v17
	s_branch .LBB10_37
.LBB10_36:                              ;   in Loop: Header=BB10_37 Depth=3
	s_or_b64 exec, exec, s[44:45]
	s_xor_b64 s[44:45], s[46:47], -1
	s_and_b64 s[44:45], exec, s[44:45]
	s_or_b64 s[34:35], s[44:45], s[34:35]
	s_andn2_b64 exec, exec, s[34:35]
	s_cbranch_execz .LBB10_47
.LBB10_37:                              ;   Parent Loop BB10_20 Depth=1
                                        ;     Parent Loop BB10_23 Depth=2
                                        ; =>    This Inner Loop Header: Depth=3
	v_lshl_add_u32 v6, v23, 2, 0
	ds_read_b32 v24, v6
                                        ; implicit-def: $sgpr46_sgpr47
	s_waitcnt lgkmcnt(0)
	v_cmp_ne_u32_e32 vcc, v24, v5
	s_and_saveexec_b64 s[44:45], vcc
	s_xor_b64 s[44:45], exec, s[44:45]
	s_cbranch_execz .LBB10_45
; %bb.38:                               ;   in Loop: Header=BB10_37 Depth=3
	v_cmp_ne_u32_e32 vcc, s54, v24
                                        ; implicit-def: $sgpr46_sgpr47
	s_and_saveexec_b64 s[48:49], vcc
	s_xor_b64 s[48:49], exec, s[48:49]
; %bb.39:                               ;   in Loop: Header=BB10_37 Depth=3
	v_add_u32_e32 v6, 1, v23
	v_and_b32_e32 v23, 0xff, v6
	s_mov_b64 s[46:47], -1
                                        ; implicit-def: $vgpr6
; %bb.40:                               ;   in Loop: Header=BB10_37 Depth=3
	s_andn2_saveexec_b64 s[48:49], s[48:49]
	s_cbranch_execz .LBB10_44
; %bb.41:                               ;   in Loop: Header=BB10_37 Depth=3
	v_mov_b32_e32 v24, s54
	ds_cmpst_rtn_b32 v24, v6, v24, v5
	s_mov_b64 s[50:51], -1
	s_waitcnt lgkmcnt(0)
	v_cmp_eq_u32_e32 vcc, s54, v24
	s_and_saveexec_b64 s[52:53], vcc
	s_cbranch_execz .LBB10_43
; %bb.42:                               ;   in Loop: Header=BB10_37 Depth=3
	v_mad_u64_u32 v[24:25], s[50:51], v23, 12, v[6:7]
	ds_add_f32 v24, v22 offset:1028
	s_xor_b64 s[50:51], exec, -1
.LBB10_43:                              ;   in Loop: Header=BB10_37 Depth=3
	s_or_b64 exec, exec, s[52:53]
	s_andn2_b64 s[46:47], s[46:47], exec
	s_and_b64 s[50:51], s[50:51], exec
	s_or_b64 s[46:47], s[46:47], s[50:51]
.LBB10_44:                              ;   in Loop: Header=BB10_37 Depth=3
	s_or_b64 exec, exec, s[48:49]
	s_and_b64 s[46:47], s[46:47], exec
                                        ; implicit-def: $vgpr6
.LBB10_45:                              ;   in Loop: Header=BB10_37 Depth=3
	s_andn2_saveexec_b64 s[44:45], s[44:45]
	s_cbranch_execz .LBB10_36
; %bb.46:                               ;   in Loop: Header=BB10_37 Depth=3
	v_mad_u64_u32 v[24:25], s[48:49], v23, 12, v[6:7]
	ds_add_f32 v24, v22 offset:1028
	s_andn2_b64 s[46:47], s[46:47], exec
	s_branch .LBB10_36
.LBB10_47:                              ;   in Loop: Header=BB10_23 Depth=2
	s_or_b64 exec, exec, s[34:35]
	v_mul_f32_e32 v21, v13, v21
	v_fmac_f32_e32 v21, v14, v20
	s_mov_b64 s[34:35], 0
	v_mov_b32_e32 v20, v17
	s_branch .LBB10_49
.LBB10_48:                              ;   in Loop: Header=BB10_49 Depth=3
	s_or_b64 exec, exec, s[44:45]
	s_xor_b64 s[44:45], s[46:47], -1
	s_and_b64 s[44:45], exec, s[44:45]
	s_or_b64 s[34:35], s[44:45], s[34:35]
	s_andn2_b64 exec, exec, s[34:35]
	s_cbranch_execz .LBB10_59
.LBB10_49:                              ;   Parent Loop BB10_20 Depth=1
                                        ;     Parent Loop BB10_23 Depth=2
                                        ; =>    This Inner Loop Header: Depth=3
	v_lshl_add_u32 v6, v20, 2, 0
	ds_read_b32 v22, v6
                                        ; implicit-def: $sgpr46_sgpr47
	s_waitcnt lgkmcnt(0)
	v_cmp_ne_u32_e32 vcc, v22, v5
	s_and_saveexec_b64 s[44:45], vcc
	s_xor_b64 s[44:45], exec, s[44:45]
	s_cbranch_execz .LBB10_57
; %bb.50:                               ;   in Loop: Header=BB10_49 Depth=3
	v_cmp_ne_u32_e32 vcc, s54, v22
                                        ; implicit-def: $sgpr46_sgpr47
	s_and_saveexec_b64 s[48:49], vcc
	s_xor_b64 s[48:49], exec, s[48:49]
; %bb.51:                               ;   in Loop: Header=BB10_49 Depth=3
	v_add_u32_e32 v6, 1, v20
	v_and_b32_e32 v20, 0xff, v6
	s_mov_b64 s[46:47], -1
                                        ; implicit-def: $vgpr6
; %bb.52:                               ;   in Loop: Header=BB10_49 Depth=3
	s_andn2_saveexec_b64 s[48:49], s[48:49]
	s_cbranch_execz .LBB10_56
; %bb.53:                               ;   in Loop: Header=BB10_49 Depth=3
	v_mov_b32_e32 v22, s54
	ds_cmpst_rtn_b32 v22, v6, v22, v5
	s_mov_b64 s[50:51], -1
	s_waitcnt lgkmcnt(0)
	v_cmp_eq_u32_e32 vcc, s54, v22
	s_and_saveexec_b64 s[52:53], vcc
	s_cbranch_execz .LBB10_55
; %bb.54:                               ;   in Loop: Header=BB10_49 Depth=3
	v_mad_u64_u32 v[22:23], s[50:51], v20, 12, v[6:7]
	ds_add_f32 v22, v21 offset:1032
	s_xor_b64 s[50:51], exec, -1
.LBB10_55:                              ;   in Loop: Header=BB10_49 Depth=3
	s_or_b64 exec, exec, s[52:53]
	s_andn2_b64 s[46:47], s[46:47], exec
	s_and_b64 s[50:51], s[50:51], exec
	s_or_b64 s[46:47], s[46:47], s[50:51]
.LBB10_56:                              ;   in Loop: Header=BB10_49 Depth=3
	s_or_b64 exec, exec, s[48:49]
	s_and_b64 s[46:47], s[46:47], exec
                                        ; implicit-def: $vgpr6
.LBB10_57:                              ;   in Loop: Header=BB10_49 Depth=3
	s_andn2_saveexec_b64 s[44:45], s[44:45]
	s_cbranch_execz .LBB10_48
; %bb.58:                               ;   in Loop: Header=BB10_49 Depth=3
	v_mad_u64_u32 v[22:23], s[48:49], v20, 12, v[6:7]
	ds_add_f32 v22, v21 offset:1032
	s_andn2_b64 s[46:47], s[46:47], exec
	s_branch .LBB10_48
.LBB10_59:                              ;   in Loop: Header=BB10_23 Depth=2
	s_or_b64 exec, exec, s[34:35]
	v_mul_f32_e32 v19, v13, v19
	v_fmac_f32_e32 v19, v14, v18
	s_mov_b64 s[34:35], 0
	s_branch .LBB10_61
.LBB10_60:                              ;   in Loop: Header=BB10_61 Depth=3
	s_or_b64 exec, exec, s[44:45]
	s_xor_b64 s[44:45], s[46:47], -1
	s_and_b64 s[44:45], exec, s[44:45]
	s_or_b64 s[34:35], s[44:45], s[34:35]
	s_andn2_b64 exec, exec, s[34:35]
	s_cbranch_execz .LBB10_22
.LBB10_61:                              ;   Parent Loop BB10_20 Depth=1
                                        ;     Parent Loop BB10_23 Depth=2
                                        ; =>    This Inner Loop Header: Depth=3
	v_lshl_add_u32 v6, v17, 2, 0
	ds_read_b32 v18, v6
                                        ; implicit-def: $sgpr46_sgpr47
	s_waitcnt lgkmcnt(0)
	v_cmp_ne_u32_e32 vcc, v18, v5
	s_and_saveexec_b64 s[44:45], vcc
	s_xor_b64 s[44:45], exec, s[44:45]
	s_cbranch_execz .LBB10_69
; %bb.62:                               ;   in Loop: Header=BB10_61 Depth=3
	v_cmp_ne_u32_e32 vcc, s54, v18
                                        ; implicit-def: $sgpr46_sgpr47
	s_and_saveexec_b64 s[48:49], vcc
	s_xor_b64 s[48:49], exec, s[48:49]
; %bb.63:                               ;   in Loop: Header=BB10_61 Depth=3
	v_add_u32_e32 v6, 1, v17
	v_and_b32_e32 v17, 0xff, v6
	s_mov_b64 s[46:47], -1
                                        ; implicit-def: $vgpr6
; %bb.64:                               ;   in Loop: Header=BB10_61 Depth=3
	s_andn2_saveexec_b64 s[48:49], s[48:49]
	s_cbranch_execz .LBB10_68
; %bb.65:                               ;   in Loop: Header=BB10_61 Depth=3
	v_mov_b32_e32 v18, s54
	ds_cmpst_rtn_b32 v18, v6, v18, v5
	s_mov_b64 s[50:51], -1
	s_waitcnt lgkmcnt(0)
	v_cmp_eq_u32_e32 vcc, s54, v18
	s_and_saveexec_b64 s[52:53], vcc
	s_cbranch_execz .LBB10_67
; %bb.66:                               ;   in Loop: Header=BB10_61 Depth=3
	v_mad_u64_u32 v[20:21], s[50:51], v17, 12, v[6:7]
	ds_add_f32 v20, v19 offset:1036
	s_xor_b64 s[50:51], exec, -1
.LBB10_67:                              ;   in Loop: Header=BB10_61 Depth=3
	s_or_b64 exec, exec, s[52:53]
	s_andn2_b64 s[46:47], s[46:47], exec
	s_and_b64 s[50:51], s[50:51], exec
	s_or_b64 s[46:47], s[46:47], s[50:51]
.LBB10_68:                              ;   in Loop: Header=BB10_61 Depth=3
	s_or_b64 exec, exec, s[48:49]
	s_and_b64 s[46:47], s[46:47], exec
                                        ; implicit-def: $vgpr6
.LBB10_69:                              ;   in Loop: Header=BB10_61 Depth=3
	s_andn2_saveexec_b64 s[44:45], s[44:45]
	s_cbranch_execz .LBB10_60
; %bb.70:                               ;   in Loop: Header=BB10_61 Depth=3
	v_mad_u64_u32 v[20:21], s[48:49], v17, 12, v[6:7]
	ds_add_f32 v20, v19 offset:1036
	s_andn2_b64 s[46:47], s[46:47], exec
	s_branch .LBB10_60
.LBB10_71:
	s_or_b64 exec, exec, s[4:5]
.LBB10_72:
	s_andn2_b64 vcc, exec, s[2:3]
	s_waitcnt lgkmcnt(0)
	s_barrier
	s_cbranch_vccnz .LBB10_125
; %bb.73:
	s_lshl_b64 s[2:3], s[6:7], 2
	s_add_u32 s2, s12, s2
	s_addc_u32 s3, s13, s3
	s_load_dwordx2 s[2:3], s[2:3], 0x0
	v_subrev_u32_e32 v2, s39, v0
	s_waitcnt lgkmcnt(0)
	s_sub_i32 s26, s3, s39
	v_add_u32_e32 v2, s2, v2
	v_cmp_gt_i32_e32 vcc, s26, v2
	s_and_saveexec_b64 s[2:3], vcc
	s_cbranch_execz .LBB10_124
; %bb.74:
	s_cmp_eq_u32 s33, 0
	s_cselect_b32 s27, 1, 2
	s_cselect_b32 s34, 2, 1
	s_mov_b64 s[4:5], 0
	v_mov_b32_e32 v5, s17
	v_mov_b32_e32 v6, s15
	s_movk_i32 s15, 0x89
	s_branch .LBB10_76
.LBB10_75:                              ;   in Loop: Header=BB10_76 Depth=1
	s_or_b64 exec, exec, s[8:9]
	v_add_u32_e32 v2, 0x100, v2
	v_cmp_le_i32_e32 vcc, s26, v2
	s_or_b64 s[4:5], vcc, s[4:5]
	s_andn2_b64 exec, exec, s[4:5]
	s_cbranch_execz .LBB10_124
.LBB10_76:                              ; =>This Loop Header: Depth=1
                                        ;     Child Loop BB10_78 Depth 2
                                        ;     Child Loop BB10_90 Depth 2
	;; [unrolled: 1-line block ×4, first 2 shown]
	v_lshlrev_b32_e32 v10, 2, v2
	v_ashrrev_i32_e32 v11, 31, v10
	v_or_b32_e32 v12, s27, v10
	v_or_b32_e32 v14, s34, v10
	v_lshlrev_b64 v[10:11], 2, v[10:11]
	v_add_co_u32_e32 v16, vcc, s16, v10
	v_ashrrev_i32_e32 v13, 31, v12
	v_addc_co_u32_e32 v17, vcc, v5, v11, vcc
	v_lshlrev_b64 v[10:11], 2, v[12:13]
	v_add_co_u32_e32 v18, vcc, s16, v10
	v_ashrrev_i32_e32 v3, 31, v2
	v_addc_co_u32_e32 v19, vcc, v5, v11, vcc
	;; [unrolled: 4-line block ×3, first 2 shown]
	v_lshlrev_b64 v[10:11], 2, v[14:15]
	global_load_dword v3, v[12:13], off
	global_load_dword v4, v[16:17], off
	v_add_co_u32_e32 v14, vcc, s16, v10
	v_addc_co_u32_e32 v15, vcc, v5, v11, vcc
	global_load_dword v11, v[14:15], off
	global_load_dword v12, v[18:19], off
	global_load_dword v10, v[16:17], off offset:12
	s_mov_b64 s[8:9], 0
	s_waitcnt vmcnt(4)
	v_subrev_u32_e32 v3, s39, v3
	s_waitcnt vmcnt(3)
	v_mul_f32_e32 v13, v1, v4
	v_mul_lo_u32 v4, v3, s15
	v_and_b32_e32 v9, 0xff, v4
	v_mov_b32_e32 v14, v9
	s_branch .LBB10_78
.LBB10_77:                              ;   in Loop: Header=BB10_78 Depth=2
	s_or_b64 exec, exec, s[10:11]
	s_xor_b64 s[10:11], s[12:13], -1
	s_and_b64 s[10:11], exec, s[10:11]
	s_or_b64 s[8:9], s[10:11], s[8:9]
	s_andn2_b64 exec, exec, s[8:9]
	s_cbranch_execz .LBB10_88
.LBB10_78:                              ;   Parent Loop BB10_76 Depth=1
                                        ; =>  This Inner Loop Header: Depth=2
	v_lshl_add_u32 v4, v14, 2, 0
	ds_read_b32 v15, v4
                                        ; implicit-def: $sgpr12_sgpr13
	s_waitcnt lgkmcnt(0)
	v_cmp_ne_u32_e32 vcc, v15, v3
	s_and_saveexec_b64 s[10:11], vcc
	s_xor_b64 s[10:11], exec, s[10:11]
	s_cbranch_execz .LBB10_86
; %bb.79:                               ;   in Loop: Header=BB10_78 Depth=2
	v_cmp_ne_u32_e32 vcc, s54, v15
                                        ; implicit-def: $sgpr12_sgpr13
	s_and_saveexec_b64 s[20:21], vcc
	s_xor_b64 s[20:21], exec, s[20:21]
; %bb.80:                               ;   in Loop: Header=BB10_78 Depth=2
	v_add_u32_e32 v4, 1, v14
	v_and_b32_e32 v14, 0xff, v4
	s_mov_b64 s[12:13], -1
                                        ; implicit-def: $vgpr4
; %bb.81:                               ;   in Loop: Header=BB10_78 Depth=2
	s_andn2_saveexec_b64 s[20:21], s[20:21]
	s_cbranch_execz .LBB10_85
; %bb.82:                               ;   in Loop: Header=BB10_78 Depth=2
	v_mov_b32_e32 v15, s54
	ds_cmpst_rtn_b32 v15, v4, v15, v3
	s_mov_b64 s[22:23], -1
	s_waitcnt lgkmcnt(0)
	v_cmp_eq_u32_e32 vcc, s54, v15
	s_and_saveexec_b64 s[24:25], vcc
	s_cbranch_execz .LBB10_84
; %bb.83:                               ;   in Loop: Header=BB10_78 Depth=2
	v_mad_u64_u32 v[16:17], s[22:23], v14, 12, v[4:5]
	ds_add_f32 v16, v13 offset:1024
	s_xor_b64 s[22:23], exec, -1
.LBB10_84:                              ;   in Loop: Header=BB10_78 Depth=2
	s_or_b64 exec, exec, s[24:25]
	s_andn2_b64 s[12:13], s[12:13], exec
	s_and_b64 s[22:23], s[22:23], exec
	s_or_b64 s[12:13], s[12:13], s[22:23]
.LBB10_85:                              ;   in Loop: Header=BB10_78 Depth=2
	s_or_b64 exec, exec, s[20:21]
	s_and_b64 s[12:13], s[12:13], exec
                                        ; implicit-def: $vgpr4
.LBB10_86:                              ;   in Loop: Header=BB10_78 Depth=2
	s_andn2_saveexec_b64 s[10:11], s[10:11]
	s_cbranch_execz .LBB10_77
; %bb.87:                               ;   in Loop: Header=BB10_78 Depth=2
	v_mad_u64_u32 v[16:17], s[20:21], v14, 12, v[4:5]
	ds_add_f32 v16, v13 offset:1024
	s_andn2_b64 s[12:13], s[12:13], exec
	s_branch .LBB10_77
.LBB10_88:                              ;   in Loop: Header=BB10_76 Depth=1
	s_or_b64 exec, exec, s[8:9]
	s_waitcnt vmcnt(1)
	v_mul_f32_e32 v12, v1, v12
	s_mov_b64 s[8:9], 0
	v_mov_b32_e32 v13, v9
	s_branch .LBB10_90
.LBB10_89:                              ;   in Loop: Header=BB10_90 Depth=2
	s_or_b64 exec, exec, s[10:11]
	s_xor_b64 s[10:11], s[12:13], -1
	s_and_b64 s[10:11], exec, s[10:11]
	s_or_b64 s[8:9], s[10:11], s[8:9]
	s_andn2_b64 exec, exec, s[8:9]
	s_cbranch_execz .LBB10_100
.LBB10_90:                              ;   Parent Loop BB10_76 Depth=1
                                        ; =>  This Inner Loop Header: Depth=2
	v_lshl_add_u32 v4, v13, 2, 0
	ds_read_b32 v14, v4
                                        ; implicit-def: $sgpr12_sgpr13
	s_waitcnt lgkmcnt(0)
	v_cmp_ne_u32_e32 vcc, v14, v3
	s_and_saveexec_b64 s[10:11], vcc
	s_xor_b64 s[10:11], exec, s[10:11]
	s_cbranch_execz .LBB10_98
; %bb.91:                               ;   in Loop: Header=BB10_90 Depth=2
	v_cmp_ne_u32_e32 vcc, s54, v14
                                        ; implicit-def: $sgpr12_sgpr13
	s_and_saveexec_b64 s[20:21], vcc
	s_xor_b64 s[20:21], exec, s[20:21]
; %bb.92:                               ;   in Loop: Header=BB10_90 Depth=2
	v_add_u32_e32 v4, 1, v13
	v_and_b32_e32 v13, 0xff, v4
	s_mov_b64 s[12:13], -1
                                        ; implicit-def: $vgpr4
; %bb.93:                               ;   in Loop: Header=BB10_90 Depth=2
	s_andn2_saveexec_b64 s[20:21], s[20:21]
	s_cbranch_execz .LBB10_97
; %bb.94:                               ;   in Loop: Header=BB10_90 Depth=2
	v_mov_b32_e32 v14, s54
	ds_cmpst_rtn_b32 v14, v4, v14, v3
	s_mov_b64 s[22:23], -1
	s_waitcnt lgkmcnt(0)
	v_cmp_eq_u32_e32 vcc, s54, v14
	s_and_saveexec_b64 s[24:25], vcc
	s_cbranch_execz .LBB10_96
; %bb.95:                               ;   in Loop: Header=BB10_90 Depth=2
	v_mad_u64_u32 v[14:15], s[22:23], v13, 12, v[4:5]
	ds_add_f32 v14, v12 offset:1028
	s_xor_b64 s[22:23], exec, -1
.LBB10_96:                              ;   in Loop: Header=BB10_90 Depth=2
	s_or_b64 exec, exec, s[24:25]
	s_andn2_b64 s[12:13], s[12:13], exec
	s_and_b64 s[22:23], s[22:23], exec
	s_or_b64 s[12:13], s[12:13], s[22:23]
.LBB10_97:                              ;   in Loop: Header=BB10_90 Depth=2
	s_or_b64 exec, exec, s[20:21]
	s_and_b64 s[12:13], s[12:13], exec
                                        ; implicit-def: $vgpr4
.LBB10_98:                              ;   in Loop: Header=BB10_90 Depth=2
	s_andn2_saveexec_b64 s[10:11], s[10:11]
	s_cbranch_execz .LBB10_89
; %bb.99:                               ;   in Loop: Header=BB10_90 Depth=2
	v_mad_u64_u32 v[14:15], s[20:21], v13, 12, v[4:5]
	ds_add_f32 v14, v12 offset:1028
	s_andn2_b64 s[12:13], s[12:13], exec
	s_branch .LBB10_89
.LBB10_100:                             ;   in Loop: Header=BB10_76 Depth=1
	s_or_b64 exec, exec, s[8:9]
	v_mul_f32_e32 v11, v1, v11
	s_mov_b64 s[8:9], 0
	v_mov_b32_e32 v12, v9
	s_branch .LBB10_102
.LBB10_101:                             ;   in Loop: Header=BB10_102 Depth=2
	s_or_b64 exec, exec, s[10:11]
	s_xor_b64 s[10:11], s[12:13], -1
	s_and_b64 s[10:11], exec, s[10:11]
	s_or_b64 s[8:9], s[10:11], s[8:9]
	s_andn2_b64 exec, exec, s[8:9]
	s_cbranch_execz .LBB10_112
.LBB10_102:                             ;   Parent Loop BB10_76 Depth=1
                                        ; =>  This Inner Loop Header: Depth=2
	v_lshl_add_u32 v4, v12, 2, 0
	ds_read_b32 v13, v4
                                        ; implicit-def: $sgpr12_sgpr13
	s_waitcnt lgkmcnt(0)
	v_cmp_ne_u32_e32 vcc, v13, v3
	s_and_saveexec_b64 s[10:11], vcc
	s_xor_b64 s[10:11], exec, s[10:11]
	s_cbranch_execz .LBB10_110
; %bb.103:                              ;   in Loop: Header=BB10_102 Depth=2
	v_cmp_ne_u32_e32 vcc, s54, v13
                                        ; implicit-def: $sgpr12_sgpr13
	s_and_saveexec_b64 s[20:21], vcc
	s_xor_b64 s[20:21], exec, s[20:21]
; %bb.104:                              ;   in Loop: Header=BB10_102 Depth=2
	v_add_u32_e32 v4, 1, v12
	v_and_b32_e32 v12, 0xff, v4
	s_mov_b64 s[12:13], -1
                                        ; implicit-def: $vgpr4
; %bb.105:                              ;   in Loop: Header=BB10_102 Depth=2
	s_andn2_saveexec_b64 s[20:21], s[20:21]
	s_cbranch_execz .LBB10_109
; %bb.106:                              ;   in Loop: Header=BB10_102 Depth=2
	v_mov_b32_e32 v13, s54
	ds_cmpst_rtn_b32 v13, v4, v13, v3
	s_mov_b64 s[22:23], -1
	s_waitcnt lgkmcnt(0)
	v_cmp_eq_u32_e32 vcc, s54, v13
	s_and_saveexec_b64 s[24:25], vcc
	s_cbranch_execz .LBB10_108
; %bb.107:                              ;   in Loop: Header=BB10_102 Depth=2
	v_mad_u64_u32 v[14:15], s[22:23], v12, 12, v[4:5]
	ds_add_f32 v14, v11 offset:1032
	s_xor_b64 s[22:23], exec, -1
.LBB10_108:                             ;   in Loop: Header=BB10_102 Depth=2
	s_or_b64 exec, exec, s[24:25]
	s_andn2_b64 s[12:13], s[12:13], exec
	s_and_b64 s[22:23], s[22:23], exec
	s_or_b64 s[12:13], s[12:13], s[22:23]
.LBB10_109:                             ;   in Loop: Header=BB10_102 Depth=2
	s_or_b64 exec, exec, s[20:21]
	s_and_b64 s[12:13], s[12:13], exec
                                        ; implicit-def: $vgpr4
.LBB10_110:                             ;   in Loop: Header=BB10_102 Depth=2
	s_andn2_saveexec_b64 s[10:11], s[10:11]
	s_cbranch_execz .LBB10_101
; %bb.111:                              ;   in Loop: Header=BB10_102 Depth=2
	v_mad_u64_u32 v[14:15], s[20:21], v12, 12, v[4:5]
	ds_add_f32 v14, v11 offset:1032
	s_andn2_b64 s[12:13], s[12:13], exec
	s_branch .LBB10_101
.LBB10_112:                             ;   in Loop: Header=BB10_76 Depth=1
	s_or_b64 exec, exec, s[8:9]
	s_waitcnt vmcnt(0)
	v_mul_f32_e32 v10, v1, v10
	s_mov_b64 s[8:9], 0
	s_branch .LBB10_114
.LBB10_113:                             ;   in Loop: Header=BB10_114 Depth=2
	s_or_b64 exec, exec, s[10:11]
	s_xor_b64 s[10:11], s[12:13], -1
	s_and_b64 s[10:11], exec, s[10:11]
	s_or_b64 s[8:9], s[10:11], s[8:9]
	s_andn2_b64 exec, exec, s[8:9]
	s_cbranch_execz .LBB10_75
.LBB10_114:                             ;   Parent Loop BB10_76 Depth=1
                                        ; =>  This Inner Loop Header: Depth=2
	v_lshl_add_u32 v4, v9, 2, 0
	ds_read_b32 v11, v4
                                        ; implicit-def: $sgpr12_sgpr13
	s_waitcnt lgkmcnt(0)
	v_cmp_ne_u32_e32 vcc, v11, v3
	s_and_saveexec_b64 s[10:11], vcc
	s_xor_b64 s[10:11], exec, s[10:11]
	s_cbranch_execz .LBB10_122
; %bb.115:                              ;   in Loop: Header=BB10_114 Depth=2
	v_cmp_ne_u32_e32 vcc, s54, v11
                                        ; implicit-def: $sgpr12_sgpr13
	s_and_saveexec_b64 s[20:21], vcc
	s_xor_b64 s[20:21], exec, s[20:21]
; %bb.116:                              ;   in Loop: Header=BB10_114 Depth=2
	v_add_u32_e32 v4, 1, v9
	v_and_b32_e32 v9, 0xff, v4
	s_mov_b64 s[12:13], -1
                                        ; implicit-def: $vgpr4
; %bb.117:                              ;   in Loop: Header=BB10_114 Depth=2
	s_andn2_saveexec_b64 s[20:21], s[20:21]
	s_cbranch_execz .LBB10_121
; %bb.118:                              ;   in Loop: Header=BB10_114 Depth=2
	v_mov_b32_e32 v11, s54
	ds_cmpst_rtn_b32 v11, v4, v11, v3
	s_mov_b64 s[22:23], -1
	s_waitcnt lgkmcnt(0)
	v_cmp_eq_u32_e32 vcc, s54, v11
	s_and_saveexec_b64 s[24:25], vcc
	s_cbranch_execz .LBB10_120
; %bb.119:                              ;   in Loop: Header=BB10_114 Depth=2
	v_mad_u64_u32 v[12:13], s[22:23], v9, 12, v[4:5]
	ds_add_f32 v12, v10 offset:1036
	s_xor_b64 s[22:23], exec, -1
.LBB10_120:                             ;   in Loop: Header=BB10_114 Depth=2
	s_or_b64 exec, exec, s[24:25]
	s_andn2_b64 s[12:13], s[12:13], exec
	s_and_b64 s[22:23], s[22:23], exec
	s_or_b64 s[12:13], s[12:13], s[22:23]
.LBB10_121:                             ;   in Loop: Header=BB10_114 Depth=2
	s_or_b64 exec, exec, s[20:21]
	s_and_b64 s[12:13], s[12:13], exec
                                        ; implicit-def: $vgpr4
.LBB10_122:                             ;   in Loop: Header=BB10_114 Depth=2
	s_andn2_saveexec_b64 s[10:11], s[10:11]
	s_cbranch_execz .LBB10_113
; %bb.123:                              ;   in Loop: Header=BB10_114 Depth=2
	v_mad_u64_u32 v[12:13], s[20:21], v9, 12, v[4:5]
	ds_add_f32 v12, v10 offset:1036
	s_andn2_b64 s[12:13], s[12:13], exec
	s_branch .LBB10_113
.LBB10_124:
	s_or_b64 exec, exec, s[2:3]
.LBB10_125:
	s_waitcnt lgkmcnt(0)
	s_barrier
	s_and_saveexec_b64 s[2:3], s[0:1]
	s_cbranch_execz .LBB10_130
; %bb.126:
	ds_read_b32 v2, v7
	s_mov_b32 s2, 0
	s_waitcnt lgkmcnt(0)
	v_cmp_gt_i32_e32 vcc, s54, v2
	s_and_b64 exec, exec, vcc
	s_cbranch_execz .LBB10_130
; %bb.127:
	s_lshl_b64 s[0:1], s[6:7], 2
	s_add_u32 s0, s18, s0
	s_addc_u32 s1, s19, s1
	s_load_dword s0, s[0:1], 0x0
	v_mov_b32_e32 v1, v2
	v_mov_b32_e32 v3, 0
	s_waitcnt lgkmcnt(0)
	s_sub_i32 s0, s0, s38
	v_mov_b32_e32 v4, s0
.LBB10_128:                             ; =>This Inner Loop Header: Depth=1
	s_add_i32 s0, s2, 0
	v_mov_b32_e32 v5, s0
	ds_read2_b32 v[10:11], v5 offset1:1
	ds_read2_b32 v[12:13], v5 offset0:2 offset1:3
	ds_read2_b32 v[14:15], v5 offset0:4 offset1:5
	;; [unrolled: 1-line block ×15, first 2 shown]
	s_waitcnt lgkmcnt(13)
	v_cmp_gt_i32_e64 s[0:1], v2, v14
	v_cmp_gt_i32_e32 vcc, v1, v11
	v_cndmask_b32_e64 v9, 0, 1, s[0:1]
	v_cmp_gt_i32_e64 s[0:1], v1, v15
	v_cndmask_b32_e64 v5, 0, 1, vcc
	v_cmp_gt_i32_e32 vcc, v2, v10
	v_cndmask_b32_e64 v10, 0, 1, s[0:1]
	s_waitcnt lgkmcnt(11)
	v_cmp_gt_i32_e64 s[0:1], v1, v19
	v_cndmask_b32_e64 v11, 0, 1, s[0:1]
	v_cmp_gt_i32_e64 s[0:1], v2, v18
	v_cndmask_b32_e64 v6, 0, 1, vcc
	v_cmp_gt_i32_e32 vcc, v1, v13
	v_cndmask_b32_e64 v13, 0, 1, s[0:1]
	s_waitcnt lgkmcnt(9)
	v_cmp_gt_i32_e64 s[0:1], v2, v22
	v_cndmask_b32_e64 v14, 0, 1, s[0:1]
	v_cmp_gt_i32_e64 s[0:1], v1, v23
	v_cndmask_b32_e64 v15, 0, 1, s[0:1]
	s_waitcnt lgkmcnt(7)
	v_cmp_gt_i32_e64 s[0:1], v1, v27
	v_cndmask_b32_e64 v18, 0, 1, s[0:1]
	v_cmp_gt_i32_e64 s[0:1], v2, v26
	;; [unrolled: 5-line block ×5, first 2 shown]
	v_cndmask_b32_e64 v31, 0, 1, s[0:1]
	v_cmp_gt_i32_e64 s[0:1], v2, v12
	v_addc_co_u32_e64 v4, s[0:1], v4, v6, s[0:1]
	v_addc_co_u32_e32 v3, vcc, v3, v5, vcc
	v_cmp_gt_i32_e32 vcc, v2, v16
	v_cmp_gt_i32_e64 s[0:1], v1, v17
	v_addc_co_u32_e64 v3, s[0:1], v3, v10, s[0:1]
	v_addc_co_u32_e32 v4, vcc, v4, v9, vcc
	v_cmp_gt_i32_e32 vcc, v1, v21
	;; [unrolled: 4-line block ×6, first 2 shown]
	v_cmp_gt_i32_e64 s[0:1], v2, v36
	v_addc_co_u32_e64 v4, s[0:1], v4, v27, s[0:1]
	v_addc_co_u32_e32 v3, vcc, v3, v26, vcc
	s_addk_i32 s2, 0x80
	s_waitcnt lgkmcnt(0)
	v_cmp_gt_i32_e32 vcc, v2, v40
	v_cmp_gt_i32_e64 s[0:1], v1, v41
	s_cmpk_lg_i32 s2, 0x400
	v_addc_co_u32_e64 v3, s[0:1], v3, v31, s[0:1]
	v_addc_co_u32_e32 v4, vcc, v4, v30, vcc
	s_cbranch_scc1 .LBB10_128
; %bb.129:
	v_add_u32_e32 v4, v4, v3
	v_ashrrev_i32_e32 v5, 31, v4
	v_add_u32_e32 v1, s38, v2
	v_lshlrev_b64 v[2:3], 2, v[4:5]
	v_mov_b32_e32 v5, s29
	v_add_co_u32_e32 v2, vcc, s28, v2
	v_addc_co_u32_e32 v3, vcc, v5, v3, vcc
	s_add_i32 s0, 0, 0x400
	global_store_dword v[2:3], v1, off
	v_lshlrev_b32_e32 v2, 2, v4
	s_cmp_eq_u32 s33, 0
	v_ashrrev_i32_e32 v3, 31, v2
	v_lshlrev_b64 v[4:5], 2, v[2:3]
	v_lshl_add_u32 v3, v8, 2, s0
	s_cselect_b32 s0, 1, 2
	s_cselect_b32 s1, 2, 1
	v_or_b32_e32 v1, s0, v8
	v_or_b32_e32 v2, s1, v8
	v_mad_u32_u24 v0, v0, 12, v7
	v_lshl_add_u32 v1, v1, 2, 0
	v_lshl_add_u32 v2, v2, 2, 0
	ds_read_b32 v0, v0 offset:1024
	ds_read_b32 v2, v2 offset:1024
	ds_read_b32 v1, v1 offset:1024
	ds_read_b32 v3, v3 offset:12
	v_mov_b32_e32 v6, s31
	v_add_co_u32_e32 v4, vcc, s30, v4
	v_addc_co_u32_e32 v5, vcc, v6, v5, vcc
	s_waitcnt lgkmcnt(0)
	global_store_dwordx4 v[4:5], v[0:3], off
.LBB10_130:
	s_endpgm
	.section	.rodata,"a",@progbits
	.p2align	6, 0x0
	.amdhsa_kernel _ZN9rocsparseL30bsrgemm_fill_block_per_row_2x2ILj256ELj16ELj256ELj137EiifEEv20rocsparse_direction_T4_S2_PKS2_S4_NS_24const_host_device_scalarIT5_EEPKT3_S4_PKS6_SA_S4_SC_S7_SA_S4_SC_SA_PS2_PS6_21rocsparse_index_base_SF_SF_SF_bbb
		.amdhsa_group_segment_fixed_size 0
		.amdhsa_private_segment_fixed_size 0
		.amdhsa_kernarg_size 164
		.amdhsa_user_sgpr_count 6
		.amdhsa_user_sgpr_private_segment_buffer 1
		.amdhsa_user_sgpr_dispatch_ptr 0
		.amdhsa_user_sgpr_queue_ptr 0
		.amdhsa_user_sgpr_kernarg_segment_ptr 1
		.amdhsa_user_sgpr_dispatch_id 0
		.amdhsa_user_sgpr_flat_scratch_init 0
		.amdhsa_user_sgpr_kernarg_preload_length 0
		.amdhsa_user_sgpr_kernarg_preload_offset 0
		.amdhsa_user_sgpr_private_segment_size 0
		.amdhsa_uses_dynamic_stack 0
		.amdhsa_system_sgpr_private_segment_wavefront_offset 0
		.amdhsa_system_sgpr_workgroup_id_x 1
		.amdhsa_system_sgpr_workgroup_id_y 0
		.amdhsa_system_sgpr_workgroup_id_z 0
		.amdhsa_system_sgpr_workgroup_info 0
		.amdhsa_system_vgpr_workitem_id 0
		.amdhsa_next_free_vgpr 42
		.amdhsa_next_free_sgpr 58
		.amdhsa_accum_offset 44
		.amdhsa_reserve_vcc 1
		.amdhsa_reserve_flat_scratch 0
		.amdhsa_float_round_mode_32 0
		.amdhsa_float_round_mode_16_64 0
		.amdhsa_float_denorm_mode_32 3
		.amdhsa_float_denorm_mode_16_64 3
		.amdhsa_dx10_clamp 1
		.amdhsa_ieee_mode 1
		.amdhsa_fp16_overflow 0
		.amdhsa_tg_split 0
		.amdhsa_exception_fp_ieee_invalid_op 0
		.amdhsa_exception_fp_denorm_src 0
		.amdhsa_exception_fp_ieee_div_zero 0
		.amdhsa_exception_fp_ieee_overflow 0
		.amdhsa_exception_fp_ieee_underflow 0
		.amdhsa_exception_fp_ieee_inexact 0
		.amdhsa_exception_int_div_zero 0
	.end_amdhsa_kernel
	.section	.text._ZN9rocsparseL30bsrgemm_fill_block_per_row_2x2ILj256ELj16ELj256ELj137EiifEEv20rocsparse_direction_T4_S2_PKS2_S4_NS_24const_host_device_scalarIT5_EEPKT3_S4_PKS6_SA_S4_SC_S7_SA_S4_SC_SA_PS2_PS6_21rocsparse_index_base_SF_SF_SF_bbb,"axG",@progbits,_ZN9rocsparseL30bsrgemm_fill_block_per_row_2x2ILj256ELj16ELj256ELj137EiifEEv20rocsparse_direction_T4_S2_PKS2_S4_NS_24const_host_device_scalarIT5_EEPKT3_S4_PKS6_SA_S4_SC_S7_SA_S4_SC_SA_PS2_PS6_21rocsparse_index_base_SF_SF_SF_bbb,comdat
.Lfunc_end10:
	.size	_ZN9rocsparseL30bsrgemm_fill_block_per_row_2x2ILj256ELj16ELj256ELj137EiifEEv20rocsparse_direction_T4_S2_PKS2_S4_NS_24const_host_device_scalarIT5_EEPKT3_S4_PKS6_SA_S4_SC_S7_SA_S4_SC_SA_PS2_PS6_21rocsparse_index_base_SF_SF_SF_bbb, .Lfunc_end10-_ZN9rocsparseL30bsrgemm_fill_block_per_row_2x2ILj256ELj16ELj256ELj137EiifEEv20rocsparse_direction_T4_S2_PKS2_S4_NS_24const_host_device_scalarIT5_EEPKT3_S4_PKS6_SA_S4_SC_S7_SA_S4_SC_SA_PS2_PS6_21rocsparse_index_base_SF_SF_SF_bbb
                                        ; -- End function
	.section	.AMDGPU.csdata,"",@progbits
; Kernel info:
; codeLenInByte = 3992
; NumSgprs: 62
; NumVgprs: 42
; NumAgprs: 0
; TotalNumVgprs: 42
; ScratchSize: 0
; MemoryBound: 0
; FloatMode: 240
; IeeeMode: 1
; LDSByteSize: 0 bytes/workgroup (compile time only)
; SGPRBlocks: 7
; VGPRBlocks: 5
; NumSGPRsForWavesPerEU: 62
; NumVGPRsForWavesPerEU: 42
; AccumOffset: 44
; Occupancy: 8
; WaveLimiterHint : 1
; COMPUTE_PGM_RSRC2:SCRATCH_EN: 0
; COMPUTE_PGM_RSRC2:USER_SGPR: 6
; COMPUTE_PGM_RSRC2:TRAP_HANDLER: 0
; COMPUTE_PGM_RSRC2:TGID_X_EN: 1
; COMPUTE_PGM_RSRC2:TGID_Y_EN: 0
; COMPUTE_PGM_RSRC2:TGID_Z_EN: 0
; COMPUTE_PGM_RSRC2:TIDIG_COMP_CNT: 0
; COMPUTE_PGM_RSRC3_GFX90A:ACCUM_OFFSET: 10
; COMPUTE_PGM_RSRC3_GFX90A:TG_SPLIT: 0
	.section	.text._ZN9rocsparseL30bsrgemm_fill_block_per_row_2x2ILj256ELj16ELj512ELj137EiifEEv20rocsparse_direction_T4_S2_PKS2_S4_NS_24const_host_device_scalarIT5_EEPKT3_S4_PKS6_SA_S4_SC_S7_SA_S4_SC_SA_PS2_PS6_21rocsparse_index_base_SF_SF_SF_bbb,"axG",@progbits,_ZN9rocsparseL30bsrgemm_fill_block_per_row_2x2ILj256ELj16ELj512ELj137EiifEEv20rocsparse_direction_T4_S2_PKS2_S4_NS_24const_host_device_scalarIT5_EEPKT3_S4_PKS6_SA_S4_SC_S7_SA_S4_SC_SA_PS2_PS6_21rocsparse_index_base_SF_SF_SF_bbb,comdat
	.globl	_ZN9rocsparseL30bsrgemm_fill_block_per_row_2x2ILj256ELj16ELj512ELj137EiifEEv20rocsparse_direction_T4_S2_PKS2_S4_NS_24const_host_device_scalarIT5_EEPKT3_S4_PKS6_SA_S4_SC_S7_SA_S4_SC_SA_PS2_PS6_21rocsparse_index_base_SF_SF_SF_bbb ; -- Begin function _ZN9rocsparseL30bsrgemm_fill_block_per_row_2x2ILj256ELj16ELj512ELj137EiifEEv20rocsparse_direction_T4_S2_PKS2_S4_NS_24const_host_device_scalarIT5_EEPKT3_S4_PKS6_SA_S4_SC_S7_SA_S4_SC_SA_PS2_PS6_21rocsparse_index_base_SF_SF_SF_bbb
	.p2align	8
	.type	_ZN9rocsparseL30bsrgemm_fill_block_per_row_2x2ILj256ELj16ELj512ELj137EiifEEv20rocsparse_direction_T4_S2_PKS2_S4_NS_24const_host_device_scalarIT5_EEPKT3_S4_PKS6_SA_S4_SC_S7_SA_S4_SC_SA_PS2_PS6_21rocsparse_index_base_SF_SF_SF_bbb,@function
_ZN9rocsparseL30bsrgemm_fill_block_per_row_2x2ILj256ELj16ELj512ELj137EiifEEv20rocsparse_direction_T4_S2_PKS2_S4_NS_24const_host_device_scalarIT5_EEPKT3_S4_PKS6_SA_S4_SC_S7_SA_S4_SC_SA_PS2_PS6_21rocsparse_index_base_SF_SF_SF_bbb: ; @_ZN9rocsparseL30bsrgemm_fill_block_per_row_2x2ILj256ELj16ELj512ELj137EiifEEv20rocsparse_direction_T4_S2_PKS2_S4_NS_24const_host_device_scalarIT5_EEPKT3_S4_PKS6_SA_S4_SC_S7_SA_S4_SC_SA_PS2_PS6_21rocsparse_index_base_SF_SF_SF_bbb
; %bb.0:
	s_load_dword s7, s[4:5], 0xa0
	s_load_dwordx2 s[2:3], s[4:5], 0x20
	s_load_dwordx2 s[0:1], s[4:5], 0x58
	s_waitcnt lgkmcnt(0)
	s_bitcmp1_b32 s7, 0
	s_cselect_b64 s[8:9], -1, 0
	s_bitcmp1_b32 s7, 16
	s_cselect_b64 s[10:11], -1, 0
	s_xor_b64 s[12:13], s[8:9], -1
	s_or_b64 s[12:13], s[12:13], s[10:11]
	s_and_b64 vcc, exec, s[12:13]
	s_cbranch_vccnz .LBB11_2
; %bb.1:
	s_load_dword s2, s[2:3], 0x0
	s_waitcnt lgkmcnt(0)
	v_mov_b32_e32 v7, s2
	s_branch .LBB11_3
.LBB11_2:
	v_mov_b32_e32 v1, s2
	v_cndmask_b32_e64 v7, 0, v1, s[8:9]
.LBB11_3:
	s_bitcmp1_b32 s7, 8
	s_cselect_b64 s[2:3], -1, 0
	s_xor_b64 s[12:13], s[2:3], -1
	s_or_b64 s[10:11], s[12:13], s[10:11]
	s_and_b64 vcc, exec, s[10:11]
	s_cbranch_vccnz .LBB11_5
; %bb.4:
	s_load_dword s0, s[0:1], 0x0
	s_waitcnt lgkmcnt(0)
	v_mov_b32_e32 v1, s0
	s_branch .LBB11_6
.LBB11_5:
	v_mov_b32_e32 v1, s0
	v_cndmask_b32_e64 v1, 0, v1, s[2:3]
.LBB11_6:
	s_load_dwordx4 s[28:31], s[4:5], 0x90
	s_load_dword s33, s[4:5], 0x8
	s_movk_i32 s0, 0x200
	s_movk_i32 s7, 0x1ff
	v_cmp_gt_u32_e64 s[0:1], s0, v0
	v_cmp_lt_u32_e32 vcc, s7, v0
	v_lshlrev_b32_e32 v2, 2, v0
	s_and_saveexec_b64 s[10:11], vcc
	s_xor_b64 s[10:11], exec, s[10:11]
; %bb.7:
	v_lshlrev_b32_e32 v2, 2, v0
; %bb.8:
	s_or_saveexec_b64 s[10:11], s[10:11]
	s_load_dwordx4 s[36:39], s[4:5], 0x80
	s_load_dwordx8 s[12:19], s[4:5], 0x60
	s_load_dwordx4 s[40:43], s[4:5], 0x48
	s_load_dwordx4 s[44:47], s[4:5], 0x10
	s_load_dwordx8 s[20:27], s[4:5], 0x28
	s_xor_b64 exec, exec, s[10:11]
	s_cbranch_execz .LBB11_16
; %bb.9:
	s_mov_b32 s7, 0
	v_add_u32_e32 v3, 0, v2
	s_mov_b64 s[34:35], 0
	s_branch .LBB11_11
.LBB11_10:                              ;   in Loop: Header=BB11_11 Depth=1
	s_or_b64 exec, exec, s[50:51]
	s_add_i32 s7, s7, 2
	v_cmp_eq_u32_e64 s[48:49], 2, s7
	s_or_b64 s[34:35], s[48:49], s[34:35]
	v_add_u32_e32 v3, 0x800, v3
	s_andn2_b64 exec, exec, s[34:35]
	s_cbranch_execz .LBB11_15
.LBB11_11:                              ; =>This Inner Loop Header: Depth=1
	s_or_b32 s48, s7, 1
	v_cmp_le_u32_e64 s[48:49], s48, 1
	v_cmp_le_u32_e64 s[52:53], s7, 1
	s_and_saveexec_b64 s[50:51], s[52:53]
	s_cbranch_execz .LBB11_13
; %bb.12:                               ;   in Loop: Header=BB11_11 Depth=1
	s_waitcnt lgkmcnt(0)
	v_mov_b32_e32 v4, s33
	ds_write_b32 v3, v4
.LBB11_13:                              ;   in Loop: Header=BB11_11 Depth=1
	s_or_b64 exec, exec, s[50:51]
	s_and_saveexec_b64 s[50:51], s[48:49]
	s_cbranch_execz .LBB11_10
; %bb.14:                               ;   in Loop: Header=BB11_11 Depth=1
	s_waitcnt lgkmcnt(0)
	v_mov_b32_e32 v4, s33
	ds_write_b32 v3, v4 offset:1024
	s_branch .LBB11_10
.LBB11_15:
	s_or_b64 exec, exec, s[34:35]
.LBB11_16:
	s_or_b64 exec, exec, s[10:11]
	v_add_u32_e32 v2, 0, v2
	s_mov_b32 s7, 0
	v_add_u32_e32 v2, 0x800, v2
	s_mov_b64 s[10:11], 0
	v_mov_b32_e32 v3, 0
	s_branch .LBB11_18
.LBB11_17:                              ;   in Loop: Header=BB11_18 Depth=1
	s_or_b64 exec, exec, s[48:49]
	s_add_i32 s7, s7, 2
	v_cmp_eq_u32_e64 s[34:35], 8, s7
	s_or_b64 s[10:11], s[34:35], s[10:11]
	v_add_u32_e32 v2, 0x800, v2
	s_andn2_b64 exec, exec, s[10:11]
	s_cbranch_execz .LBB11_22
.LBB11_18:                              ; =>This Inner Loop Header: Depth=1
	s_or_b32 s34, s7, 1
	v_cmp_le_u32_e64 s[34:35], s34, 7
	v_cmp_le_u32_e64 s[50:51], s7, 7
	s_and_saveexec_b64 s[48:49], s[50:51]
	s_cbranch_execz .LBB11_20
; %bb.19:                               ;   in Loop: Header=BB11_18 Depth=1
	ds_write_b32 v2, v3
.LBB11_20:                              ;   in Loop: Header=BB11_18 Depth=1
	s_or_b64 exec, exec, s[48:49]
	s_and_saveexec_b64 s[48:49], s[34:35]
	s_cbranch_execz .LBB11_17
; %bb.21:                               ;   in Loop: Header=BB11_18 Depth=1
	ds_write_b32 v2, v3 offset:1024
	s_branch .LBB11_17
.LBB11_22:
	s_or_b64 exec, exec, s[10:11]
	s_waitcnt lgkmcnt(0)
	s_cmp_eq_u64 s[46:47], 0
	s_barrier
	s_cbranch_scc1 .LBB11_24
; %bb.23:
	s_load_dword s7, s[44:45], 0x0
	s_waitcnt lgkmcnt(0)
	s_add_i32 s6, s7, s6
	s_mov_b32 s7, 0
	s_lshl_b64 s[6:7], s[6:7], 2
	s_add_u32 s6, s46, s6
	s_addc_u32 s7, s47, s7
	s_load_dword s6, s[6:7], 0x0
.LBB11_24:
	s_nop 0
	s_load_dword s54, s[4:5], 0x0
	s_andn2_b64 vcc, exec, s[8:9]
	s_waitcnt lgkmcnt(0)
	s_ashr_i32 s7, s6, 31
	s_cbranch_vccnz .LBB11_80
; %bb.25:
	s_lshl_b64 s[4:5], s[6:7], 2
	s_add_u32 s4, s20, s4
	s_addc_u32 s5, s21, s5
	s_load_dwordx2 s[4:5], s[4:5], 0x0
	v_lshrrev_b32_e32 v2, 4, v0
	v_subrev_u32_e32 v2, s28, v2
	s_waitcnt lgkmcnt(0)
	s_sub_i32 s55, s5, s28
	v_add_u32_e32 v2, s4, v2
	v_cmp_gt_i32_e32 vcc, s55, v2
	s_and_saveexec_b64 s[4:5], vcc
	s_cbranch_execz .LBB11_79
; %bb.26:
	v_and_b32_e32 v3, 15, v0
	s_cmp_eq_u32 s54, 0
	v_subrev_u32_e32 v8, s29, v3
	s_cselect_b32 s56, 1, 2
	s_cselect_b32 s57, 2, 1
	s_mov_b64 s[8:9], 0
	v_mov_b32_e32 v9, s23
	v_mov_b32_e32 v10, s27
	s_movk_i32 s23, 0x89
	s_branch .LBB11_28
.LBB11_27:                              ;   in Loop: Header=BB11_28 Depth=1
	s_or_b64 exec, exec, s[10:11]
	v_add_u32_e32 v2, 16, v2
	v_cmp_le_i32_e32 vcc, s55, v2
	s_or_b64 s[8:9], vcc, s[8:9]
	s_andn2_b64 exec, exec, s[8:9]
	s_cbranch_execz .LBB11_79
.LBB11_28:                              ; =>This Loop Header: Depth=1
                                        ;     Child Loop BB11_31 Depth 2
                                        ;       Child Loop BB11_33 Depth 3
                                        ;       Child Loop BB11_45 Depth 3
	;; [unrolled: 1-line block ×4, first 2 shown]
	v_ashrrev_i32_e32 v3, 31, v2
	v_lshlrev_b64 v[4:5], 2, v[2:3]
	v_add_co_u32_e32 v4, vcc, s22, v4
	v_addc_co_u32_e32 v5, vcc, v9, v5, vcc
	global_load_dword v3, v[4:5], off
	s_waitcnt vmcnt(0)
	v_subrev_u32_e32 v4, s28, v3
	v_ashrrev_i32_e32 v5, 31, v4
	v_lshlrev_b64 v[4:5], 2, v[4:5]
	v_add_co_u32_e32 v4, vcc, s26, v4
	v_addc_co_u32_e32 v5, vcc, v10, v5, vcc
	global_load_dwordx2 v[4:5], v[4:5], off
	s_waitcnt vmcnt(0)
	v_subrev_u32_e32 v3, s29, v5
	v_add_u32_e32 v4, v4, v8
	v_cmp_lt_i32_e32 vcc, v4, v3
	s_and_saveexec_b64 s[10:11], vcc
	s_cbranch_execz .LBB11_27
; %bb.29:                               ;   in Loop: Header=BB11_28 Depth=1
	v_lshlrev_b32_e32 v12, 2, v2
	v_ashrrev_i32_e32 v13, 31, v12
	v_or_b32_e32 v14, s56, v12
	v_or_b32_e32 v16, s57, v12
	v_lshlrev_b64 v[12:13], 2, v[12:13]
	v_mov_b32_e32 v5, s25
	v_add_co_u32_e32 v12, vcc, s24, v12
	v_ashrrev_i32_e32 v17, 31, v16
	v_addc_co_u32_e32 v13, vcc, v5, v13, vcc
	v_lshlrev_b64 v[16:17], 2, v[16:17]
	v_add_co_u32_e32 v16, vcc, s24, v16
	v_ashrrev_i32_e32 v15, 31, v14
	v_addc_co_u32_e32 v17, vcc, v5, v17, vcc
	v_lshlrev_b64 v[14:15], 2, v[14:15]
	v_add_co_u32_e32 v14, vcc, s24, v14
	v_addc_co_u32_e32 v15, vcc, v5, v15, vcc
	global_load_dword v5, v[12:13], off offset:12
	global_load_dword v6, v[16:17], off
	global_load_dword v18, v[14:15], off
	;; [unrolled: 1-line block ×3, first 2 shown]
	s_mov_b64 s[20:21], 0
	s_waitcnt vmcnt(3)
	v_mul_f32_e32 v11, v7, v5
	s_waitcnt vmcnt(2)
	v_mul_f32_e32 v12, v7, v6
	;; [unrolled: 2-line block ×4, first 2 shown]
	s_branch .LBB11_31
.LBB11_30:                              ;   in Loop: Header=BB11_31 Depth=2
	s_or_b64 exec, exec, s[34:35]
	v_add_u32_e32 v4, 16, v4
	v_cmp_ge_i32_e32 vcc, v4, v3
	s_or_b64 s[20:21], vcc, s[20:21]
	s_andn2_b64 exec, exec, s[20:21]
	s_cbranch_execz .LBB11_27
.LBB11_31:                              ;   Parent Loop BB11_28 Depth=1
                                        ; =>  This Loop Header: Depth=2
                                        ;       Child Loop BB11_33 Depth 3
                                        ;       Child Loop BB11_45 Depth 3
	;; [unrolled: 1-line block ×4, first 2 shown]
	v_ashrrev_i32_e32 v5, 31, v4
	v_lshlrev_b64 v[16:17], 2, v[4:5]
	v_mov_b32_e32 v5, s41
	v_add_co_u32_e32 v16, vcc, s40, v16
	v_addc_co_u32_e32 v17, vcc, v5, v17, vcc
	global_load_dword v5, v[16:17], off
	v_lshlrev_b32_e32 v16, 2, v4
	v_ashrrev_i32_e32 v17, 31, v16
	v_or_b32_e32 v20, s56, v16
	v_or_b32_e32 v22, s57, v16
	v_lshlrev_b64 v[16:17], 2, v[16:17]
	v_mov_b32_e32 v6, s43
	v_add_co_u32_e32 v24, vcc, s42, v16
	v_ashrrev_i32_e32 v21, 31, v20
	v_ashrrev_i32_e32 v23, 31, v22
	v_addc_co_u32_e32 v25, vcc, v6, v17, vcc
	v_lshlrev_b64 v[16:17], 2, v[20:21]
	v_lshlrev_b64 v[20:21], 2, v[22:23]
	v_add_co_u32_e32 v20, vcc, s42, v20
	v_addc_co_u32_e32 v21, vcc, v6, v21, vcc
	global_load_dword v18, v[24:25], off
	global_load_dword v19, v[20:21], off
	v_add_co_u32_e32 v16, vcc, s42, v16
	v_addc_co_u32_e32 v17, vcc, v6, v17, vcc
	global_load_dword v16, v[16:17], off
	s_nop 0
	global_load_dword v17, v[24:25], off offset:12
	s_mov_b64 s[34:35], 0
	s_waitcnt vmcnt(4)
	v_subrev_u32_e32 v5, s29, v5
	v_mul_lo_u32 v6, v5, s23
	v_and_b32_e32 v15, 0x1ff, v6
	v_mov_b32_e32 v21, v15
	s_waitcnt vmcnt(2)
	v_mul_f32_e32 v20, v13, v19
	v_fmac_f32_e32 v20, v14, v18
	s_branch .LBB11_33
.LBB11_32:                              ;   in Loop: Header=BB11_33 Depth=3
	s_or_b64 exec, exec, s[44:45]
	s_xor_b64 s[44:45], s[46:47], -1
	s_and_b64 s[44:45], exec, s[44:45]
	s_or_b64 s[34:35], s[44:45], s[34:35]
	s_andn2_b64 exec, exec, s[34:35]
	s_cbranch_execz .LBB11_43
.LBB11_33:                              ;   Parent Loop BB11_28 Depth=1
                                        ;     Parent Loop BB11_31 Depth=2
                                        ; =>    This Inner Loop Header: Depth=3
	v_lshl_add_u32 v6, v21, 2, 0
	ds_read_b32 v22, v6
                                        ; implicit-def: $sgpr46_sgpr47
	s_waitcnt lgkmcnt(0)
	v_cmp_ne_u32_e32 vcc, v22, v5
	s_and_saveexec_b64 s[44:45], vcc
	s_xor_b64 s[44:45], exec, s[44:45]
	s_cbranch_execz .LBB11_41
; %bb.34:                               ;   in Loop: Header=BB11_33 Depth=3
	v_cmp_ne_u32_e32 vcc, s33, v22
                                        ; implicit-def: $sgpr46_sgpr47
	s_and_saveexec_b64 s[48:49], vcc
	s_xor_b64 s[48:49], exec, s[48:49]
; %bb.35:                               ;   in Loop: Header=BB11_33 Depth=3
	v_add_u32_e32 v6, 1, v21
	v_and_b32_e32 v21, 0x1ff, v6
	s_mov_b64 s[46:47], -1
                                        ; implicit-def: $vgpr6
; %bb.36:                               ;   in Loop: Header=BB11_33 Depth=3
	s_andn2_saveexec_b64 s[48:49], s[48:49]
	s_cbranch_execz .LBB11_40
; %bb.37:                               ;   in Loop: Header=BB11_33 Depth=3
	v_mov_b32_e32 v22, s33
	ds_cmpst_rtn_b32 v22, v6, v22, v5
	s_mov_b64 s[50:51], -1
	s_waitcnt lgkmcnt(0)
	v_cmp_eq_u32_e32 vcc, s33, v22
	s_and_saveexec_b64 s[52:53], vcc
	s_cbranch_execz .LBB11_39
; %bb.38:                               ;   in Loop: Header=BB11_33 Depth=3
	v_mad_u64_u32 v[22:23], s[50:51], v21, 12, v[6:7]
	ds_add_f32 v22, v20 offset:2048
	s_xor_b64 s[50:51], exec, -1
.LBB11_39:                              ;   in Loop: Header=BB11_33 Depth=3
	s_or_b64 exec, exec, s[52:53]
	s_andn2_b64 s[46:47], s[46:47], exec
	s_and_b64 s[50:51], s[50:51], exec
	s_or_b64 s[46:47], s[46:47], s[50:51]
.LBB11_40:                              ;   in Loop: Header=BB11_33 Depth=3
	s_or_b64 exec, exec, s[48:49]
	s_and_b64 s[46:47], s[46:47], exec
                                        ; implicit-def: $vgpr6
.LBB11_41:                              ;   in Loop: Header=BB11_33 Depth=3
	s_andn2_saveexec_b64 s[44:45], s[44:45]
	s_cbranch_execz .LBB11_32
; %bb.42:                               ;   in Loop: Header=BB11_33 Depth=3
	v_mad_u64_u32 v[22:23], s[48:49], v21, 12, v[6:7]
	ds_add_f32 v22, v20 offset:2048
	s_andn2_b64 s[46:47], s[46:47], exec
	s_branch .LBB11_32
.LBB11_43:                              ;   in Loop: Header=BB11_31 Depth=2
	s_or_b64 exec, exec, s[34:35]
	s_waitcnt vmcnt(0)
	v_mul_f32_e32 v20, v13, v17
	v_fmac_f32_e32 v20, v14, v16
	s_mov_b64 s[34:35], 0
	v_mov_b32_e32 v21, v15
	s_branch .LBB11_45
.LBB11_44:                              ;   in Loop: Header=BB11_45 Depth=3
	s_or_b64 exec, exec, s[44:45]
	s_xor_b64 s[44:45], s[46:47], -1
	s_and_b64 s[44:45], exec, s[44:45]
	s_or_b64 s[34:35], s[44:45], s[34:35]
	s_andn2_b64 exec, exec, s[34:35]
	s_cbranch_execz .LBB11_55
.LBB11_45:                              ;   Parent Loop BB11_28 Depth=1
                                        ;     Parent Loop BB11_31 Depth=2
                                        ; =>    This Inner Loop Header: Depth=3
	v_lshl_add_u32 v6, v21, 2, 0
	ds_read_b32 v22, v6
                                        ; implicit-def: $sgpr46_sgpr47
	s_waitcnt lgkmcnt(0)
	v_cmp_ne_u32_e32 vcc, v22, v5
	s_and_saveexec_b64 s[44:45], vcc
	s_xor_b64 s[44:45], exec, s[44:45]
	s_cbranch_execz .LBB11_53
; %bb.46:                               ;   in Loop: Header=BB11_45 Depth=3
	v_cmp_ne_u32_e32 vcc, s33, v22
                                        ; implicit-def: $sgpr46_sgpr47
	s_and_saveexec_b64 s[48:49], vcc
	s_xor_b64 s[48:49], exec, s[48:49]
; %bb.47:                               ;   in Loop: Header=BB11_45 Depth=3
	v_add_u32_e32 v6, 1, v21
	v_and_b32_e32 v21, 0x1ff, v6
	s_mov_b64 s[46:47], -1
                                        ; implicit-def: $vgpr6
; %bb.48:                               ;   in Loop: Header=BB11_45 Depth=3
	s_andn2_saveexec_b64 s[48:49], s[48:49]
	s_cbranch_execz .LBB11_52
; %bb.49:                               ;   in Loop: Header=BB11_45 Depth=3
	v_mov_b32_e32 v22, s33
	ds_cmpst_rtn_b32 v22, v6, v22, v5
	s_mov_b64 s[50:51], -1
	s_waitcnt lgkmcnt(0)
	v_cmp_eq_u32_e32 vcc, s33, v22
	s_and_saveexec_b64 s[52:53], vcc
	s_cbranch_execz .LBB11_51
; %bb.50:                               ;   in Loop: Header=BB11_45 Depth=3
	v_mad_u64_u32 v[22:23], s[50:51], v21, 12, v[6:7]
	ds_add_f32 v22, v20 offset:2052
	s_xor_b64 s[50:51], exec, -1
.LBB11_51:                              ;   in Loop: Header=BB11_45 Depth=3
	s_or_b64 exec, exec, s[52:53]
	s_andn2_b64 s[46:47], s[46:47], exec
	s_and_b64 s[50:51], s[50:51], exec
	s_or_b64 s[46:47], s[46:47], s[50:51]
.LBB11_52:                              ;   in Loop: Header=BB11_45 Depth=3
	s_or_b64 exec, exec, s[48:49]
	s_and_b64 s[46:47], s[46:47], exec
                                        ; implicit-def: $vgpr6
.LBB11_53:                              ;   in Loop: Header=BB11_45 Depth=3
	s_andn2_saveexec_b64 s[44:45], s[44:45]
	s_cbranch_execz .LBB11_44
; %bb.54:                               ;   in Loop: Header=BB11_45 Depth=3
	v_mad_u64_u32 v[22:23], s[48:49], v21, 12, v[6:7]
	ds_add_f32 v22, v20 offset:2052
	s_andn2_b64 s[46:47], s[46:47], exec
	s_branch .LBB11_44
.LBB11_55:                              ;   in Loop: Header=BB11_31 Depth=2
	s_or_b64 exec, exec, s[34:35]
	v_mul_f32_e32 v19, v11, v19
	v_fmac_f32_e32 v19, v12, v18
	s_mov_b64 s[34:35], 0
	v_mov_b32_e32 v18, v15
	s_branch .LBB11_57
.LBB11_56:                              ;   in Loop: Header=BB11_57 Depth=3
	s_or_b64 exec, exec, s[44:45]
	s_xor_b64 s[44:45], s[46:47], -1
	s_and_b64 s[44:45], exec, s[44:45]
	s_or_b64 s[34:35], s[44:45], s[34:35]
	s_andn2_b64 exec, exec, s[34:35]
	s_cbranch_execz .LBB11_67
.LBB11_57:                              ;   Parent Loop BB11_28 Depth=1
                                        ;     Parent Loop BB11_31 Depth=2
                                        ; =>    This Inner Loop Header: Depth=3
	v_lshl_add_u32 v6, v18, 2, 0
	ds_read_b32 v20, v6
                                        ; implicit-def: $sgpr46_sgpr47
	s_waitcnt lgkmcnt(0)
	v_cmp_ne_u32_e32 vcc, v20, v5
	s_and_saveexec_b64 s[44:45], vcc
	s_xor_b64 s[44:45], exec, s[44:45]
	s_cbranch_execz .LBB11_65
; %bb.58:                               ;   in Loop: Header=BB11_57 Depth=3
	v_cmp_ne_u32_e32 vcc, s33, v20
                                        ; implicit-def: $sgpr46_sgpr47
	s_and_saveexec_b64 s[48:49], vcc
	s_xor_b64 s[48:49], exec, s[48:49]
; %bb.59:                               ;   in Loop: Header=BB11_57 Depth=3
	v_add_u32_e32 v6, 1, v18
	v_and_b32_e32 v18, 0x1ff, v6
	s_mov_b64 s[46:47], -1
                                        ; implicit-def: $vgpr6
; %bb.60:                               ;   in Loop: Header=BB11_57 Depth=3
	s_andn2_saveexec_b64 s[48:49], s[48:49]
	s_cbranch_execz .LBB11_64
; %bb.61:                               ;   in Loop: Header=BB11_57 Depth=3
	v_mov_b32_e32 v20, s33
	ds_cmpst_rtn_b32 v20, v6, v20, v5
	s_mov_b64 s[50:51], -1
	s_waitcnt lgkmcnt(0)
	v_cmp_eq_u32_e32 vcc, s33, v20
	s_and_saveexec_b64 s[52:53], vcc
	s_cbranch_execz .LBB11_63
; %bb.62:                               ;   in Loop: Header=BB11_57 Depth=3
	v_mad_u64_u32 v[20:21], s[50:51], v18, 12, v[6:7]
	ds_add_f32 v20, v19 offset:2056
	s_xor_b64 s[50:51], exec, -1
.LBB11_63:                              ;   in Loop: Header=BB11_57 Depth=3
	s_or_b64 exec, exec, s[52:53]
	s_andn2_b64 s[46:47], s[46:47], exec
	s_and_b64 s[50:51], s[50:51], exec
	s_or_b64 s[46:47], s[46:47], s[50:51]
.LBB11_64:                              ;   in Loop: Header=BB11_57 Depth=3
	s_or_b64 exec, exec, s[48:49]
	s_and_b64 s[46:47], s[46:47], exec
                                        ; implicit-def: $vgpr6
.LBB11_65:                              ;   in Loop: Header=BB11_57 Depth=3
	s_andn2_saveexec_b64 s[44:45], s[44:45]
	s_cbranch_execz .LBB11_56
; %bb.66:                               ;   in Loop: Header=BB11_57 Depth=3
	v_mad_u64_u32 v[20:21], s[48:49], v18, 12, v[6:7]
	ds_add_f32 v20, v19 offset:2056
	s_andn2_b64 s[46:47], s[46:47], exec
	s_branch .LBB11_56
.LBB11_67:                              ;   in Loop: Header=BB11_31 Depth=2
	s_or_b64 exec, exec, s[34:35]
	v_mul_f32_e32 v17, v11, v17
	v_fmac_f32_e32 v17, v12, v16
	s_mov_b64 s[34:35], 0
	s_branch .LBB11_69
.LBB11_68:                              ;   in Loop: Header=BB11_69 Depth=3
	s_or_b64 exec, exec, s[44:45]
	s_xor_b64 s[44:45], s[46:47], -1
	s_and_b64 s[44:45], exec, s[44:45]
	s_or_b64 s[34:35], s[44:45], s[34:35]
	s_andn2_b64 exec, exec, s[34:35]
	s_cbranch_execz .LBB11_30
.LBB11_69:                              ;   Parent Loop BB11_28 Depth=1
                                        ;     Parent Loop BB11_31 Depth=2
                                        ; =>    This Inner Loop Header: Depth=3
	v_lshl_add_u32 v6, v15, 2, 0
	ds_read_b32 v16, v6
                                        ; implicit-def: $sgpr46_sgpr47
	s_waitcnt lgkmcnt(0)
	v_cmp_ne_u32_e32 vcc, v16, v5
	s_and_saveexec_b64 s[44:45], vcc
	s_xor_b64 s[44:45], exec, s[44:45]
	s_cbranch_execz .LBB11_77
; %bb.70:                               ;   in Loop: Header=BB11_69 Depth=3
	v_cmp_ne_u32_e32 vcc, s33, v16
                                        ; implicit-def: $sgpr46_sgpr47
	s_and_saveexec_b64 s[48:49], vcc
	s_xor_b64 s[48:49], exec, s[48:49]
; %bb.71:                               ;   in Loop: Header=BB11_69 Depth=3
	v_add_u32_e32 v6, 1, v15
	v_and_b32_e32 v15, 0x1ff, v6
	s_mov_b64 s[46:47], -1
                                        ; implicit-def: $vgpr6
; %bb.72:                               ;   in Loop: Header=BB11_69 Depth=3
	s_andn2_saveexec_b64 s[48:49], s[48:49]
	s_cbranch_execz .LBB11_76
; %bb.73:                               ;   in Loop: Header=BB11_69 Depth=3
	v_mov_b32_e32 v16, s33
	ds_cmpst_rtn_b32 v16, v6, v16, v5
	s_mov_b64 s[50:51], -1
	s_waitcnt lgkmcnt(0)
	v_cmp_eq_u32_e32 vcc, s33, v16
	s_and_saveexec_b64 s[52:53], vcc
	s_cbranch_execz .LBB11_75
; %bb.74:                               ;   in Loop: Header=BB11_69 Depth=3
	v_mad_u64_u32 v[18:19], s[50:51], v15, 12, v[6:7]
	ds_add_f32 v18, v17 offset:2060
	s_xor_b64 s[50:51], exec, -1
.LBB11_75:                              ;   in Loop: Header=BB11_69 Depth=3
	s_or_b64 exec, exec, s[52:53]
	s_andn2_b64 s[46:47], s[46:47], exec
	s_and_b64 s[50:51], s[50:51], exec
	s_or_b64 s[46:47], s[46:47], s[50:51]
.LBB11_76:                              ;   in Loop: Header=BB11_69 Depth=3
	s_or_b64 exec, exec, s[48:49]
	s_and_b64 s[46:47], s[46:47], exec
                                        ; implicit-def: $vgpr6
.LBB11_77:                              ;   in Loop: Header=BB11_69 Depth=3
	s_andn2_saveexec_b64 s[44:45], s[44:45]
	s_cbranch_execz .LBB11_68
; %bb.78:                               ;   in Loop: Header=BB11_69 Depth=3
	v_mad_u64_u32 v[18:19], s[48:49], v15, 12, v[6:7]
	ds_add_f32 v18, v17 offset:2060
	s_andn2_b64 s[46:47], s[46:47], exec
	s_branch .LBB11_68
.LBB11_79:
	s_or_b64 exec, exec, s[4:5]
.LBB11_80:
	s_andn2_b64 vcc, exec, s[2:3]
	s_waitcnt lgkmcnt(0)
	s_barrier
	s_cbranch_vccnz .LBB11_133
; %bb.81:
	s_lshl_b64 s[2:3], s[6:7], 2
	s_add_u32 s2, s12, s2
	s_addc_u32 s3, s13, s3
	s_load_dwordx2 s[2:3], s[2:3], 0x0
	v_subrev_u32_e32 v2, s31, v0
	s_waitcnt lgkmcnt(0)
	s_sub_i32 s26, s3, s31
	v_add_u32_e32 v2, s2, v2
	v_cmp_gt_i32_e32 vcc, s26, v2
	s_and_saveexec_b64 s[2:3], vcc
	s_cbranch_execz .LBB11_132
; %bb.82:
	s_cmp_eq_u32 s54, 0
	s_cselect_b32 s27, 1, 2
	s_cselect_b32 s28, 2, 1
	s_mov_b64 s[4:5], 0
	v_mov_b32_e32 v5, s17
	v_mov_b32_e32 v6, s15
	s_movk_i32 s15, 0x89
	s_branch .LBB11_84
.LBB11_83:                              ;   in Loop: Header=BB11_84 Depth=1
	s_or_b64 exec, exec, s[8:9]
	v_add_u32_e32 v2, 0x100, v2
	v_cmp_le_i32_e32 vcc, s26, v2
	s_or_b64 s[4:5], vcc, s[4:5]
	s_andn2_b64 exec, exec, s[4:5]
	s_cbranch_execz .LBB11_132
.LBB11_84:                              ; =>This Loop Header: Depth=1
                                        ;     Child Loop BB11_86 Depth 2
                                        ;     Child Loop BB11_98 Depth 2
	;; [unrolled: 1-line block ×4, first 2 shown]
	v_lshlrev_b32_e32 v8, 2, v2
	v_ashrrev_i32_e32 v9, 31, v8
	v_or_b32_e32 v10, s27, v8
	v_or_b32_e32 v12, s28, v8
	v_lshlrev_b64 v[8:9], 2, v[8:9]
	v_add_co_u32_e32 v14, vcc, s16, v8
	v_ashrrev_i32_e32 v11, 31, v10
	v_addc_co_u32_e32 v15, vcc, v5, v9, vcc
	v_lshlrev_b64 v[8:9], 2, v[10:11]
	v_add_co_u32_e32 v16, vcc, s16, v8
	v_ashrrev_i32_e32 v3, 31, v2
	v_addc_co_u32_e32 v17, vcc, v5, v9, vcc
	;; [unrolled: 4-line block ×3, first 2 shown]
	v_lshlrev_b64 v[8:9], 2, v[12:13]
	global_load_dword v3, v[10:11], off
	global_load_dword v4, v[14:15], off
	v_add_co_u32_e32 v12, vcc, s16, v8
	v_addc_co_u32_e32 v13, vcc, v5, v9, vcc
	global_load_dword v9, v[12:13], off
	global_load_dword v10, v[16:17], off
	global_load_dword v8, v[14:15], off offset:12
	s_mov_b64 s[8:9], 0
	s_waitcnt vmcnt(4)
	v_subrev_u32_e32 v3, s31, v3
	s_waitcnt vmcnt(3)
	v_mul_f32_e32 v11, v1, v4
	v_mul_lo_u32 v4, v3, s15
	v_and_b32_e32 v7, 0x1ff, v4
	v_mov_b32_e32 v12, v7
	s_branch .LBB11_86
.LBB11_85:                              ;   in Loop: Header=BB11_86 Depth=2
	s_or_b64 exec, exec, s[10:11]
	s_xor_b64 s[10:11], s[12:13], -1
	s_and_b64 s[10:11], exec, s[10:11]
	s_or_b64 s[8:9], s[10:11], s[8:9]
	s_andn2_b64 exec, exec, s[8:9]
	s_cbranch_execz .LBB11_96
.LBB11_86:                              ;   Parent Loop BB11_84 Depth=1
                                        ; =>  This Inner Loop Header: Depth=2
	v_lshl_add_u32 v4, v12, 2, 0
	ds_read_b32 v13, v4
                                        ; implicit-def: $sgpr12_sgpr13
	s_waitcnt lgkmcnt(0)
	v_cmp_ne_u32_e32 vcc, v13, v3
	s_and_saveexec_b64 s[10:11], vcc
	s_xor_b64 s[10:11], exec, s[10:11]
	s_cbranch_execz .LBB11_94
; %bb.87:                               ;   in Loop: Header=BB11_86 Depth=2
	v_cmp_ne_u32_e32 vcc, s33, v13
                                        ; implicit-def: $sgpr12_sgpr13
	s_and_saveexec_b64 s[20:21], vcc
	s_xor_b64 s[20:21], exec, s[20:21]
; %bb.88:                               ;   in Loop: Header=BB11_86 Depth=2
	v_add_u32_e32 v4, 1, v12
	v_and_b32_e32 v12, 0x1ff, v4
	s_mov_b64 s[12:13], -1
                                        ; implicit-def: $vgpr4
; %bb.89:                               ;   in Loop: Header=BB11_86 Depth=2
	s_andn2_saveexec_b64 s[20:21], s[20:21]
	s_cbranch_execz .LBB11_93
; %bb.90:                               ;   in Loop: Header=BB11_86 Depth=2
	v_mov_b32_e32 v13, s33
	ds_cmpst_rtn_b32 v13, v4, v13, v3
	s_mov_b64 s[22:23], -1
	s_waitcnt lgkmcnt(0)
	v_cmp_eq_u32_e32 vcc, s33, v13
	s_and_saveexec_b64 s[24:25], vcc
	s_cbranch_execz .LBB11_92
; %bb.91:                               ;   in Loop: Header=BB11_86 Depth=2
	v_mad_u64_u32 v[14:15], s[22:23], v12, 12, v[4:5]
	ds_add_f32 v14, v11 offset:2048
	s_xor_b64 s[22:23], exec, -1
.LBB11_92:                              ;   in Loop: Header=BB11_86 Depth=2
	s_or_b64 exec, exec, s[24:25]
	s_andn2_b64 s[12:13], s[12:13], exec
	s_and_b64 s[22:23], s[22:23], exec
	s_or_b64 s[12:13], s[12:13], s[22:23]
.LBB11_93:                              ;   in Loop: Header=BB11_86 Depth=2
	s_or_b64 exec, exec, s[20:21]
	s_and_b64 s[12:13], s[12:13], exec
                                        ; implicit-def: $vgpr4
.LBB11_94:                              ;   in Loop: Header=BB11_86 Depth=2
	s_andn2_saveexec_b64 s[10:11], s[10:11]
	s_cbranch_execz .LBB11_85
; %bb.95:                               ;   in Loop: Header=BB11_86 Depth=2
	v_mad_u64_u32 v[14:15], s[20:21], v12, 12, v[4:5]
	ds_add_f32 v14, v11 offset:2048
	s_andn2_b64 s[12:13], s[12:13], exec
	s_branch .LBB11_85
.LBB11_96:                              ;   in Loop: Header=BB11_84 Depth=1
	s_or_b64 exec, exec, s[8:9]
	s_waitcnt vmcnt(1)
	v_mul_f32_e32 v10, v1, v10
	s_mov_b64 s[8:9], 0
	v_mov_b32_e32 v11, v7
	s_branch .LBB11_98
.LBB11_97:                              ;   in Loop: Header=BB11_98 Depth=2
	s_or_b64 exec, exec, s[10:11]
	s_xor_b64 s[10:11], s[12:13], -1
	s_and_b64 s[10:11], exec, s[10:11]
	s_or_b64 s[8:9], s[10:11], s[8:9]
	s_andn2_b64 exec, exec, s[8:9]
	s_cbranch_execz .LBB11_108
.LBB11_98:                              ;   Parent Loop BB11_84 Depth=1
                                        ; =>  This Inner Loop Header: Depth=2
	v_lshl_add_u32 v4, v11, 2, 0
	ds_read_b32 v12, v4
                                        ; implicit-def: $sgpr12_sgpr13
	s_waitcnt lgkmcnt(0)
	v_cmp_ne_u32_e32 vcc, v12, v3
	s_and_saveexec_b64 s[10:11], vcc
	s_xor_b64 s[10:11], exec, s[10:11]
	s_cbranch_execz .LBB11_106
; %bb.99:                               ;   in Loop: Header=BB11_98 Depth=2
	v_cmp_ne_u32_e32 vcc, s33, v12
                                        ; implicit-def: $sgpr12_sgpr13
	s_and_saveexec_b64 s[20:21], vcc
	s_xor_b64 s[20:21], exec, s[20:21]
; %bb.100:                              ;   in Loop: Header=BB11_98 Depth=2
	v_add_u32_e32 v4, 1, v11
	v_and_b32_e32 v11, 0x1ff, v4
	s_mov_b64 s[12:13], -1
                                        ; implicit-def: $vgpr4
; %bb.101:                              ;   in Loop: Header=BB11_98 Depth=2
	s_andn2_saveexec_b64 s[20:21], s[20:21]
	s_cbranch_execz .LBB11_105
; %bb.102:                              ;   in Loop: Header=BB11_98 Depth=2
	v_mov_b32_e32 v12, s33
	ds_cmpst_rtn_b32 v12, v4, v12, v3
	s_mov_b64 s[22:23], -1
	s_waitcnt lgkmcnt(0)
	v_cmp_eq_u32_e32 vcc, s33, v12
	s_and_saveexec_b64 s[24:25], vcc
	s_cbranch_execz .LBB11_104
; %bb.103:                              ;   in Loop: Header=BB11_98 Depth=2
	v_mad_u64_u32 v[12:13], s[22:23], v11, 12, v[4:5]
	ds_add_f32 v12, v10 offset:2052
	s_xor_b64 s[22:23], exec, -1
.LBB11_104:                             ;   in Loop: Header=BB11_98 Depth=2
	s_or_b64 exec, exec, s[24:25]
	s_andn2_b64 s[12:13], s[12:13], exec
	s_and_b64 s[22:23], s[22:23], exec
	s_or_b64 s[12:13], s[12:13], s[22:23]
.LBB11_105:                             ;   in Loop: Header=BB11_98 Depth=2
	s_or_b64 exec, exec, s[20:21]
	s_and_b64 s[12:13], s[12:13], exec
                                        ; implicit-def: $vgpr4
.LBB11_106:                             ;   in Loop: Header=BB11_98 Depth=2
	s_andn2_saveexec_b64 s[10:11], s[10:11]
	s_cbranch_execz .LBB11_97
; %bb.107:                              ;   in Loop: Header=BB11_98 Depth=2
	v_mad_u64_u32 v[12:13], s[20:21], v11, 12, v[4:5]
	ds_add_f32 v12, v10 offset:2052
	s_andn2_b64 s[12:13], s[12:13], exec
	s_branch .LBB11_97
.LBB11_108:                             ;   in Loop: Header=BB11_84 Depth=1
	s_or_b64 exec, exec, s[8:9]
	v_mul_f32_e32 v9, v1, v9
	s_mov_b64 s[8:9], 0
	v_mov_b32_e32 v10, v7
	s_branch .LBB11_110
.LBB11_109:                             ;   in Loop: Header=BB11_110 Depth=2
	s_or_b64 exec, exec, s[10:11]
	s_xor_b64 s[10:11], s[12:13], -1
	s_and_b64 s[10:11], exec, s[10:11]
	s_or_b64 s[8:9], s[10:11], s[8:9]
	s_andn2_b64 exec, exec, s[8:9]
	s_cbranch_execz .LBB11_120
.LBB11_110:                             ;   Parent Loop BB11_84 Depth=1
                                        ; =>  This Inner Loop Header: Depth=2
	v_lshl_add_u32 v4, v10, 2, 0
	ds_read_b32 v11, v4
                                        ; implicit-def: $sgpr12_sgpr13
	s_waitcnt lgkmcnt(0)
	v_cmp_ne_u32_e32 vcc, v11, v3
	s_and_saveexec_b64 s[10:11], vcc
	s_xor_b64 s[10:11], exec, s[10:11]
	s_cbranch_execz .LBB11_118
; %bb.111:                              ;   in Loop: Header=BB11_110 Depth=2
	v_cmp_ne_u32_e32 vcc, s33, v11
                                        ; implicit-def: $sgpr12_sgpr13
	s_and_saveexec_b64 s[20:21], vcc
	s_xor_b64 s[20:21], exec, s[20:21]
; %bb.112:                              ;   in Loop: Header=BB11_110 Depth=2
	v_add_u32_e32 v4, 1, v10
	v_and_b32_e32 v10, 0x1ff, v4
	s_mov_b64 s[12:13], -1
                                        ; implicit-def: $vgpr4
; %bb.113:                              ;   in Loop: Header=BB11_110 Depth=2
	s_andn2_saveexec_b64 s[20:21], s[20:21]
	s_cbranch_execz .LBB11_117
; %bb.114:                              ;   in Loop: Header=BB11_110 Depth=2
	v_mov_b32_e32 v11, s33
	ds_cmpst_rtn_b32 v11, v4, v11, v3
	s_mov_b64 s[22:23], -1
	s_waitcnt lgkmcnt(0)
	v_cmp_eq_u32_e32 vcc, s33, v11
	s_and_saveexec_b64 s[24:25], vcc
	s_cbranch_execz .LBB11_116
; %bb.115:                              ;   in Loop: Header=BB11_110 Depth=2
	v_mad_u64_u32 v[12:13], s[22:23], v10, 12, v[4:5]
	ds_add_f32 v12, v9 offset:2056
	s_xor_b64 s[22:23], exec, -1
.LBB11_116:                             ;   in Loop: Header=BB11_110 Depth=2
	s_or_b64 exec, exec, s[24:25]
	s_andn2_b64 s[12:13], s[12:13], exec
	s_and_b64 s[22:23], s[22:23], exec
	s_or_b64 s[12:13], s[12:13], s[22:23]
.LBB11_117:                             ;   in Loop: Header=BB11_110 Depth=2
	s_or_b64 exec, exec, s[20:21]
	s_and_b64 s[12:13], s[12:13], exec
                                        ; implicit-def: $vgpr4
.LBB11_118:                             ;   in Loop: Header=BB11_110 Depth=2
	s_andn2_saveexec_b64 s[10:11], s[10:11]
	s_cbranch_execz .LBB11_109
; %bb.119:                              ;   in Loop: Header=BB11_110 Depth=2
	v_mad_u64_u32 v[12:13], s[20:21], v10, 12, v[4:5]
	ds_add_f32 v12, v9 offset:2056
	s_andn2_b64 s[12:13], s[12:13], exec
	s_branch .LBB11_109
.LBB11_120:                             ;   in Loop: Header=BB11_84 Depth=1
	s_or_b64 exec, exec, s[8:9]
	s_waitcnt vmcnt(0)
	v_mul_f32_e32 v8, v1, v8
	s_mov_b64 s[8:9], 0
	s_branch .LBB11_122
.LBB11_121:                             ;   in Loop: Header=BB11_122 Depth=2
	s_or_b64 exec, exec, s[10:11]
	s_xor_b64 s[10:11], s[12:13], -1
	s_and_b64 s[10:11], exec, s[10:11]
	s_or_b64 s[8:9], s[10:11], s[8:9]
	s_andn2_b64 exec, exec, s[8:9]
	s_cbranch_execz .LBB11_83
.LBB11_122:                             ;   Parent Loop BB11_84 Depth=1
                                        ; =>  This Inner Loop Header: Depth=2
	v_lshl_add_u32 v4, v7, 2, 0
	ds_read_b32 v9, v4
                                        ; implicit-def: $sgpr12_sgpr13
	s_waitcnt lgkmcnt(0)
	v_cmp_ne_u32_e32 vcc, v9, v3
	s_and_saveexec_b64 s[10:11], vcc
	s_xor_b64 s[10:11], exec, s[10:11]
	s_cbranch_execz .LBB11_130
; %bb.123:                              ;   in Loop: Header=BB11_122 Depth=2
	v_cmp_ne_u32_e32 vcc, s33, v9
                                        ; implicit-def: $sgpr12_sgpr13
	s_and_saveexec_b64 s[20:21], vcc
	s_xor_b64 s[20:21], exec, s[20:21]
; %bb.124:                              ;   in Loop: Header=BB11_122 Depth=2
	v_add_u32_e32 v4, 1, v7
	v_and_b32_e32 v7, 0x1ff, v4
	s_mov_b64 s[12:13], -1
                                        ; implicit-def: $vgpr4
; %bb.125:                              ;   in Loop: Header=BB11_122 Depth=2
	s_andn2_saveexec_b64 s[20:21], s[20:21]
	s_cbranch_execz .LBB11_129
; %bb.126:                              ;   in Loop: Header=BB11_122 Depth=2
	v_mov_b32_e32 v9, s33
	ds_cmpst_rtn_b32 v9, v4, v9, v3
	s_mov_b64 s[22:23], -1
	s_waitcnt lgkmcnt(0)
	v_cmp_eq_u32_e32 vcc, s33, v9
	s_and_saveexec_b64 s[24:25], vcc
	s_cbranch_execz .LBB11_128
; %bb.127:                              ;   in Loop: Header=BB11_122 Depth=2
	v_mad_u64_u32 v[10:11], s[22:23], v7, 12, v[4:5]
	ds_add_f32 v10, v8 offset:2060
	s_xor_b64 s[22:23], exec, -1
.LBB11_128:                             ;   in Loop: Header=BB11_122 Depth=2
	s_or_b64 exec, exec, s[24:25]
	s_andn2_b64 s[12:13], s[12:13], exec
	s_and_b64 s[22:23], s[22:23], exec
	s_or_b64 s[12:13], s[12:13], s[22:23]
.LBB11_129:                             ;   in Loop: Header=BB11_122 Depth=2
	s_or_b64 exec, exec, s[20:21]
	s_and_b64 s[12:13], s[12:13], exec
                                        ; implicit-def: $vgpr4
.LBB11_130:                             ;   in Loop: Header=BB11_122 Depth=2
	s_andn2_saveexec_b64 s[10:11], s[10:11]
	s_cbranch_execz .LBB11_121
; %bb.131:                              ;   in Loop: Header=BB11_122 Depth=2
	v_mad_u64_u32 v[10:11], s[20:21], v7, 12, v[4:5]
	ds_add_f32 v10, v8 offset:2060
	s_andn2_b64 s[12:13], s[12:13], exec
	s_branch .LBB11_121
.LBB11_132:
	s_or_b64 exec, exec, s[2:3]
.LBB11_133:
	s_waitcnt lgkmcnt(0)
	s_barrier
	s_and_saveexec_b64 s[2:3], s[0:1]
	s_cbranch_execz .LBB11_140
; %bb.134:
	s_lshl_b64 s[0:1], s[6:7], 2
	s_add_u32 s0, s18, s0
	s_addc_u32 s1, s19, s1
	s_load_dword s0, s[0:1], 0x0
	s_mov_b64 s[2:3], 0
	s_movk_i32 s10, 0xff
	s_waitcnt lgkmcnt(0)
	s_sub_i32 s6, s0, s30
	s_cmp_eq_u32 s54, 0
	s_cselect_b32 s7, 1, 2
	s_cselect_b32 s8, 2, 1
	s_add_i32 s9, 0, 0x800
	s_branch .LBB11_136
.LBB11_135:                             ;   in Loop: Header=BB11_136 Depth=1
	s_or_b64 exec, exec, s[4:5]
	v_add_u32_e32 v1, 0x100, v0
	v_cmp_lt_u32_e32 vcc, s10, v0
	s_or_b64 s[2:3], vcc, s[2:3]
	v_mov_b32_e32 v0, v1
	s_andn2_b64 exec, exec, s[2:3]
	s_cbranch_execz .LBB11_140
.LBB11_136:                             ; =>This Loop Header: Depth=1
                                        ;     Child Loop BB11_138 Depth 2
	v_lshl_add_u32 v2, v0, 2, 0
	ds_read_b32 v4, v2
	s_waitcnt lgkmcnt(0)
	v_cmp_gt_i32_e32 vcc, s33, v4
	s_and_saveexec_b64 s[4:5], vcc
	s_cbranch_execz .LBB11_135
; %bb.137:                              ;   in Loop: Header=BB11_136 Depth=1
	v_mov_b32_e32 v1, v4
	s_mov_b32 s11, 0
	v_mov_b32_e32 v5, s6
	v_mov_b32_e32 v3, 0
.LBB11_138:                             ;   Parent Loop BB11_136 Depth=1
                                        ; =>  This Inner Loop Header: Depth=2
	s_add_i32 s0, s11, 0
	v_mov_b32_e32 v36, s0
	ds_read2_b32 v[6:7], v36 offset1:1
	ds_read2_b32 v[8:9], v36 offset0:2 offset1:3
	ds_read2_b32 v[10:11], v36 offset0:4 offset1:5
	;; [unrolled: 1-line block ×15, first 2 shown]
	s_waitcnt lgkmcnt(14)
	v_cmp_gt_i32_e32 vcc, v1, v7
	v_cndmask_b32_e64 v7, 0, 1, vcc
	v_cmp_gt_i32_e32 vcc, v4, v6
	s_waitcnt lgkmcnt(13)
	v_cmp_gt_i32_e64 s[0:1], v4, v10
	v_cndmask_b32_e64 v6, 0, 1, vcc
	v_cmp_gt_i32_e32 vcc, v1, v9
	v_cndmask_b32_e64 v9, 0, 1, s[0:1]
	v_cmp_gt_i32_e64 s[0:1], v1, v11
	v_cndmask_b32_e64 v10, 0, 1, s[0:1]
	s_waitcnt lgkmcnt(11)
	v_cmp_gt_i32_e64 s[0:1], v1, v15
	v_cndmask_b32_e64 v11, 0, 1, s[0:1]
	v_cmp_gt_i32_e64 s[0:1], v4, v14
	v_cndmask_b32_e64 v14, 0, 1, s[0:1]
	s_waitcnt lgkmcnt(9)
	v_cmp_gt_i32_e64 s[0:1], v4, v18
	;; [unrolled: 5-line block ×6, first 2 shown]
	v_cndmask_b32_e64 v31, 0, 1, s[0:1]
	v_cmp_gt_i32_e64 s[0:1], v1, v35
	v_cndmask_b32_e64 v34, 0, 1, s[0:1]
	v_cmp_gt_i32_e64 s[0:1], v4, v8
	v_addc_co_u32_e64 v5, s[0:1], v5, v6, s[0:1]
	v_addc_co_u32_e32 v3, vcc, v3, v7, vcc
	v_cmp_gt_i32_e32 vcc, v4, v12
	v_cmp_gt_i32_e64 s[0:1], v1, v13
	v_addc_co_u32_e64 v3, s[0:1], v3, v10, s[0:1]
	v_addc_co_u32_e32 v5, vcc, v5, v9, vcc
	v_cmp_gt_i32_e32 vcc, v1, v17
	;; [unrolled: 4-line block ×6, first 2 shown]
	v_cmp_gt_i32_e64 s[0:1], v4, v32
	v_addc_co_u32_e64 v5, s[0:1], v5, v30, s[0:1]
	v_addc_co_u32_e32 v3, vcc, v3, v27, vcc
	s_addk_i32 s11, 0x80
	s_waitcnt lgkmcnt(0)
	v_cmp_gt_i32_e32 vcc, v4, v36
	v_cmp_gt_i32_e64 s[0:1], v1, v37
	s_cmpk_lg_i32 s11, 0x800
	v_addc_co_u32_e64 v3, s[0:1], v3, v34, s[0:1]
	v_addc_co_u32_e32 v5, vcc, v5, v31, vcc
	s_cbranch_scc1 .LBB11_138
; %bb.139:                              ;   in Loop: Header=BB11_136 Depth=1
	v_add_u32_e32 v6, v5, v3
	v_ashrrev_i32_e32 v7, 31, v6
	v_add_u32_e32 v1, s30, v4
	v_lshlrev_b64 v[4:5], 2, v[6:7]
	v_mov_b32_e32 v3, s37
	v_add_co_u32_e32 v4, vcc, s36, v4
	v_addc_co_u32_e32 v5, vcc, v3, v5, vcc
	global_store_dword v[4:5], v1, off
	v_lshlrev_b32_e32 v1, 2, v0
	v_mad_u64_u32 v[2:3], s[0:1], v0, 12, v[2:3]
	v_lshlrev_b32_e32 v4, 2, v6
	v_ashrrev_i32_e32 v5, 31, v4
	v_or_b32_e32 v3, s7, v1
	v_or_b32_e32 v1, s8, v1
	v_lshlrev_b64 v[6:7], 2, v[4:5]
	v_lshl_add_u32 v5, v0, 4, s9
	v_lshl_add_u32 v3, v3, 2, s9
	;; [unrolled: 1-line block ×3, first 2 shown]
	ds_read_b32 v2, v2 offset:2048
	ds_read_b32 v4, v1
	ds_read_b32 v3, v3
	ds_read_b32 v5, v5 offset:12
	v_mov_b32_e32 v8, s39
	v_add_co_u32_e32 v6, vcc, s38, v6
	v_addc_co_u32_e32 v7, vcc, v8, v7, vcc
	s_waitcnt lgkmcnt(0)
	global_store_dwordx4 v[6:7], v[2:5], off
	s_branch .LBB11_135
.LBB11_140:
	s_endpgm
	.section	.rodata,"a",@progbits
	.p2align	6, 0x0
	.amdhsa_kernel _ZN9rocsparseL30bsrgemm_fill_block_per_row_2x2ILj256ELj16ELj512ELj137EiifEEv20rocsparse_direction_T4_S2_PKS2_S4_NS_24const_host_device_scalarIT5_EEPKT3_S4_PKS6_SA_S4_SC_S7_SA_S4_SC_SA_PS2_PS6_21rocsparse_index_base_SF_SF_SF_bbb
		.amdhsa_group_segment_fixed_size 0
		.amdhsa_private_segment_fixed_size 0
		.amdhsa_kernarg_size 164
		.amdhsa_user_sgpr_count 6
		.amdhsa_user_sgpr_private_segment_buffer 1
		.amdhsa_user_sgpr_dispatch_ptr 0
		.amdhsa_user_sgpr_queue_ptr 0
		.amdhsa_user_sgpr_kernarg_segment_ptr 1
		.amdhsa_user_sgpr_dispatch_id 0
		.amdhsa_user_sgpr_flat_scratch_init 0
		.amdhsa_user_sgpr_kernarg_preload_length 0
		.amdhsa_user_sgpr_kernarg_preload_offset 0
		.amdhsa_user_sgpr_private_segment_size 0
		.amdhsa_uses_dynamic_stack 0
		.amdhsa_system_sgpr_private_segment_wavefront_offset 0
		.amdhsa_system_sgpr_workgroup_id_x 1
		.amdhsa_system_sgpr_workgroup_id_y 0
		.amdhsa_system_sgpr_workgroup_id_z 0
		.amdhsa_system_sgpr_workgroup_info 0
		.amdhsa_system_vgpr_workitem_id 0
		.amdhsa_next_free_vgpr 38
		.amdhsa_next_free_sgpr 58
		.amdhsa_accum_offset 40
		.amdhsa_reserve_vcc 1
		.amdhsa_reserve_flat_scratch 0
		.amdhsa_float_round_mode_32 0
		.amdhsa_float_round_mode_16_64 0
		.amdhsa_float_denorm_mode_32 3
		.amdhsa_float_denorm_mode_16_64 3
		.amdhsa_dx10_clamp 1
		.amdhsa_ieee_mode 1
		.amdhsa_fp16_overflow 0
		.amdhsa_tg_split 0
		.amdhsa_exception_fp_ieee_invalid_op 0
		.amdhsa_exception_fp_denorm_src 0
		.amdhsa_exception_fp_ieee_div_zero 0
		.amdhsa_exception_fp_ieee_overflow 0
		.amdhsa_exception_fp_ieee_underflow 0
		.amdhsa_exception_fp_ieee_inexact 0
		.amdhsa_exception_int_div_zero 0
	.end_amdhsa_kernel
	.section	.text._ZN9rocsparseL30bsrgemm_fill_block_per_row_2x2ILj256ELj16ELj512ELj137EiifEEv20rocsparse_direction_T4_S2_PKS2_S4_NS_24const_host_device_scalarIT5_EEPKT3_S4_PKS6_SA_S4_SC_S7_SA_S4_SC_SA_PS2_PS6_21rocsparse_index_base_SF_SF_SF_bbb,"axG",@progbits,_ZN9rocsparseL30bsrgemm_fill_block_per_row_2x2ILj256ELj16ELj512ELj137EiifEEv20rocsparse_direction_T4_S2_PKS2_S4_NS_24const_host_device_scalarIT5_EEPKT3_S4_PKS6_SA_S4_SC_S7_SA_S4_SC_SA_PS2_PS6_21rocsparse_index_base_SF_SF_SF_bbb,comdat
.Lfunc_end11:
	.size	_ZN9rocsparseL30bsrgemm_fill_block_per_row_2x2ILj256ELj16ELj512ELj137EiifEEv20rocsparse_direction_T4_S2_PKS2_S4_NS_24const_host_device_scalarIT5_EEPKT3_S4_PKS6_SA_S4_SC_S7_SA_S4_SC_SA_PS2_PS6_21rocsparse_index_base_SF_SF_SF_bbb, .Lfunc_end11-_ZN9rocsparseL30bsrgemm_fill_block_per_row_2x2ILj256ELj16ELj512ELj137EiifEEv20rocsparse_direction_T4_S2_PKS2_S4_NS_24const_host_device_scalarIT5_EEPKT3_S4_PKS6_SA_S4_SC_S7_SA_S4_SC_SA_PS2_PS6_21rocsparse_index_base_SF_SF_SF_bbb
                                        ; -- End function
	.section	.AMDGPU.csdata,"",@progbits
; Kernel info:
; codeLenInByte = 4188
; NumSgprs: 62
; NumVgprs: 38
; NumAgprs: 0
; TotalNumVgprs: 38
; ScratchSize: 0
; MemoryBound: 0
; FloatMode: 240
; IeeeMode: 1
; LDSByteSize: 0 bytes/workgroup (compile time only)
; SGPRBlocks: 7
; VGPRBlocks: 4
; NumSGPRsForWavesPerEU: 62
; NumVGPRsForWavesPerEU: 38
; AccumOffset: 40
; Occupancy: 8
; WaveLimiterHint : 1
; COMPUTE_PGM_RSRC2:SCRATCH_EN: 0
; COMPUTE_PGM_RSRC2:USER_SGPR: 6
; COMPUTE_PGM_RSRC2:TRAP_HANDLER: 0
; COMPUTE_PGM_RSRC2:TGID_X_EN: 1
; COMPUTE_PGM_RSRC2:TGID_Y_EN: 0
; COMPUTE_PGM_RSRC2:TGID_Z_EN: 0
; COMPUTE_PGM_RSRC2:TIDIG_COMP_CNT: 0
; COMPUTE_PGM_RSRC3_GFX90A:ACCUM_OFFSET: 9
; COMPUTE_PGM_RSRC3_GFX90A:TG_SPLIT: 0
	.section	.text._ZN9rocsparseL38bsrgemm_block_per_row_atomic_multipassILj256ELj256ELj2EiifEEv20rocsparse_direction_T3_S2_PKS2_S4_NS_24const_host_device_scalarIT4_EEPKT2_S4_PKS6_SA_S4_SC_S7_SA_S4_SC_SA_PS2_PS6_PS8_21rocsparse_index_base_SG_SG_SG_bbb,"axG",@progbits,_ZN9rocsparseL38bsrgemm_block_per_row_atomic_multipassILj256ELj256ELj2EiifEEv20rocsparse_direction_T3_S2_PKS2_S4_NS_24const_host_device_scalarIT4_EEPKT2_S4_PKS6_SA_S4_SC_S7_SA_S4_SC_SA_PS2_PS6_PS8_21rocsparse_index_base_SG_SG_SG_bbb,comdat
	.globl	_ZN9rocsparseL38bsrgemm_block_per_row_atomic_multipassILj256ELj256ELj2EiifEEv20rocsparse_direction_T3_S2_PKS2_S4_NS_24const_host_device_scalarIT4_EEPKT2_S4_PKS6_SA_S4_SC_S7_SA_S4_SC_SA_PS2_PS6_PS8_21rocsparse_index_base_SG_SG_SG_bbb ; -- Begin function _ZN9rocsparseL38bsrgemm_block_per_row_atomic_multipassILj256ELj256ELj2EiifEEv20rocsparse_direction_T3_S2_PKS2_S4_NS_24const_host_device_scalarIT4_EEPKT2_S4_PKS6_SA_S4_SC_S7_SA_S4_SC_SA_PS2_PS6_PS8_21rocsparse_index_base_SG_SG_SG_bbb
	.p2align	8
	.type	_ZN9rocsparseL38bsrgemm_block_per_row_atomic_multipassILj256ELj256ELj2EiifEEv20rocsparse_direction_T3_S2_PKS2_S4_NS_24const_host_device_scalarIT4_EEPKT2_S4_PKS6_SA_S4_SC_S7_SA_S4_SC_SA_PS2_PS6_PS8_21rocsparse_index_base_SG_SG_SG_bbb,@function
_ZN9rocsparseL38bsrgemm_block_per_row_atomic_multipassILj256ELj256ELj2EiifEEv20rocsparse_direction_T3_S2_PKS2_S4_NS_24const_host_device_scalarIT4_EEPKT2_S4_PKS6_SA_S4_SC_S7_SA_S4_SC_SA_PS2_PS6_PS8_21rocsparse_index_base_SG_SG_SG_bbb: ; @_ZN9rocsparseL38bsrgemm_block_per_row_atomic_multipassILj256ELj256ELj2EiifEEv20rocsparse_direction_T3_S2_PKS2_S4_NS_24const_host_device_scalarIT4_EEPKT2_S4_PKS6_SA_S4_SC_S7_SA_S4_SC_SA_PS2_PS6_PS8_21rocsparse_index_base_SG_SG_SG_bbb
; %bb.0:
	s_load_dword s7, s[4:5], 0xa8
	s_load_dwordx4 s[52:55], s[4:5], 0x98
	s_load_dwordx2 s[0:1], s[4:5], 0x20
	s_load_dwordx2 s[8:9], s[4:5], 0x58
	s_waitcnt lgkmcnt(0)
	s_bitcmp1_b32 s7, 0
	s_cselect_b64 s[28:29], -1, 0
	s_bitcmp1_b32 s7, 16
	s_cselect_b64 s[10:11], -1, 0
	s_xor_b64 s[2:3], s[28:29], -1
	s_or_b64 s[2:3], s[2:3], s[10:11]
	s_and_b64 vcc, exec, s[2:3]
	s_cbranch_vccnz .LBB12_2
; %bb.1:
	s_load_dword s0, s[0:1], 0x0
	s_waitcnt lgkmcnt(0)
	v_mov_b32_e32 v3, s0
	s_branch .LBB12_3
.LBB12_2:
	v_mov_b32_e32 v1, s0
	v_cndmask_b32_e64 v3, 0, v1, s[28:29]
.LBB12_3:
	s_load_dwordx2 s[2:3], s[4:5], 0x18
	s_bitcmp1_b32 s7, 8
	s_cselect_b64 s[0:1], -1, 0
	s_xor_b64 s[12:13], s[0:1], -1
	s_or_b64 s[10:11], s[12:13], s[10:11]
	s_and_b64 vcc, exec, s[10:11]
	s_cbranch_vccnz .LBB12_5
; %bb.4:
	s_load_dword s7, s[8:9], 0x0
	s_waitcnt lgkmcnt(0)
	v_mov_b32_e32 v5, s7
	s_load_dwordx2 s[8:9], s[4:5], 0x28
	s_cmp_eq_u64 s[2:3], 0
	s_cbranch_scc0 .LBB12_6
	s_branch .LBB12_7
.LBB12_5:
	v_mov_b32_e32 v1, s8
	v_cndmask_b32_e64 v5, 0, v1, s[0:1]
	s_load_dwordx2 s[8:9], s[4:5], 0x28
	s_waitcnt lgkmcnt(0)
	s_cmp_eq_u64 s[2:3], 0
	s_cbranch_scc1 .LBB12_7
.LBB12_6:
	s_load_dwordx2 s[10:11], s[4:5], 0x10
	s_waitcnt lgkmcnt(0)
	s_load_dword s7, s[10:11], 0x0
	s_waitcnt lgkmcnt(0)
	s_add_i32 s6, s7, s6
	s_mov_b32 s7, 0
	s_lshl_b64 s[6:7], s[6:7], 2
	s_add_u32 s2, s2, s6
	s_addc_u32 s3, s3, s7
	s_load_dword s6, s[2:3], 0x0
.LBB12_7:
	v_cndmask_b32_e64 v1, 0, 1, s[28:29]
	s_mov_b32 s33, 0
	v_cmp_ne_u32_e64 s[2:3], 1, v1
	s_andn2_b64 vcc, exec, s[28:29]
	s_mov_b32 s86, 0
	s_cbranch_vccz .LBB12_10
; %bb.8:
	s_and_b64 vcc, exec, s[2:3]
	s_cbranch_vccz .LBB12_11
.LBB12_9:
	s_load_dwordx4 s[56:59], s[4:5], 0x0
	s_waitcnt lgkmcnt(0)
	s_cmp_lt_i32 s57, 1
	s_cbranch_scc0 .LBB12_12
	s_branch .LBB12_102
.LBB12_10:
	s_waitcnt lgkmcnt(0)
	s_ashr_i32 s7, s6, 31
	s_lshl_b64 s[10:11], s[6:7], 2
	s_add_u32 s10, s8, s10
	s_addc_u32 s11, s9, s11
	s_load_dword s7, s[10:11], 0x0
	s_waitcnt lgkmcnt(0)
	s_sub_i32 s86, s7, s52
	s_and_b64 vcc, exec, s[2:3]
	s_cbranch_vccnz .LBB12_9
.LBB12_11:
	s_waitcnt lgkmcnt(0)
	s_ashr_i32 s7, s6, 31
	s_lshl_b64 s[2:3], s[6:7], 2
	s_add_u32 s2, s8, s2
	s_addc_u32 s3, s9, s3
	s_load_dword s2, s[2:3], 0x4
	s_waitcnt lgkmcnt(0)
	s_sub_i32 s33, s2, s52
	s_load_dwordx4 s[56:59], s[4:5], 0x0
	s_waitcnt lgkmcnt(0)
	s_cmp_lt_i32 s57, 1
	s_cbranch_scc1 .LBB12_102
.LBB12_12:
	s_load_dwordx2 s[34:35], s[4:5], 0x90
	s_load_dwordx4 s[60:63], s[4:5], 0x80
	s_load_dwordx8 s[36:43], s[4:5], 0x60
	s_load_dwordx2 s[64:65], s[4:5], 0x50
	s_load_dwordx8 s[44:51], s[4:5], 0x30
	s_ashr_i32 s7, s6, 31
	s_lshl_b64 s[8:9], s[6:7], 2
	s_waitcnt lgkmcnt(0)
	s_add_u32 s2, s42, s8
	s_addc_u32 s3, s43, s9
	s_load_dword s2, s[2:3], 0x0
	v_and_b32_e32 v2, 1, v0
	v_bfe_u32 v4, v0, 1, 1
	v_and_b32_e32 v1, 3, v0
	v_max_i32_e32 v6, v2, v4
	s_waitcnt lgkmcnt(0)
	s_sub_i32 s70, s2, s54
	s_cmp_lt_i32 s86, s33
	s_cselect_b64 s[30:31], -1, 0
	s_cmp_eq_u32 s56, 0
	s_cselect_b64 vcc, -1, 0
	s_cmp_lg_u32 s56, 0
	s_cselect_b64 s[42:43], -1, 0
	s_cmp_gt_i32 s58, 0
	s_cselect_b64 s[66:67], -1, 0
	s_add_u32 s36, s36, s8
	v_lshrrev_b32_e32 v7, 2, v0
	v_cmp_gt_i32_e64 s[6:7], s58, v6
	s_addc_u32 s37, s37, s9
	v_cmp_eq_u32_e64 s[8:9], 3, v1
	v_add_co_u32_e64 v1, s[10:11], -1, v0
	v_mov_b32_e32 v6, 0x1000
	s_movk_i32 s2, 0x100
	v_lshlrev_b32_e32 v9, 2, v0
	s_movk_i32 s71, 0x1400
	v_lshl_add_u32 v20, v1, 2, v6
	s_movk_i32 s26, 0x7f
	v_lshlrev_b32_e32 v1, 4, v7
	v_lshlrev_b32_e32 v10, 2, v4
	v_cmp_gt_u32_e64 s[2:3], s2, v0
	v_cmp_eq_u32_e64 s[4:5], 0, v0
	v_and_b32_e32 v17, 2, v0
	v_cmp_ne_u32_e64 s[12:13], 0, v0
	v_cmp_lt_u32_e64 s[14:15], 1, v0
	v_cmp_lt_u32_e64 s[16:17], 3, v0
	;; [unrolled: 1-line block ×7, first 2 shown]
	s_and_b64 s[68:69], s[28:29], s[30:31]
	v_or3_b32 v28, v1, v10, s71
	v_and_b32_e32 v1, 0x3f8, v9
	v_and_b32_e32 v0, 0xfc, v0
	s_add_u32 s56, s48, 4
	s_mul_i32 s87, s58, s58
	v_or_b32_e32 v29, 0x1400, v1
	v_or3_b32 v1, v0, v17, v2
	s_mov_b32 s90, 0
	v_or_b32_e32 v16, 0x1400, v9
	v_subrev_u32_e32 v18, s55, v7
	v_or_b32_e32 v19, 0x1000, v9
	v_add_u32_e32 v21, 0xff8, v9
	v_add_u32_e32 v22, 0xff0, v9
	;; [unrolled: 1-line block ×7, first 2 shown]
	v_cndmask_b32_e32 v6, v2, v4, vcc
	v_cndmask_b32_e32 v8, v4, v2, vcc
	s_addc_u32 s59, s49, 0
	s_lshl_b32 s88, s87, 6
	v_lshlrev_b32_e32 v30, 2, v1
	v_or_b32_e32 v31, 0x1000, v0
	v_mov_b32_e32 v35, 0x100
	v_mov_b32_e32 v32, s70
	;; [unrolled: 1-line block ×4, first 2 shown]
	s_movk_i32 s89, 0xbf
	s_branch .LBB12_14
.LBB12_13:                              ;   in Loop: Header=BB12_14 Depth=1
	s_or_b64 exec, exec, s[28:29]
	s_barrier
	ds_read_b32 v0, v33 offset:6144
	v_add_u32_e32 v32, v10, v32
	s_waitcnt lgkmcnt(0)
	s_barrier
	v_cmp_le_i32_e32 vcc, s57, v0
	v_readfirstlane_b32 s90, v0
	v_add_u32_e32 v35, 0x100, v0
	s_cbranch_vccnz .LBB12_102
.LBB12_14:                              ; =>This Loop Header: Depth=1
                                        ;     Child Loop BB12_18 Depth 2
                                        ;     Child Loop BB12_27 Depth 2
                                        ;       Child Loop BB12_40 Depth 3
                                        ;         Child Loop BB12_49 Depth 4
                                        ;         Child Loop BB12_54 Depth 4
                                        ;     Child Loop BB12_65 Depth 2
                                        ;     Child Loop BB12_74 Depth 2
	;; [unrolled: 1-line block ×3, first 2 shown]
	s_and_saveexec_b64 s[28:29], s[2:3]
	s_cbranch_execz .LBB12_16
; %bb.15:                               ;   in Loop: Header=BB12_14 Depth=1
	ds_write_b32 v19, v33
.LBB12_16:                              ;   in Loop: Header=BB12_14 Depth=1
	s_or_b64 exec, exec, s[28:29]
	s_mov_b32 s72, 0
	s_mov_b64 s[28:29], 0
	v_mov_b32_e32 v0, v9
	s_branch .LBB12_18
.LBB12_17:                              ;   in Loop: Header=BB12_18 Depth=2
	s_or_b64 exec, exec, s[70:71]
	s_add_i32 s72, s72, 2
	v_cmp_eq_u32_e64 s[30:31], 4, s72
	s_or_b64 s[28:29], s[30:31], s[28:29]
	v_add_u32_e32 v0, 0x800, v0
	s_andn2_b64 exec, exec, s[28:29]
	s_cbranch_execz .LBB12_22
.LBB12_18:                              ;   Parent Loop BB12_14 Depth=1
                                        ; =>  This Inner Loop Header: Depth=2
	s_or_b32 s30, s72, 1
	v_cmp_le_u32_e64 s[30:31], s30, 3
	v_cmp_le_u32_e64 s[74:75], s72, 3
	s_and_saveexec_b64 s[70:71], s[74:75]
	s_cbranch_execz .LBB12_20
; %bb.19:                               ;   in Loop: Header=BB12_18 Depth=2
	ds_write_b32 v0, v33
.LBB12_20:                              ;   in Loop: Header=BB12_18 Depth=2
	s_or_b64 exec, exec, s[70:71]
	s_and_saveexec_b64 s[70:71], s[30:31]
	s_cbranch_execz .LBB12_17
; %bb.21:                               ;   in Loop: Header=BB12_18 Depth=2
	ds_write_b32 v0, v33 offset:1024
	s_branch .LBB12_17
.LBB12_22:                              ;   in Loop: Header=BB12_14 Depth=1
	s_or_b64 exec, exec, s[28:29]
	s_and_saveexec_b64 s[28:29], s[4:5]
	s_cbranch_execz .LBB12_24
; %bb.23:                               ;   in Loop: Header=BB12_14 Depth=1
	v_mov_b32_e32 v0, s57
	ds_write_b32 v33, v0 offset:6144
.LBB12_24:                              ;   in Loop: Header=BB12_14 Depth=1
	s_or_b64 exec, exec, s[28:29]
	s_andn2_b64 vcc, exec, s[68:69]
	v_mov_b32_e32 v36, s57
	s_waitcnt lgkmcnt(0)
	s_barrier
	s_cbranch_vccnz .LBB12_60
; %bb.25:                               ;   in Loop: Header=BB12_14 Depth=1
	s_cmp_lg_u32 s90, 0
	s_cselect_b64 s[70:71], -1, 0
	v_mov_b32_e32 v36, s57
	s_mov_b32 s91, s86
	s_branch .LBB12_27
.LBB12_26:                              ;   in Loop: Header=BB12_27 Depth=2
	s_or_b64 exec, exec, s[30:31]
	s_add_i32 s91, s91, 64
	s_cmp_lt_i32 s91, s33
	s_cbranch_scc0 .LBB12_60
.LBB12_27:                              ;   Parent Loop BB12_14 Depth=1
                                        ; =>  This Loop Header: Depth=2
                                        ;       Child Loop BB12_40 Depth 3
                                        ;         Child Loop BB12_49 Depth 4
                                        ;         Child Loop BB12_54 Depth 4
	v_add_u32_e32 v0, s91, v7
	v_cmp_gt_i32_e64 s[28:29], s33, v0
	s_barrier
	s_and_saveexec_b64 s[30:31], s[28:29]
	s_cbranch_execz .LBB12_31
; %bb.28:                               ;   in Loop: Header=BB12_27 Depth=2
	v_mov_b32_e32 v1, 0
	s_and_saveexec_b64 s[72:73], s[6:7]
	s_cbranch_execz .LBB12_30
; %bb.29:                               ;   in Loop: Header=BB12_27 Depth=2
	v_mad_u64_u32 v[10:11], s[74:75], v0, s58, v[4:5]
	v_mad_u64_u32 v[10:11], s[74:75], v10, s58, v[2:3]
	v_ashrrev_i32_e32 v11, 31, v10
	v_lshlrev_b64 v[10:11], 2, v[10:11]
	v_mov_b32_e32 v1, s47
	v_add_co_u32_e32 v10, vcc, s46, v10
	v_addc_co_u32_e32 v11, vcc, v1, v11, vcc
	global_load_dword v1, v[10:11], off
.LBB12_30:                              ;   in Loop: Header=BB12_27 Depth=2
	s_or_b64 exec, exec, s[72:73]
	s_waitcnt vmcnt(0)
	ds_write_b32 v16, v1
.LBB12_31:                              ;   in Loop: Header=BB12_27 Depth=2
	s_or_b64 exec, exec, s[30:31]
	v_mov_b32_e32 v10, 0
	s_waitcnt lgkmcnt(0)
	s_barrier
	s_and_saveexec_b64 s[72:73], s[28:29]
	s_cbranch_execz .LBB12_57
; %bb.32:                               ;   in Loop: Header=BB12_27 Depth=2
	v_ashrrev_i32_e32 v1, 31, v0
	v_lshlrev_b64 v[10:11], 2, v[0:1]
	v_mov_b32_e32 v1, s45
	v_add_co_u32_e32 v12, vcc, s44, v10
	v_addc_co_u32_e32 v13, vcc, v1, v11, vcc
	global_load_dword v1, v[12:13], off
	s_and_b64 vcc, exec, s[70:71]
	s_waitcnt vmcnt(0)
	v_subrev_u32_e32 v12, s52, v1
	v_ashrrev_i32_e32 v13, 31, v12
	s_cbranch_vccz .LBB12_59
; %bb.33:                               ;   in Loop: Header=BB12_27 Depth=2
	v_mov_b32_e32 v1, s35
	v_add_co_u32_e32 v10, vcc, s34, v10
	v_addc_co_u32_e32 v11, vcc, v1, v11, vcc
	global_load_dword v10, v[10:11], off
	s_cbranch_execnz .LBB12_35
.LBB12_34:                              ;   in Loop: Header=BB12_27 Depth=2
	s_waitcnt vmcnt(0)
	v_lshlrev_b64 v[10:11], 2, v[12:13]
	v_mov_b32_e32 v1, s49
	v_add_co_u32_e32 v10, vcc, s48, v10
	v_addc_co_u32_e32 v11, vcc, v1, v11, vcc
	global_load_dword v1, v[10:11], off
	s_waitcnt vmcnt(0)
	v_subrev_u32_e32 v10, s53, v1
.LBB12_35:                              ;   in Loop: Header=BB12_27 Depth=2
	v_lshlrev_b64 v[12:13], 2, v[12:13]
	v_mov_b32_e32 v1, s59
	v_add_co_u32_e32 v12, vcc, s56, v12
	v_addc_co_u32_e32 v13, vcc, v1, v13, vcc
	global_load_dword v1, v[12:13], off
	s_waitcnt vmcnt(0)
	v_subrev_u32_e32 v1, s53, v1
	v_cmp_lt_i32_e32 vcc, v10, v1
	s_and_saveexec_b64 s[74:75], vcc
	s_cbranch_execz .LBB12_56
; %bb.36:                               ;   in Loop: Header=BB12_27 Depth=2
	v_mad_u64_u32 v[12:13], s[30:31], s58, v10, v[2:3]
	v_mul_lo_u32 v37, s58, v12
	v_mad_u64_u32 v[12:13], s[30:31], s87, v10, v[2:3]
	s_mov_b64 s[76:77], 0
	v_mov_b32_e32 v13, v10
	s_branch .LBB12_40
.LBB12_37:                              ;   in Loop: Header=BB12_40 Depth=3
	v_or3_b32 v11, v11, v17, v2
	v_lshlrev_b32_e32 v11, 2, v11
	v_mul_f32_e32 v14, v3, v38
	ds_add_f32 v11, v14
.LBB12_38:                              ;   in Loop: Header=BB12_40 Depth=3
	s_or_b64 exec, exec, s[82:83]
	s_or_b64 s[78:79], s[78:79], exec
.LBB12_39:                              ;   in Loop: Header=BB12_40 Depth=3
	s_or_b64 exec, exec, s[80:81]
	v_add_u32_e32 v10, 1, v10
	v_cmp_ge_i32_e32 vcc, v10, v1
	s_xor_b64 s[30:31], s[78:79], -1
	s_or_b64 s[30:31], s[30:31], vcc
	s_and_b64 s[30:31], exec, s[30:31]
	v_add_u32_e32 v37, s87, v37
	s_or_b64 s[76:77], s[30:31], s[76:77]
	v_add_u32_e32 v12, s87, v12
	s_andn2_b64 exec, exec, s[76:77]
	s_cbranch_execz .LBB12_55
.LBB12_40:                              ;   Parent Loop BB12_14 Depth=1
                                        ;     Parent Loop BB12_27 Depth=2
                                        ; =>    This Loop Header: Depth=3
                                        ;         Child Loop BB12_49 Depth 4
                                        ;         Child Loop BB12_54 Depth 4
	v_ashrrev_i32_e32 v11, 31, v10
	v_lshlrev_b64 v[14:15], 2, v[10:11]
	v_mov_b32_e32 v11, s51
	v_add_co_u32_e32 v14, vcc, s50, v14
	v_addc_co_u32_e32 v15, vcc, v11, v15, vcc
	global_load_dword v11, v[14:15], off
                                        ; implicit-def: $sgpr78_sgpr79
	s_waitcnt vmcnt(0)
	v_subrev_u32_e32 v11, s53, v11
	v_cmp_gt_i32_e64 s[30:31], s90, v11
	v_cmp_ge_i32_e32 vcc, v11, v35
	s_or_b64 s[30:31], s[30:31], vcc
	s_and_saveexec_b64 s[80:81], s[30:31]
	s_xor_b64 s[30:31], exec, s[80:81]
	s_cbranch_execz .LBB12_44
; %bb.41:                               ;   in Loop: Header=BB12_40 Depth=3
	s_mov_b64 s[78:79], -1
	s_and_saveexec_b64 s[80:81], vcc
; %bb.42:                               ;   in Loop: Header=BB12_40 Depth=3
	v_min_i32_e32 v36, v11, v36
	s_xor_b64 s[78:79], exec, -1
	v_mov_b32_e32 v13, v10
; %bb.43:                               ;   in Loop: Header=BB12_40 Depth=3
	s_or_b64 exec, exec, s[80:81]
	s_and_b64 s[78:79], s[78:79], exec
                                        ; implicit-def: $vgpr11
.LBB12_44:                              ;   in Loop: Header=BB12_40 Depth=3
	s_andn2_saveexec_b64 s[80:81], s[30:31]
	s_cbranch_execz .LBB12_39
; %bb.45:                               ;   in Loop: Header=BB12_40 Depth=3
	v_subrev_u32_e32 v11, s90, v11
	v_lshlrev_b32_e32 v11, 2, v11
	ds_write_b32 v11, v34 offset:4096
	s_and_saveexec_b64 s[82:83], s[6:7]
	s_cbranch_execz .LBB12_38
; %bb.46:                               ;   in Loop: Header=BB12_40 Depth=3
	v_cndmask_b32_e64 v14, 0, 1, s[66:67]
	s_andn2_b64 vcc, exec, s[42:43]
	v_cmp_ne_u32_e64 s[30:31], 1, v14
	s_cbranch_vccnz .LBB12_51
; %bb.47:                               ;   in Loop: Header=BB12_40 Depth=3
	v_mov_b32_e32 v38, 0
	s_and_b64 vcc, exec, s[30:31]
	s_cbranch_vccnz .LBB12_50
; %bb.48:                               ;   in Loop: Header=BB12_40 Depth=3
	v_mov_b32_e32 v14, v37
	s_mov_b32 s84, s58
	v_mov_b32_e32 v39, v28
.LBB12_49:                              ;   Parent Loop BB12_14 Depth=1
                                        ;     Parent Loop BB12_27 Depth=2
                                        ;       Parent Loop BB12_40 Depth=3
                                        ; =>      This Inner Loop Header: Depth=4
	v_ashrrev_i32_e32 v15, 31, v14
	v_lshlrev_b64 v[40:41], 2, v[14:15]
	v_mov_b32_e32 v42, s65
	v_add_co_u32_e32 v40, vcc, s64, v40
	v_addc_co_u32_e32 v41, vcc, v42, v41, vcc
	global_load_dword v15, v[40:41], off
	ds_read_b32 v40, v39
	s_add_i32 s84, s84, -1
	v_add_u32_e32 v39, 8, v39
	v_add_u32_e32 v14, 1, v14
	s_cmp_lg_u32 s84, 0
	s_waitcnt vmcnt(0) lgkmcnt(0)
	v_fmac_f32_e32 v38, v40, v15
	s_cbranch_scc1 .LBB12_49
.LBB12_50:                              ;   in Loop: Header=BB12_40 Depth=3
	s_cbranch_execnz .LBB12_37
	s_branch .LBB12_52
.LBB12_51:                              ;   in Loop: Header=BB12_40 Depth=3
                                        ; implicit-def: $vgpr38
.LBB12_52:                              ;   in Loop: Header=BB12_40 Depth=3
	v_mov_b32_e32 v38, 0
	s_and_b64 vcc, exec, s[30:31]
	s_cbranch_vccnz .LBB12_37
; %bb.53:                               ;   in Loop: Header=BB12_40 Depth=3
	v_mov_b32_e32 v39, v29
	v_mov_b32_e32 v14, v12
	s_mov_b32 s30, s58
.LBB12_54:                              ;   Parent Loop BB12_14 Depth=1
                                        ;     Parent Loop BB12_27 Depth=2
                                        ;       Parent Loop BB12_40 Depth=3
                                        ; =>      This Inner Loop Header: Depth=4
	v_ashrrev_i32_e32 v15, 31, v14
	v_lshlrev_b64 v[40:41], 2, v[14:15]
	v_mov_b32_e32 v42, s65
	v_add_co_u32_e32 v40, vcc, s64, v40
	v_addc_co_u32_e32 v41, vcc, v42, v41, vcc
	global_load_dword v15, v[40:41], off
	ds_read_b32 v40, v39
	s_add_i32 s30, s30, -1
	v_add_u32_e32 v39, 4, v39
	v_add_u32_e32 v14, s58, v14
	s_cmp_eq_u32 s30, 0
	s_waitcnt vmcnt(0) lgkmcnt(0)
	v_fmac_f32_e32 v38, v40, v15
	s_cbranch_scc0 .LBB12_54
	s_branch .LBB12_37
.LBB12_55:                              ;   in Loop: Header=BB12_27 Depth=2
	s_or_b64 exec, exec, s[76:77]
	v_mov_b32_e32 v10, v13
.LBB12_56:                              ;   in Loop: Header=BB12_27 Depth=2
	s_or_b64 exec, exec, s[74:75]
.LBB12_57:                              ;   in Loop: Header=BB12_27 Depth=2
	s_or_b64 exec, exec, s[72:73]
	s_waitcnt lgkmcnt(0)
	s_barrier
	s_and_saveexec_b64 s[30:31], s[28:29]
	s_cbranch_execz .LBB12_26
; %bb.58:                               ;   in Loop: Header=BB12_27 Depth=2
	v_ashrrev_i32_e32 v1, 31, v0
	v_lshlrev_b64 v[0:1], 2, v[0:1]
	v_mov_b32_e32 v11, s35
	v_add_co_u32_e32 v0, vcc, s34, v0
	v_addc_co_u32_e32 v1, vcc, v11, v1, vcc
	global_store_dword v[0:1], v10, off
	s_branch .LBB12_26
.LBB12_59:                              ;   in Loop: Header=BB12_27 Depth=2
                                        ; implicit-def: $vgpr10
	s_branch .LBB12_34
.LBB12_60:                              ;   in Loop: Header=BB12_14 Depth=1
	s_andn2_b64 vcc, exec, s[0:1]
	s_cbranch_vccnz .LBB12_72
; %bb.61:                               ;   in Loop: Header=BB12_14 Depth=1
	s_load_dwordx2 s[28:29], s[36:37], 0x0
	s_waitcnt lgkmcnt(0)
	s_sub_i32 s76, s29, s55
	v_add_u32_e32 v0, s28, v18
	v_cmp_gt_i32_e32 vcc, s76, v0
	s_and_saveexec_b64 s[70:71], vcc
	s_cbranch_execz .LBB12_71
; %bb.62:                               ;   in Loop: Header=BB12_14 Depth=1
	v_mad_u64_u32 v[10:11], s[28:29], s58, v0, v[6:7]
	v_mad_u64_u32 v[10:11], s[28:29], s58, v10, v[8:9]
	s_mov_b64 s[72:73], 0
	s_branch .LBB12_65
.LBB12_63:                              ;   in Loop: Header=BB12_65 Depth=2
	s_or_b64 exec, exec, s[74:75]
	s_or_b64 s[28:29], s[28:29], exec
.LBB12_64:                              ;   in Loop: Header=BB12_65 Depth=2
	s_or_b64 exec, exec, s[30:31]
	v_add_u32_e32 v0, 64, v0
	v_cmp_le_i32_e32 vcc, s76, v0
	s_xor_b64 s[28:29], s[28:29], -1
	s_or_b64 s[28:29], vcc, s[28:29]
	s_and_b64 s[28:29], exec, s[28:29]
	s_or_b64 s[72:73], s[28:29], s[72:73]
	v_add_u32_e32 v10, s88, v10
	s_andn2_b64 exec, exec, s[72:73]
	s_cbranch_execz .LBB12_70
.LBB12_65:                              ;   Parent Loop BB12_14 Depth=1
                                        ; =>  This Inner Loop Header: Depth=2
	v_ashrrev_i32_e32 v1, 31, v0
	v_lshlrev_b64 v[12:13], 2, v[0:1]
	v_mov_b32_e32 v1, s39
	v_add_co_u32_e32 v12, vcc, s38, v12
	v_addc_co_u32_e32 v13, vcc, v1, v13, vcc
	global_load_dword v1, v[12:13], off
	s_waitcnt vmcnt(0)
	v_subrev_u32_e32 v1, s55, v1
	v_cmp_gt_i32_e64 s[28:29], s90, v1
	v_cmp_ge_i32_e64 s[30:31], v1, v35
	v_cmp_lt_i32_e32 vcc, v1, v35
	s_or_b64 s[30:31], s[28:29], s[30:31]
                                        ; implicit-def: $sgpr28_sgpr29
	s_and_saveexec_b64 s[74:75], s[30:31]
	s_xor_b64 s[30:31], exec, s[74:75]
; %bb.66:                               ;   in Loop: Header=BB12_65 Depth=2
	v_min_i32_e32 v1, v1, v36
	v_cndmask_b32_e32 v36, v1, v36, vcc
	s_and_b64 s[28:29], vcc, exec
                                        ; implicit-def: $vgpr1
; %bb.67:                               ;   in Loop: Header=BB12_65 Depth=2
	s_andn2_saveexec_b64 s[30:31], s[30:31]
	s_cbranch_execz .LBB12_64
; %bb.68:                               ;   in Loop: Header=BB12_65 Depth=2
	v_subrev_u32_e32 v1, s90, v1
	v_lshlrev_b32_e32 v1, 2, v1
	ds_write_b32 v1, v34 offset:4096
	s_and_saveexec_b64 s[74:75], s[6:7]
	s_cbranch_execz .LBB12_63
; %bb.69:                               ;   in Loop: Header=BB12_65 Depth=2
	v_ashrrev_i32_e32 v11, 31, v10
	v_lshlrev_b64 v[12:13], 2, v[10:11]
	v_mov_b32_e32 v11, s41
	v_add_co_u32_e32 v12, vcc, s40, v12
	v_addc_co_u32_e32 v13, vcc, v11, v13, vcc
	global_load_dword v11, v[12:13], off
	v_or3_b32 v1, v1, v17, v2
	v_lshlrev_b32_e32 v1, 2, v1
	s_waitcnt vmcnt(0)
	v_mul_f32_e32 v11, v5, v11
	ds_add_f32 v1, v11
	s_branch .LBB12_63
.LBB12_70:                              ;   in Loop: Header=BB12_14 Depth=1
	s_or_b64 exec, exec, s[72:73]
.LBB12_71:                              ;   in Loop: Header=BB12_14 Depth=1
	s_or_b64 exec, exec, s[70:71]
.LBB12_72:                              ;   in Loop: Header=BB12_14 Depth=1
	s_and_saveexec_b64 s[28:29], s[8:9]
	s_cbranch_execz .LBB12_77
; %bb.73:                               ;   in Loop: Header=BB12_14 Depth=1
	s_mov_b64 s[30:31], exec
	s_brev_b32 s70, -2
.LBB12_74:                              ;   Parent Loop BB12_14 Depth=1
                                        ; =>  This Inner Loop Header: Depth=2
	s_ff1_i32_b64 s71, s[30:31]
	v_readlane_b32 s74, v36, s71
	s_lshl_b64 s[72:73], 1, s71
	s_min_i32 s70, s70, s74
	s_andn2_b64 s[30:31], s[30:31], s[72:73]
	s_cmp_lg_u64 s[30:31], 0
	s_cbranch_scc1 .LBB12_74
; %bb.75:                               ;   in Loop: Header=BB12_14 Depth=1
	v_mbcnt_lo_u32_b32 v0, exec_lo, 0
	v_mbcnt_hi_u32_b32 v0, exec_hi, v0
	v_cmp_eq_u32_e32 vcc, 0, v0
	s_and_saveexec_b64 s[30:31], vcc
	s_xor_b64 s[30:31], exec, s[30:31]
	s_cbranch_execz .LBB12_77
; %bb.76:                               ;   in Loop: Header=BB12_14 Depth=1
	v_mov_b32_e32 v0, s70
	ds_min_i32 v33, v0 offset:6144
.LBB12_77:                              ;   in Loop: Header=BB12_14 Depth=1
	s_or_b64 exec, exec, s[28:29]
	s_waitcnt lgkmcnt(0)
	s_barrier
	ds_read_b32 v0, v19
	s_waitcnt lgkmcnt(0)
	s_barrier
	s_and_saveexec_b64 s[28:29], s[12:13]
	s_cbranch_execz .LBB12_79
; %bb.78:                               ;   in Loop: Header=BB12_14 Depth=1
	ds_read_b32 v1, v20
	s_waitcnt lgkmcnt(0)
	v_add_u32_e32 v0, v1, v0
.LBB12_79:                              ;   in Loop: Header=BB12_14 Depth=1
	s_or_b64 exec, exec, s[28:29]
	s_barrier
	ds_write_b32 v19, v0
	s_waitcnt lgkmcnt(0)
	s_barrier
	s_and_saveexec_b64 s[28:29], s[14:15]
	s_cbranch_execz .LBB12_81
; %bb.80:                               ;   in Loop: Header=BB12_14 Depth=1
	ds_read_b32 v1, v21
	s_waitcnt lgkmcnt(0)
	v_add_u32_e32 v0, v1, v0
.LBB12_81:                              ;   in Loop: Header=BB12_14 Depth=1
	s_or_b64 exec, exec, s[28:29]
	s_barrier
	ds_write_b32 v19, v0
	;; [unrolled: 12-line block ×8, first 2 shown]
	s_waitcnt lgkmcnt(0)
	s_barrier
	ds_read_b32 v10, v33 offset:5116
	v_mov_b32_e32 v1, 0
	s_and_saveexec_b64 s[28:29], s[10:11]
	s_cbranch_execz .LBB12_95
; %bb.94:                               ;   in Loop: Header=BB12_14 Depth=1
	ds_read_b32 v1, v20
.LBB12_95:                              ;   in Loop: Header=BB12_14 Depth=1
	s_or_b64 exec, exec, s[28:29]
	s_waitcnt lgkmcnt(0)
	v_cmp_eq_u32_e32 vcc, v0, v1
	s_and_b64 s[30:31], s[10:11], vcc
	s_barrier
	s_and_saveexec_b64 s[28:29], s[30:31]
	s_cbranch_execz .LBB12_97
; %bb.96:                               ;   in Loop: Header=BB12_14 Depth=1
	ds_write_b32 v19, v33
.LBB12_97:                              ;   in Loop: Header=BB12_14 Depth=1
	s_or_b64 exec, exec, s[28:29]
	v_add_u32_e32 v11, -1, v32
	s_add_i32 s70, s54, s90
	s_mov_b64 s[28:29], 0
	v_mov_b32_e32 v12, v31
	v_mov_b32_e32 v13, v30
	;; [unrolled: 1-line block ×3, first 2 shown]
	s_waitcnt lgkmcnt(0)
	s_barrier
	s_branch .LBB12_99
.LBB12_98:                              ;   in Loop: Header=BB12_99 Depth=2
	s_or_b64 exec, exec, s[30:31]
	v_add_u32_e32 v0, 64, v14
	v_cmp_lt_u32_e32 vcc, s89, v14
	v_add_u32_e32 v13, 0x400, v13
	v_add_u32_e32 v12, 0x100, v12
	s_or_b64 s[28:29], vcc, s[28:29]
	v_mov_b32_e32 v14, v0
	s_andn2_b64 exec, exec, s[28:29]
	s_cbranch_execz .LBB12_13
.LBB12_99:                              ;   Parent Loop BB12_14 Depth=1
                                        ; =>  This Inner Loop Header: Depth=2
	ds_read_b32 v0, v12
	s_waitcnt lgkmcnt(0)
	v_cmp_ne_u32_e32 vcc, 0, v0
	s_and_saveexec_b64 s[30:31], vcc
	s_cbranch_execz .LBB12_98
; %bb.100:                              ;   in Loop: Header=BB12_99 Depth=2
	v_add_u32_e32 v0, v11, v0
	v_ashrrev_i32_e32 v1, 31, v0
	v_lshlrev_b64 v[36:37], 2, v[0:1]
	v_mov_b32_e32 v1, s61
	v_add_co_u32_e32 v36, vcc, s60, v36
	v_add_u32_e32 v15, s70, v14
	v_addc_co_u32_e32 v37, vcc, v1, v37, vcc
	global_store_dword v[36:37], v15, off
	s_and_b64 exec, exec, s[6:7]
	s_cbranch_execz .LBB12_98
; %bb.101:                              ;   in Loop: Header=BB12_99 Depth=2
	v_mad_u64_u32 v[0:1], s[72:73], v0, s58, v[6:7]
	ds_read_b32 v15, v13
	v_mad_u64_u32 v[0:1], s[72:73], v0, s58, v[8:9]
	v_ashrrev_i32_e32 v1, 31, v0
	v_lshlrev_b64 v[0:1], 2, v[0:1]
	v_mov_b32_e32 v35, s63
	v_add_co_u32_e32 v0, vcc, s62, v0
	v_addc_co_u32_e32 v1, vcc, v35, v1, vcc
	s_waitcnt lgkmcnt(0)
	global_store_dword v[0:1], v15, off
	s_branch .LBB12_98
.LBB12_102:
	s_endpgm
	.section	.rodata,"a",@progbits
	.p2align	6, 0x0
	.amdhsa_kernel _ZN9rocsparseL38bsrgemm_block_per_row_atomic_multipassILj256ELj256ELj2EiifEEv20rocsparse_direction_T3_S2_PKS2_S4_NS_24const_host_device_scalarIT4_EEPKT2_S4_PKS6_SA_S4_SC_S7_SA_S4_SC_SA_PS2_PS6_PS8_21rocsparse_index_base_SG_SG_SG_bbb
		.amdhsa_group_segment_fixed_size 6148
		.amdhsa_private_segment_fixed_size 0
		.amdhsa_kernarg_size 172
		.amdhsa_user_sgpr_count 6
		.amdhsa_user_sgpr_private_segment_buffer 1
		.amdhsa_user_sgpr_dispatch_ptr 0
		.amdhsa_user_sgpr_queue_ptr 0
		.amdhsa_user_sgpr_kernarg_segment_ptr 1
		.amdhsa_user_sgpr_dispatch_id 0
		.amdhsa_user_sgpr_flat_scratch_init 0
		.amdhsa_user_sgpr_kernarg_preload_length 0
		.amdhsa_user_sgpr_kernarg_preload_offset 0
		.amdhsa_user_sgpr_private_segment_size 0
		.amdhsa_uses_dynamic_stack 0
		.amdhsa_system_sgpr_private_segment_wavefront_offset 0
		.amdhsa_system_sgpr_workgroup_id_x 1
		.amdhsa_system_sgpr_workgroup_id_y 0
		.amdhsa_system_sgpr_workgroup_id_z 0
		.amdhsa_system_sgpr_workgroup_info 0
		.amdhsa_system_vgpr_workitem_id 0
		.amdhsa_next_free_vgpr 43
		.amdhsa_next_free_sgpr 92
		.amdhsa_accum_offset 44
		.amdhsa_reserve_vcc 1
		.amdhsa_reserve_flat_scratch 0
		.amdhsa_float_round_mode_32 0
		.amdhsa_float_round_mode_16_64 0
		.amdhsa_float_denorm_mode_32 3
		.amdhsa_float_denorm_mode_16_64 3
		.amdhsa_dx10_clamp 1
		.amdhsa_ieee_mode 1
		.amdhsa_fp16_overflow 0
		.amdhsa_tg_split 0
		.amdhsa_exception_fp_ieee_invalid_op 0
		.amdhsa_exception_fp_denorm_src 0
		.amdhsa_exception_fp_ieee_div_zero 0
		.amdhsa_exception_fp_ieee_overflow 0
		.amdhsa_exception_fp_ieee_underflow 0
		.amdhsa_exception_fp_ieee_inexact 0
		.amdhsa_exception_int_div_zero 0
	.end_amdhsa_kernel
	.section	.text._ZN9rocsparseL38bsrgemm_block_per_row_atomic_multipassILj256ELj256ELj2EiifEEv20rocsparse_direction_T3_S2_PKS2_S4_NS_24const_host_device_scalarIT4_EEPKT2_S4_PKS6_SA_S4_SC_S7_SA_S4_SC_SA_PS2_PS6_PS8_21rocsparse_index_base_SG_SG_SG_bbb,"axG",@progbits,_ZN9rocsparseL38bsrgemm_block_per_row_atomic_multipassILj256ELj256ELj2EiifEEv20rocsparse_direction_T3_S2_PKS2_S4_NS_24const_host_device_scalarIT4_EEPKT2_S4_PKS6_SA_S4_SC_S7_SA_S4_SC_SA_PS2_PS6_PS8_21rocsparse_index_base_SG_SG_SG_bbb,comdat
.Lfunc_end12:
	.size	_ZN9rocsparseL38bsrgemm_block_per_row_atomic_multipassILj256ELj256ELj2EiifEEv20rocsparse_direction_T3_S2_PKS2_S4_NS_24const_host_device_scalarIT4_EEPKT2_S4_PKS6_SA_S4_SC_S7_SA_S4_SC_SA_PS2_PS6_PS8_21rocsparse_index_base_SG_SG_SG_bbb, .Lfunc_end12-_ZN9rocsparseL38bsrgemm_block_per_row_atomic_multipassILj256ELj256ELj2EiifEEv20rocsparse_direction_T3_S2_PKS2_S4_NS_24const_host_device_scalarIT4_EEPKT2_S4_PKS6_SA_S4_SC_S7_SA_S4_SC_SA_PS2_PS6_PS8_21rocsparse_index_base_SG_SG_SG_bbb
                                        ; -- End function
	.section	.AMDGPU.csdata,"",@progbits
; Kernel info:
; codeLenInByte = 3068
; NumSgprs: 96
; NumVgprs: 43
; NumAgprs: 0
; TotalNumVgprs: 43
; ScratchSize: 0
; MemoryBound: 0
; FloatMode: 240
; IeeeMode: 1
; LDSByteSize: 6148 bytes/workgroup (compile time only)
; SGPRBlocks: 11
; VGPRBlocks: 5
; NumSGPRsForWavesPerEU: 96
; NumVGPRsForWavesPerEU: 43
; AccumOffset: 44
; Occupancy: 8
; WaveLimiterHint : 1
; COMPUTE_PGM_RSRC2:SCRATCH_EN: 0
; COMPUTE_PGM_RSRC2:USER_SGPR: 6
; COMPUTE_PGM_RSRC2:TRAP_HANDLER: 0
; COMPUTE_PGM_RSRC2:TGID_X_EN: 1
; COMPUTE_PGM_RSRC2:TGID_Y_EN: 0
; COMPUTE_PGM_RSRC2:TGID_Z_EN: 0
; COMPUTE_PGM_RSRC2:TIDIG_COMP_CNT: 0
; COMPUTE_PGM_RSRC3_GFX90A:ACCUM_OFFSET: 10
; COMPUTE_PGM_RSRC3_GFX90A:TG_SPLIT: 0
	.section	.text._ZN9rocsparseL23bsrgemm_fill_wf_per_rowILj256ELj64ELj8ELj137ELj4EiifEEv20rocsparse_direction_T5_S2_S2_PKS2_S4_NS_24const_host_device_scalarIT6_EEPKT4_S4_PKS6_SA_S4_SC_S7_SA_S4_SC_SA_PS2_PS6_21rocsparse_index_base_SF_SF_SF_bbb,"axG",@progbits,_ZN9rocsparseL23bsrgemm_fill_wf_per_rowILj256ELj64ELj8ELj137ELj4EiifEEv20rocsparse_direction_T5_S2_S2_PKS2_S4_NS_24const_host_device_scalarIT6_EEPKT4_S4_PKS6_SA_S4_SC_S7_SA_S4_SC_SA_PS2_PS6_21rocsparse_index_base_SF_SF_SF_bbb,comdat
	.globl	_ZN9rocsparseL23bsrgemm_fill_wf_per_rowILj256ELj64ELj8ELj137ELj4EiifEEv20rocsparse_direction_T5_S2_S2_PKS2_S4_NS_24const_host_device_scalarIT6_EEPKT4_S4_PKS6_SA_S4_SC_S7_SA_S4_SC_SA_PS2_PS6_21rocsparse_index_base_SF_SF_SF_bbb ; -- Begin function _ZN9rocsparseL23bsrgemm_fill_wf_per_rowILj256ELj64ELj8ELj137ELj4EiifEEv20rocsparse_direction_T5_S2_S2_PKS2_S4_NS_24const_host_device_scalarIT6_EEPKT4_S4_PKS6_SA_S4_SC_S7_SA_S4_SC_SA_PS2_PS6_21rocsparse_index_base_SF_SF_SF_bbb
	.p2align	8
	.type	_ZN9rocsparseL23bsrgemm_fill_wf_per_rowILj256ELj64ELj8ELj137ELj4EiifEEv20rocsparse_direction_T5_S2_S2_PKS2_S4_NS_24const_host_device_scalarIT6_EEPKT4_S4_PKS6_SA_S4_SC_S7_SA_S4_SC_SA_PS2_PS6_21rocsparse_index_base_SF_SF_SF_bbb,@function
_ZN9rocsparseL23bsrgemm_fill_wf_per_rowILj256ELj64ELj8ELj137ELj4EiifEEv20rocsparse_direction_T5_S2_S2_PKS2_S4_NS_24const_host_device_scalarIT6_EEPKT4_S4_PKS6_SA_S4_SC_S7_SA_S4_SC_SA_PS2_PS6_21rocsparse_index_base_SF_SF_SF_bbb: ; @_ZN9rocsparseL23bsrgemm_fill_wf_per_rowILj256ELj64ELj8ELj137ELj4EiifEEv20rocsparse_direction_T5_S2_S2_PKS2_S4_NS_24const_host_device_scalarIT6_EEPKT4_S4_PKS6_SA_S4_SC_S7_SA_S4_SC_SA_PS2_PS6_21rocsparse_index_base_SF_SF_SF_bbb
; %bb.0:
	s_load_dword s7, s[4:5], 0xa0
	s_load_dwordx2 s[0:1], s[4:5], 0x20
	s_load_dwordx2 s[8:9], s[4:5], 0x58
	s_waitcnt lgkmcnt(0)
	s_bitcmp1_b32 s7, 0
	s_cselect_b64 s[2:3], -1, 0
	s_bitcmp1_b32 s7, 16
	s_cselect_b64 s[10:11], -1, 0
	s_xor_b64 s[12:13], s[2:3], -1
	s_or_b64 s[12:13], s[12:13], s[10:11]
	s_and_b64 vcc, exec, s[12:13]
	s_cbranch_vccnz .LBB13_2
; %bb.1:
	s_load_dword s0, s[0:1], 0x0
	s_waitcnt lgkmcnt(0)
	v_mov_b32_e32 v28, s0
	s_branch .LBB13_3
.LBB13_2:
	v_mov_b32_e32 v1, s0
	v_cndmask_b32_e64 v28, 0, v1, s[2:3]
.LBB13_3:
	s_bitcmp1_b32 s7, 8
	s_cselect_b64 s[0:1], -1, 0
	s_xor_b64 s[12:13], s[0:1], -1
	s_or_b64 s[10:11], s[12:13], s[10:11]
	s_and_b64 vcc, exec, s[10:11]
	s_cbranch_vccnz .LBB13_5
; %bb.4:
	s_load_dword s7, s[8:9], 0x0
	s_waitcnt lgkmcnt(0)
	v_mov_b32_e32 v5, s7
	s_branch .LBB13_6
.LBB13_5:
	v_mov_b32_e32 v1, s8
	v_cndmask_b32_e64 v5, 0, v1, s[0:1]
.LBB13_6:
	s_load_dwordx4 s[20:23], s[4:5], 0x0
	v_and_b32_e32 v2, 63, v0
	v_lshrrev_b32_e32 v1, 6, v0
	v_mov_b32_e32 v3, 0x800
	v_lshl_or_b32 v3, v1, 5, v3
	v_cmp_gt_u32_e32 vcc, 8, v2
	s_and_saveexec_b64 s[8:9], vcc
	s_cbranch_execz .LBB13_8
; %bb.7:
	v_lshl_add_u32 v4, v2, 2, v3
	s_waitcnt lgkmcnt(0)
	v_mov_b32_e32 v6, s22
	ds_write_b32 v4, v6
.LBB13_8:
	s_or_b64 exec, exec, s[8:9]
	v_lshl_or_b32 v6, s6, 2, v1
	v_lshlrev_b32_e32 v26, 9, v1
	v_lshl_or_b32 v4, v2, 2, v26
	v_mov_b32_e32 v7, 0
	s_waitcnt lgkmcnt(0)
	v_cmp_gt_i32_e32 vcc, s21, v6
	ds_write2st64_b32 v4, v7, v7 offset1:1
	s_waitcnt lgkmcnt(0)
	s_barrier
	s_and_saveexec_b64 s[6:7], vcc
	s_cbranch_execz .LBB13_65
; %bb.9:
	s_load_dwordx2 s[6:7], s[4:5], 0x18
	s_load_dwordx4 s[24:27], s[4:5], 0x90
	s_waitcnt lgkmcnt(0)
	s_cmp_eq_u64 s[6:7], 0
	s_cbranch_scc1 .LBB13_11
; %bb.10:
	s_load_dwordx2 s[8:9], s[4:5], 0x10
	v_mov_b32_e32 v4, s7
	s_waitcnt lgkmcnt(0)
	s_load_dword s8, s[8:9], 0x0
	s_waitcnt lgkmcnt(0)
	v_add_u32_e32 v6, s8, v6
	v_ashrrev_i32_e32 v7, 31, v6
	v_lshlrev_b64 v[6:7], 2, v[6:7]
	v_add_co_u32_e32 v6, vcc, s6, v6
	v_addc_co_u32_e32 v7, vcc, v4, v7, vcc
	global_load_dword v6, v[6:7], off
.LBB13_11:
	s_load_dwordx2 s[28:29], s[4:5], 0x78
	s_waitcnt vmcnt(0)
	v_ashrrev_i32_e32 v7, 31, v6
	v_lshrrev_b32_e32 v27, 4, v2
	v_and_b32_e32 v2, 3, v0
	v_bfe_u32 v4, v0, 2, 2
	s_andn2_b64 vcc, exec, s[2:3]
	v_lshlrev_b64 v[6:7], 2, v[6:7]
	s_cbranch_vccnz .LBB13_42
; %bb.12:
	s_load_dwordx2 s[2:3], s[4:5], 0x28
	v_subrev_u32_e32 v10, s24, v27
	s_waitcnt lgkmcnt(0)
	v_mov_b32_e32 v9, s3
	v_add_co_u32_e32 v8, vcc, s2, v6
	v_addc_co_u32_e32 v9, vcc, v9, v7, vcc
	global_load_dwordx2 v[8:9], v[8:9], off
	s_waitcnt vmcnt(0)
	v_subrev_u32_e32 v29, s24, v9
	v_add_u32_e32 v8, v8, v10
	v_cmp_lt_i32_e32 vcc, v8, v29
	s_and_saveexec_b64 s[10:11], vcc
	s_cbranch_execz .LBB13_41
; %bb.13:
	s_load_dwordx2 s[30:31], s[4:5], 0x50
	s_load_dwordx8 s[12:19], s[4:5], 0x30
	s_cmp_lg_u32 s20, 0
	v_max_i32_e32 v9, v2, v4
	s_cselect_b64 s[6:7], -1, 0
	s_cmp_gt_i32 s23, 0
	v_cmp_gt_i32_e64 s[2:3], s23, v9
	s_cselect_b64 s[8:9], -1, 0
	s_mul_i32 s21, s23, s23
	v_cndmask_b32_e64 v9, 0, 1, s[6:7]
	v_mad_u64_u32 v[10:11], s[34:35], s21, v8, v[4:5]
	v_mad_u64_u32 v[12:13], s[34:35], s23, v8, v[4:5]
	v_cmp_ne_u32_e64 s[6:7], 1, v9
	v_cndmask_b32_e64 v9, 0, 1, s[8:9]
	v_and_b32_e32 v30, 15, v0
	s_lshl_b32 s33, s21, 2
	v_mul_lo_u32 v12, s23, v12
	s_mov_b64 s[34:35], 0
	s_waitcnt lgkmcnt(0)
	v_mov_b32_e32 v11, s13
	v_mov_b32_e32 v31, s17
	v_cmp_ne_u32_e64 s[8:9], 1, v9
	s_branch .LBB13_15
.LBB13_14:                              ;   in Loop: Header=BB13_15 Depth=1
	s_or_b64 exec, exec, s[36:37]
	v_add_u32_e32 v8, 4, v8
	v_cmp_ge_i32_e32 vcc, v8, v29
	v_add_u32_e32 v10, s33, v10
	s_or_b64 s[34:35], vcc, s[34:35]
	v_add_u32_e32 v12, s33, v12
	s_andn2_b64 exec, exec, s[34:35]
	s_cbranch_execz .LBB13_41
.LBB13_15:                              ; =>This Loop Header: Depth=1
                                        ;     Child Loop BB13_18 Depth 2
                                        ;       Child Loop BB13_22 Depth 3
                                        ;       Child Loop BB13_28 Depth 3
	;; [unrolled: 1-line block ×3, first 2 shown]
	v_ashrrev_i32_e32 v9, 31, v8
	v_lshlrev_b64 v[14:15], 2, v[8:9]
	v_add_co_u32_e32 v14, vcc, s12, v14
	v_addc_co_u32_e32 v15, vcc, v11, v15, vcc
	global_load_dword v9, v[14:15], off
	s_waitcnt vmcnt(0)
	v_subrev_u32_e32 v14, s24, v9
	v_ashrrev_i32_e32 v15, 31, v14
	v_lshlrev_b64 v[14:15], 2, v[14:15]
	v_add_co_u32_e32 v14, vcc, s16, v14
	v_addc_co_u32_e32 v15, vcc, v31, v15, vcc
	global_load_dwordx2 v[16:17], v[14:15], off
	s_waitcnt vmcnt(0)
	v_cmp_lt_i32_e32 vcc, v16, v17
	s_and_saveexec_b64 s[36:37], vcc
	s_cbranch_execz .LBB13_14
; %bb.16:                               ;   in Loop: Header=BB13_15 Depth=1
	v_ashrrev_i32_e32 v13, 31, v12
	v_lshlrev_b64 v[14:15], 2, v[12:13]
	v_subrev_u32_e32 v16, s25, v16
	v_mov_b32_e32 v9, s15
	v_add_co_u32_e32 v14, vcc, s14, v14
	v_mad_u64_u32 v[18:19], s[38:39], s23, v16, v[2:3]
	v_mad_u64_u32 v[20:21], s[38:39], s21, v16, v[2:3]
	v_addc_co_u32_e32 v15, vcc, v9, v15, vcc
	v_subrev_u32_e32 v9, s25, v17
	v_mul_lo_u32 v18, s23, v18
	s_mov_b64 s[38:39], 0
	s_branch .LBB13_18
.LBB13_17:                              ;   in Loop: Header=BB13_18 Depth=2
	s_or_b64 exec, exec, s[40:41]
	v_add_u32_e32 v16, 1, v16
	v_cmp_ge_i32_e32 vcc, v16, v9
	v_add_u32_e32 v18, s21, v18
	s_or_b64 s[38:39], vcc, s[38:39]
	v_add_u32_e32 v20, s21, v20
	s_andn2_b64 exec, exec, s[38:39]
	s_cbranch_execz .LBB13_14
.LBB13_18:                              ;   Parent Loop BB13_15 Depth=1
                                        ; =>  This Loop Header: Depth=2
                                        ;       Child Loop BB13_22 Depth 3
                                        ;       Child Loop BB13_28 Depth 3
	;; [unrolled: 1-line block ×3, first 2 shown]
	s_and_saveexec_b64 s[40:41], s[2:3]
	s_cbranch_execz .LBB13_17
; %bb.19:                               ;   in Loop: Header=BB13_18 Depth=2
	v_ashrrev_i32_e32 v17, 31, v16
	v_lshlrev_b64 v[22:23], 2, v[16:17]
	v_mov_b32_e32 v13, s19
	v_add_co_u32_e32 v22, vcc, s18, v22
	v_addc_co_u32_e32 v23, vcc, v13, v23, vcc
	global_load_dword v13, v[22:23], off
	s_and_b64 vcc, exec, s[6:7]
	s_cbranch_vccnz .LBB13_24
; %bb.20:                               ;   in Loop: Header=BB13_18 Depth=2
	s_and_b64 vcc, exec, s[8:9]
	s_cbranch_vccnz .LBB13_25
; %bb.21:                               ;   in Loop: Header=BB13_18 Depth=2
	v_ashrrev_i32_e32 v19, 31, v18
	v_lshlrev_b64 v[22:23], 2, v[18:19]
	v_mov_b32_e32 v17, s31
	v_add_co_u32_e32 v22, vcc, s30, v22
	v_addc_co_u32_e32 v23, vcc, v17, v23, vcc
	v_mov_b32_e32 v17, 0
	v_mov_b32_e32 v24, v10
	s_mov_b32 s13, s23
.LBB13_22:                              ;   Parent Loop BB13_15 Depth=1
                                        ;     Parent Loop BB13_18 Depth=2
                                        ; =>    This Inner Loop Header: Depth=3
	v_ashrrev_i32_e32 v25, 31, v24
	v_lshlrev_b64 v[32:33], 2, v[24:25]
	v_mov_b32_e32 v19, s15
	v_add_co_u32_e32 v32, vcc, s14, v32
	v_addc_co_u32_e32 v33, vcc, v19, v33, vcc
	global_load_dword v21, v[22:23], off
	global_load_dword v19, v[32:33], off
	s_add_i32 s13, s13, -1
	v_add_co_u32_e32 v22, vcc, 4, v22
	v_addc_co_u32_e32 v23, vcc, 0, v23, vcc
	v_add_u32_e32 v24, s23, v24
	s_cmp_lg_u32 s13, 0
	s_waitcnt vmcnt(0)
	v_fmac_f32_e32 v17, v19, v21
	s_cbranch_scc1 .LBB13_22
; %bb.23:                               ;   in Loop: Header=BB13_18 Depth=2
	s_cbranch_execz .LBB13_26
	s_branch .LBB13_29
.LBB13_24:                              ;   in Loop: Header=BB13_18 Depth=2
                                        ; implicit-def: $vgpr17
	s_branch .LBB13_26
.LBB13_25:                              ;   in Loop: Header=BB13_18 Depth=2
	v_mov_b32_e32 v17, 0
	s_cbranch_execnz .LBB13_29
.LBB13_26:                              ;   in Loop: Header=BB13_18 Depth=2
	v_mov_b32_e32 v17, 0
	s_and_b64 vcc, exec, s[8:9]
	s_cbranch_vccnz .LBB13_29
; %bb.27:                               ;   in Loop: Header=BB13_18 Depth=2
	v_pk_mov_b32 v[22:23], v[14:15], v[14:15] op_sel:[0,1]
	v_mov_b32_e32 v24, v20
	s_mov_b32 s13, s23
.LBB13_28:                              ;   Parent Loop BB13_15 Depth=1
                                        ;     Parent Loop BB13_18 Depth=2
                                        ; =>    This Inner Loop Header: Depth=3
	v_ashrrev_i32_e32 v25, 31, v24
	v_lshlrev_b64 v[32:33], 2, v[24:25]
	v_mov_b32_e32 v21, s31
	v_add_co_u32_e32 v32, vcc, s30, v32
	v_addc_co_u32_e32 v33, vcc, v21, v33, vcc
	global_load_dword v19, v[22:23], off
	global_load_dword v21, v[32:33], off
	s_add_i32 s13, s13, -1
	v_add_co_u32_e32 v22, vcc, 4, v22
	v_addc_co_u32_e32 v23, vcc, 0, v23, vcc
	v_add_u32_e32 v24, s23, v24
	s_cmp_eq_u32 s13, 0
	s_waitcnt vmcnt(0)
	v_fmac_f32_e32 v17, v19, v21
	s_cbranch_scc0 .LBB13_28
.LBB13_29:                              ;   in Loop: Header=BB13_18 Depth=2
	s_waitcnt vmcnt(0)
	v_subrev_u32_e32 v13, s25, v13
	v_mul_f32_e32 v17, v28, v17
	v_and_b32_e32 v19, 7, v13
	s_mov_b64 s[42:43], 0
	s_branch .LBB13_31
.LBB13_30:                              ;   in Loop: Header=BB13_31 Depth=3
	s_or_b64 exec, exec, s[44:45]
	s_xor_b64 s[44:45], s[46:47], -1
	s_and_b64 s[44:45], exec, s[44:45]
	s_or_b64 s[42:43], s[44:45], s[42:43]
	s_andn2_b64 exec, exec, s[42:43]
	s_cbranch_execz .LBB13_17
.LBB13_31:                              ;   Parent Loop BB13_15 Depth=1
                                        ;     Parent Loop BB13_18 Depth=2
                                        ; =>    This Inner Loop Header: Depth=3
	v_lshl_add_u32 v21, v19, 2, v3
	ds_read_b32 v22, v21
                                        ; implicit-def: $sgpr46_sgpr47
	s_waitcnt lgkmcnt(0)
	v_cmp_ne_u32_e32 vcc, v22, v13
	s_and_saveexec_b64 s[44:45], vcc
	s_xor_b64 s[44:45], exec, s[44:45]
	s_cbranch_execz .LBB13_39
; %bb.32:                               ;   in Loop: Header=BB13_31 Depth=3
	v_cmp_ne_u32_e32 vcc, s22, v22
                                        ; implicit-def: $sgpr46_sgpr47
	s_and_saveexec_b64 s[48:49], vcc
	s_xor_b64 s[48:49], exec, s[48:49]
; %bb.33:                               ;   in Loop: Header=BB13_31 Depth=3
	v_add_u32_e32 v19, 1, v19
	v_and_b32_e32 v19, 7, v19
	s_mov_b64 s[46:47], -1
                                        ; implicit-def: $vgpr21
; %bb.34:                               ;   in Loop: Header=BB13_31 Depth=3
	s_andn2_saveexec_b64 s[48:49], s[48:49]
	s_cbranch_execz .LBB13_38
; %bb.35:                               ;   in Loop: Header=BB13_31 Depth=3
	v_mov_b32_e32 v22, s22
	ds_cmpst_rtn_b32 v21, v21, v22, v13
	s_mov_b64 s[52:53], -1
	s_waitcnt lgkmcnt(0)
	v_cmp_eq_u32_e32 vcc, s22, v21
	s_and_saveexec_b64 s[50:51], vcc
	s_cbranch_execz .LBB13_37
; %bb.36:                               ;   in Loop: Header=BB13_31 Depth=3
	v_lshlrev_b32_e32 v21, 2, v30
	v_lshl_or_b32 v21, v19, 6, v21
	v_add_u32_e32 v21, v26, v21
	ds_add_f32 v21, v17
	s_xor_b64 s[52:53], exec, -1
.LBB13_37:                              ;   in Loop: Header=BB13_31 Depth=3
	s_or_b64 exec, exec, s[50:51]
	s_andn2_b64 s[46:47], s[46:47], exec
	s_and_b64 s[50:51], s[52:53], exec
	s_or_b64 s[46:47], s[46:47], s[50:51]
.LBB13_38:                              ;   in Loop: Header=BB13_31 Depth=3
	s_or_b64 exec, exec, s[48:49]
	s_and_b64 s[46:47], s[46:47], exec
.LBB13_39:                              ;   in Loop: Header=BB13_31 Depth=3
	s_andn2_saveexec_b64 s[44:45], s[44:45]
	s_cbranch_execz .LBB13_30
; %bb.40:                               ;   in Loop: Header=BB13_31 Depth=3
	v_lshlrev_b32_e32 v21, 2, v30
	v_lshl_or_b32 v21, v19, 6, v21
	v_add_u32_e32 v21, v26, v21
	ds_add_f32 v21, v17
	s_andn2_b64 s[46:47], s[46:47], exec
	s_branch .LBB13_30
.LBB13_41:
	s_or_b64 exec, exec, s[10:11]
.LBB13_42:
	s_load_dwordx4 s[8:11], s[4:5], 0x80
	s_andn2_b64 vcc, exec, s[0:1]
	s_waitcnt lgkmcnt(0)
	s_barrier
	s_cbranch_vccnz .LBB13_60
; %bb.43:
	s_load_dwordx2 s[0:1], s[4:5], 0x60
	v_subrev_u32_e32 v10, s27, v27
	s_waitcnt lgkmcnt(0)
	v_mov_b32_e32 v9, s1
	v_add_co_u32_e32 v8, vcc, s0, v6
	v_addc_co_u32_e32 v9, vcc, v9, v7, vcc
	global_load_dwordx2 v[8:9], v[8:9], off
	s_waitcnt vmcnt(0)
	v_subrev_u32_e32 v11, s27, v9
	v_add_u32_e32 v8, v8, v10
	v_cmp_lt_i32_e32 vcc, v8, v11
	s_and_saveexec_b64 s[2:3], vcc
	s_cbranch_execz .LBB13_59
; %bb.44:
	s_load_dwordx4 s[4:7], s[4:5], 0x68
	v_max_i32_e32 v9, v2, v4
	s_cmp_eq_u32 s20, 0
	v_cmp_gt_i32_e32 vcc, s23, v9
	v_and_b32_e32 v9, 15, v0
	s_cselect_b64 s[0:1], -1, 0
	v_cndmask_b32_e64 v0, v2, v4, s[0:1]
	v_cndmask_b32_e64 v10, v4, v2, s[0:1]
	s_mov_b64 s[12:13], 0
	v_lshlrev_b32_e32 v12, 2, v9
	s_branch .LBB13_46
.LBB13_45:                              ;   in Loop: Header=BB13_46 Depth=1
	s_or_b64 exec, exec, s[14:15]
	v_add_u32_e32 v8, 4, v8
	v_cmp_ge_i32_e64 s[0:1], v8, v11
	s_or_b64 s[12:13], s[0:1], s[12:13]
	s_andn2_b64 exec, exec, s[12:13]
	s_cbranch_execz .LBB13_59
.LBB13_46:                              ; =>This Loop Header: Depth=1
                                        ;     Child Loop BB13_49 Depth 2
	s_and_saveexec_b64 s[14:15], vcc
	s_cbranch_execz .LBB13_45
; %bb.47:                               ;   in Loop: Header=BB13_46 Depth=1
	v_ashrrev_i32_e32 v9, 31, v8
	v_lshlrev_b64 v[14:15], 2, v[8:9]
	s_waitcnt lgkmcnt(0)
	v_mov_b32_e32 v9, s5
	v_add_co_u32_e64 v14, s[0:1], s4, v14
	v_addc_co_u32_e64 v15, s[0:1], v9, v15, s[0:1]
	global_load_dword v9, v[14:15], off
	v_mad_u64_u32 v[14:15], s[0:1], v8, s23, v[0:1]
	v_mad_u64_u32 v[14:15], s[0:1], v14, s23, v[10:11]
	v_ashrrev_i32_e32 v15, 31, v14
	v_lshlrev_b64 v[14:15], 2, v[14:15]
	v_mov_b32_e32 v13, s7
	v_add_co_u32_e64 v14, s[0:1], s6, v14
	v_addc_co_u32_e64 v15, s[0:1], v13, v15, s[0:1]
	global_load_dword v13, v[14:15], off
	s_mov_b64 s[16:17], 0
	s_waitcnt vmcnt(1)
	v_subrev_u32_e32 v9, s27, v9
	v_and_b32_e32 v14, 7, v9
	s_waitcnt vmcnt(0)
	v_mul_f32_e32 v13, v5, v13
	s_branch .LBB13_49
.LBB13_48:                              ;   in Loop: Header=BB13_49 Depth=2
	s_or_b64 exec, exec, s[0:1]
	s_xor_b64 s[0:1], s[24:25], -1
	s_and_b64 s[0:1], exec, s[0:1]
	s_or_b64 s[16:17], s[0:1], s[16:17]
	s_andn2_b64 exec, exec, s[16:17]
	s_cbranch_execz .LBB13_45
.LBB13_49:                              ;   Parent Loop BB13_46 Depth=1
                                        ; =>  This Inner Loop Header: Depth=2
	v_lshl_add_u32 v15, v14, 2, v3
	ds_read_b32 v16, v15
                                        ; implicit-def: $sgpr24_sgpr25
	s_waitcnt lgkmcnt(0)
	v_cmp_ne_u32_e64 s[0:1], v16, v9
	s_and_saveexec_b64 s[18:19], s[0:1]
	s_xor_b64 s[18:19], exec, s[18:19]
	s_cbranch_execz .LBB13_57
; %bb.50:                               ;   in Loop: Header=BB13_49 Depth=2
	v_cmp_ne_u32_e64 s[0:1], s22, v16
                                        ; implicit-def: $sgpr24_sgpr25
	s_and_saveexec_b64 s[30:31], s[0:1]
	s_xor_b64 s[0:1], exec, s[30:31]
; %bb.51:                               ;   in Loop: Header=BB13_49 Depth=2
	v_add_u32_e32 v14, 1, v14
	v_and_b32_e32 v14, 7, v14
	s_mov_b64 s[24:25], -1
                                        ; implicit-def: $vgpr15
; %bb.52:                               ;   in Loop: Header=BB13_49 Depth=2
	s_andn2_saveexec_b64 s[30:31], s[0:1]
	s_cbranch_execz .LBB13_56
; %bb.53:                               ;   in Loop: Header=BB13_49 Depth=2
	v_mov_b32_e32 v16, s22
	ds_cmpst_rtn_b32 v15, v15, v16, v9
	s_mov_b64 s[34:35], -1
	s_waitcnt lgkmcnt(0)
	v_cmp_eq_u32_e64 s[0:1], s22, v15
	s_and_saveexec_b64 s[36:37], s[0:1]
	s_cbranch_execz .LBB13_55
; %bb.54:                               ;   in Loop: Header=BB13_49 Depth=2
	v_lshl_or_b32 v15, v14, 6, v12
	v_add_u32_e32 v15, v26, v15
	ds_add_f32 v15, v13
	s_xor_b64 s[34:35], exec, -1
.LBB13_55:                              ;   in Loop: Header=BB13_49 Depth=2
	s_or_b64 exec, exec, s[36:37]
	s_andn2_b64 s[0:1], s[24:25], exec
	s_and_b64 s[24:25], s[34:35], exec
	s_or_b64 s[24:25], s[0:1], s[24:25]
.LBB13_56:                              ;   in Loop: Header=BB13_49 Depth=2
	s_or_b64 exec, exec, s[30:31]
	s_and_b64 s[24:25], s[24:25], exec
.LBB13_57:                              ;   in Loop: Header=BB13_49 Depth=2
	s_andn2_saveexec_b64 s[0:1], s[18:19]
	s_cbranch_execz .LBB13_48
; %bb.58:                               ;   in Loop: Header=BB13_49 Depth=2
	v_lshl_or_b32 v15, v14, 6, v12
	v_add_u32_e32 v15, v26, v15
	ds_add_f32 v15, v13
	s_andn2_b64 s[24:25], s[24:25], exec
	s_branch .LBB13_48
.LBB13_59:
	s_or_b64 exec, exec, s[2:3]
.LBB13_60:
	v_mov_b32_e32 v0, s29
	v_add_co_u32_e32 v6, vcc, s28, v6
	v_addc_co_u32_e32 v7, vcc, v0, v7, vcc
	s_waitcnt lgkmcnt(0)
	s_barrier
	global_load_dword v0, v[6:7], off
	s_cmp_eq_u32 s20, 0
	v_max_i32_e32 v6, v2, v4
	v_lshlrev_b32_e32 v7, 5, v1
	v_lshlrev_b32_e32 v8, 2, v27
	s_movk_i32 s2, 0x800
	s_cselect_b64 s[0:1], -1, 0
	v_cmp_gt_i32_e32 vcc, s23, v6
	v_or3_b32 v6, v7, v8, s2
	v_cndmask_b32_e64 v7, v4, v2, s[0:1]
	v_lshlrev_b32_e32 v7, 2, v7
	v_cndmask_b32_e64 v9, v2, v4, s[0:1]
	v_lshl_or_b32 v7, v27, 6, v7
	v_lshl_or_b32 v7, v9, 4, v7
	v_or_b32_e32 v5, -4, v27
	v_lshl_or_b32 v7, v1, 9, v7
	s_mov_b64 s[2:3], 0
	s_waitcnt vmcnt(0)
	v_subrev_u32_e32 v8, s26, v0
	s_branch .LBB13_62
.LBB13_61:                              ;   in Loop: Header=BB13_62 Depth=1
	s_or_b64 exec, exec, s[4:5]
	v_add_co_u32_e64 v5, s[0:1], 4, v5
	s_xor_b64 s[0:1], s[0:1], -1
	s_and_b64 s[0:1], exec, s[0:1]
	v_add_u32_e32 v7, 0x100, v7
	s_or_b64 s[2:3], s[0:1], s[2:3]
	v_add_u32_e32 v6, 16, v6
	s_andn2_b64 exec, exec, s[2:3]
	s_cbranch_execz .LBB13_65
.LBB13_62:                              ; =>This Inner Loop Header: Depth=1
	ds_read_b32 v1, v6
	s_waitcnt lgkmcnt(0)
	v_cmp_gt_i32_e64 s[0:1], s22, v1
	s_and_saveexec_b64 s[4:5], s[0:1]
	s_cbranch_execz .LBB13_61
; %bb.63:                               ;   in Loop: Header=BB13_62 Depth=1
	ds_read_b128 v[10:13], v3
	ds_read_b128 v[14:17], v3 offset:16
	s_waitcnt lgkmcnt(1)
	v_cmp_gt_i32_e64 s[0:1], v1, v10
	v_cndmask_b32_e64 v0, 0, 1, s[0:1]
	v_cmp_gt_i32_e64 s[0:1], v1, v11
	v_addc_co_u32_e64 v0, s[0:1], v8, v0, s[0:1]
	v_cmp_gt_i32_e64 s[0:1], v1, v12
	v_cndmask_b32_e64 v9, 0, 1, s[0:1]
	v_cmp_gt_i32_e64 s[0:1], v1, v13
	v_addc_co_u32_e64 v0, s[0:1], v0, v9, s[0:1]
	s_waitcnt lgkmcnt(0)
	v_cmp_gt_i32_e64 s[0:1], v1, v14
	v_cndmask_b32_e64 v9, 0, 1, s[0:1]
	v_cmp_gt_i32_e64 s[0:1], v1, v15
	v_addc_co_u32_e64 v0, s[0:1], v0, v9, s[0:1]
	v_cmp_gt_i32_e64 s[0:1], v1, v16
	v_cndmask_b32_e64 v9, 0, 1, s[0:1]
	v_cmp_gt_i32_e64 s[0:1], v1, v17
	v_addc_co_u32_e64 v0, s[0:1], v0, v9, s[0:1]
	v_add_u32_e32 v9, s26, v1
	v_ashrrev_i32_e32 v1, 31, v0
	v_lshlrev_b64 v[10:11], 2, v[0:1]
	v_mov_b32_e32 v1, s9
	v_add_co_u32_e64 v10, s[0:1], s8, v10
	v_addc_co_u32_e64 v11, s[0:1], v1, v11, s[0:1]
	global_store_dword v[10:11], v9, off
	s_and_b64 exec, exec, vcc
	s_cbranch_execz .LBB13_61
; %bb.64:                               ;   in Loop: Header=BB13_62 Depth=1
	v_mad_u64_u32 v[0:1], s[0:1], v0, s23, v[4:5]
	v_mad_u64_u32 v[0:1], s[0:1], v0, s23, v[2:3]
	ds_read_b32 v10, v7
	v_ashrrev_i32_e32 v1, 31, v0
	v_lshlrev_b64 v[0:1], 2, v[0:1]
	v_mov_b32_e32 v9, s11
	v_add_co_u32_e64 v0, s[0:1], s10, v0
	v_addc_co_u32_e64 v1, s[0:1], v9, v1, s[0:1]
	s_waitcnt lgkmcnt(0)
	global_store_dword v[0:1], v10, off
	s_branch .LBB13_61
.LBB13_65:
	s_endpgm
	.section	.rodata,"a",@progbits
	.p2align	6, 0x0
	.amdhsa_kernel _ZN9rocsparseL23bsrgemm_fill_wf_per_rowILj256ELj64ELj8ELj137ELj4EiifEEv20rocsparse_direction_T5_S2_S2_PKS2_S4_NS_24const_host_device_scalarIT6_EEPKT4_S4_PKS6_SA_S4_SC_S7_SA_S4_SC_SA_PS2_PS6_21rocsparse_index_base_SF_SF_SF_bbb
		.amdhsa_group_segment_fixed_size 2176
		.amdhsa_private_segment_fixed_size 0
		.amdhsa_kernarg_size 164
		.amdhsa_user_sgpr_count 6
		.amdhsa_user_sgpr_private_segment_buffer 1
		.amdhsa_user_sgpr_dispatch_ptr 0
		.amdhsa_user_sgpr_queue_ptr 0
		.amdhsa_user_sgpr_kernarg_segment_ptr 1
		.amdhsa_user_sgpr_dispatch_id 0
		.amdhsa_user_sgpr_flat_scratch_init 0
		.amdhsa_user_sgpr_kernarg_preload_length 0
		.amdhsa_user_sgpr_kernarg_preload_offset 0
		.amdhsa_user_sgpr_private_segment_size 0
		.amdhsa_uses_dynamic_stack 0
		.amdhsa_system_sgpr_private_segment_wavefront_offset 0
		.amdhsa_system_sgpr_workgroup_id_x 1
		.amdhsa_system_sgpr_workgroup_id_y 0
		.amdhsa_system_sgpr_workgroup_id_z 0
		.amdhsa_system_sgpr_workgroup_info 0
		.amdhsa_system_vgpr_workitem_id 0
		.amdhsa_next_free_vgpr 34
		.amdhsa_next_free_sgpr 54
		.amdhsa_accum_offset 36
		.amdhsa_reserve_vcc 1
		.amdhsa_reserve_flat_scratch 0
		.amdhsa_float_round_mode_32 0
		.amdhsa_float_round_mode_16_64 0
		.amdhsa_float_denorm_mode_32 3
		.amdhsa_float_denorm_mode_16_64 3
		.amdhsa_dx10_clamp 1
		.amdhsa_ieee_mode 1
		.amdhsa_fp16_overflow 0
		.amdhsa_tg_split 0
		.amdhsa_exception_fp_ieee_invalid_op 0
		.amdhsa_exception_fp_denorm_src 0
		.amdhsa_exception_fp_ieee_div_zero 0
		.amdhsa_exception_fp_ieee_overflow 0
		.amdhsa_exception_fp_ieee_underflow 0
		.amdhsa_exception_fp_ieee_inexact 0
		.amdhsa_exception_int_div_zero 0
	.end_amdhsa_kernel
	.section	.text._ZN9rocsparseL23bsrgemm_fill_wf_per_rowILj256ELj64ELj8ELj137ELj4EiifEEv20rocsparse_direction_T5_S2_S2_PKS2_S4_NS_24const_host_device_scalarIT6_EEPKT4_S4_PKS6_SA_S4_SC_S7_SA_S4_SC_SA_PS2_PS6_21rocsparse_index_base_SF_SF_SF_bbb,"axG",@progbits,_ZN9rocsparseL23bsrgemm_fill_wf_per_rowILj256ELj64ELj8ELj137ELj4EiifEEv20rocsparse_direction_T5_S2_S2_PKS2_S4_NS_24const_host_device_scalarIT6_EEPKT4_S4_PKS6_SA_S4_SC_S7_SA_S4_SC_SA_PS2_PS6_21rocsparse_index_base_SF_SF_SF_bbb,comdat
.Lfunc_end13:
	.size	_ZN9rocsparseL23bsrgemm_fill_wf_per_rowILj256ELj64ELj8ELj137ELj4EiifEEv20rocsparse_direction_T5_S2_S2_PKS2_S4_NS_24const_host_device_scalarIT6_EEPKT4_S4_PKS6_SA_S4_SC_S7_SA_S4_SC_SA_PS2_PS6_21rocsparse_index_base_SF_SF_SF_bbb, .Lfunc_end13-_ZN9rocsparseL23bsrgemm_fill_wf_per_rowILj256ELj64ELj8ELj137ELj4EiifEEv20rocsparse_direction_T5_S2_S2_PKS2_S4_NS_24const_host_device_scalarIT6_EEPKT4_S4_PKS6_SA_S4_SC_S7_SA_S4_SC_SA_PS2_PS6_21rocsparse_index_base_SF_SF_SF_bbb
                                        ; -- End function
	.section	.AMDGPU.csdata,"",@progbits
; Kernel info:
; codeLenInByte = 2348
; NumSgprs: 58
; NumVgprs: 34
; NumAgprs: 0
; TotalNumVgprs: 34
; ScratchSize: 0
; MemoryBound: 0
; FloatMode: 240
; IeeeMode: 1
; LDSByteSize: 2176 bytes/workgroup (compile time only)
; SGPRBlocks: 7
; VGPRBlocks: 4
; NumSGPRsForWavesPerEU: 58
; NumVGPRsForWavesPerEU: 34
; AccumOffset: 36
; Occupancy: 8
; WaveLimiterHint : 1
; COMPUTE_PGM_RSRC2:SCRATCH_EN: 0
; COMPUTE_PGM_RSRC2:USER_SGPR: 6
; COMPUTE_PGM_RSRC2:TRAP_HANDLER: 0
; COMPUTE_PGM_RSRC2:TGID_X_EN: 1
; COMPUTE_PGM_RSRC2:TGID_Y_EN: 0
; COMPUTE_PGM_RSRC2:TGID_Z_EN: 0
; COMPUTE_PGM_RSRC2:TIDIG_COMP_CNT: 0
; COMPUTE_PGM_RSRC3_GFX90A:ACCUM_OFFSET: 8
; COMPUTE_PGM_RSRC3_GFX90A:TG_SPLIT: 0
	.section	.text._ZN9rocsparseL23bsrgemm_fill_wf_per_rowILj256ELj64ELj16ELj137ELj4EiifEEv20rocsparse_direction_T5_S2_S2_PKS2_S4_NS_24const_host_device_scalarIT6_EEPKT4_S4_PKS6_SA_S4_SC_S7_SA_S4_SC_SA_PS2_PS6_21rocsparse_index_base_SF_SF_SF_bbb,"axG",@progbits,_ZN9rocsparseL23bsrgemm_fill_wf_per_rowILj256ELj64ELj16ELj137ELj4EiifEEv20rocsparse_direction_T5_S2_S2_PKS2_S4_NS_24const_host_device_scalarIT6_EEPKT4_S4_PKS6_SA_S4_SC_S7_SA_S4_SC_SA_PS2_PS6_21rocsparse_index_base_SF_SF_SF_bbb,comdat
	.globl	_ZN9rocsparseL23bsrgemm_fill_wf_per_rowILj256ELj64ELj16ELj137ELj4EiifEEv20rocsparse_direction_T5_S2_S2_PKS2_S4_NS_24const_host_device_scalarIT6_EEPKT4_S4_PKS6_SA_S4_SC_S7_SA_S4_SC_SA_PS2_PS6_21rocsparse_index_base_SF_SF_SF_bbb ; -- Begin function _ZN9rocsparseL23bsrgemm_fill_wf_per_rowILj256ELj64ELj16ELj137ELj4EiifEEv20rocsparse_direction_T5_S2_S2_PKS2_S4_NS_24const_host_device_scalarIT6_EEPKT4_S4_PKS6_SA_S4_SC_S7_SA_S4_SC_SA_PS2_PS6_21rocsparse_index_base_SF_SF_SF_bbb
	.p2align	8
	.type	_ZN9rocsparseL23bsrgemm_fill_wf_per_rowILj256ELj64ELj16ELj137ELj4EiifEEv20rocsparse_direction_T5_S2_S2_PKS2_S4_NS_24const_host_device_scalarIT6_EEPKT4_S4_PKS6_SA_S4_SC_S7_SA_S4_SC_SA_PS2_PS6_21rocsparse_index_base_SF_SF_SF_bbb,@function
_ZN9rocsparseL23bsrgemm_fill_wf_per_rowILj256ELj64ELj16ELj137ELj4EiifEEv20rocsparse_direction_T5_S2_S2_PKS2_S4_NS_24const_host_device_scalarIT6_EEPKT4_S4_PKS6_SA_S4_SC_S7_SA_S4_SC_SA_PS2_PS6_21rocsparse_index_base_SF_SF_SF_bbb: ; @_ZN9rocsparseL23bsrgemm_fill_wf_per_rowILj256ELj64ELj16ELj137ELj4EiifEEv20rocsparse_direction_T5_S2_S2_PKS2_S4_NS_24const_host_device_scalarIT6_EEPKT4_S4_PKS6_SA_S4_SC_S7_SA_S4_SC_SA_PS2_PS6_21rocsparse_index_base_SF_SF_SF_bbb
; %bb.0:
	s_load_dword s7, s[4:5], 0xa0
	s_load_dwordx2 s[0:1], s[4:5], 0x20
	s_load_dwordx2 s[8:9], s[4:5], 0x58
	s_waitcnt lgkmcnt(0)
	s_bitcmp1_b32 s7, 0
	s_cselect_b64 s[2:3], -1, 0
	s_bitcmp1_b32 s7, 16
	s_cselect_b64 s[10:11], -1, 0
	s_xor_b64 s[12:13], s[2:3], -1
	s_or_b64 s[12:13], s[12:13], s[10:11]
	s_and_b64 vcc, exec, s[12:13]
	s_cbranch_vccnz .LBB14_2
; %bb.1:
	s_load_dword s0, s[0:1], 0x0
	s_waitcnt lgkmcnt(0)
	v_mov_b32_e32 v28, s0
	s_branch .LBB14_3
.LBB14_2:
	v_mov_b32_e32 v1, s0
	v_cndmask_b32_e64 v28, 0, v1, s[2:3]
.LBB14_3:
	s_bitcmp1_b32 s7, 8
	s_cselect_b64 s[0:1], -1, 0
	s_xor_b64 s[12:13], s[0:1], -1
	s_or_b64 s[10:11], s[12:13], s[10:11]
	s_and_b64 vcc, exec, s[10:11]
	s_cbranch_vccnz .LBB14_5
; %bb.4:
	s_load_dword s7, s[8:9], 0x0
	s_waitcnt lgkmcnt(0)
	v_mov_b32_e32 v5, s7
	s_branch .LBB14_6
.LBB14_5:
	v_mov_b32_e32 v1, s8
	v_cndmask_b32_e64 v5, 0, v1, s[0:1]
.LBB14_6:
	s_load_dwordx4 s[20:23], s[4:5], 0x0
	v_and_b32_e32 v2, 63, v0
	v_and_b32_e32 v3, 0xc0, v0
	v_lshrrev_b32_e32 v1, 6, v0
	v_or_b32_e32 v3, 0x1000, v3
	v_cmp_gt_u32_e32 vcc, 16, v2
	s_and_saveexec_b64 s[8:9], vcc
	s_cbranch_execz .LBB14_8
; %bb.7:
	v_lshl_add_u32 v4, v2, 2, v3
	s_waitcnt lgkmcnt(0)
	v_mov_b32_e32 v6, s22
	ds_write_b32 v4, v6
.LBB14_8:
	s_or_b64 exec, exec, s[8:9]
	v_lshl_or_b32 v6, s6, 2, v1
	v_lshlrev_b32_e32 v26, 10, v1
	v_lshl_or_b32 v4, v2, 2, v26
	v_mov_b32_e32 v7, 0
	s_waitcnt lgkmcnt(0)
	v_cmp_gt_i32_e32 vcc, s21, v6
	ds_write2st64_b32 v4, v7, v7 offset1:1
	ds_write2st64_b32 v4, v7, v7 offset0:2 offset1:3
	s_waitcnt lgkmcnt(0)
	s_barrier
	s_and_saveexec_b64 s[6:7], vcc
	s_cbranch_execz .LBB14_65
; %bb.9:
	s_load_dwordx2 s[6:7], s[4:5], 0x18
	s_load_dwordx4 s[24:27], s[4:5], 0x90
	s_waitcnt lgkmcnt(0)
	s_cmp_eq_u64 s[6:7], 0
	s_cbranch_scc1 .LBB14_11
; %bb.10:
	s_load_dwordx2 s[8:9], s[4:5], 0x10
	v_mov_b32_e32 v4, s7
	s_waitcnt lgkmcnt(0)
	s_load_dword s8, s[8:9], 0x0
	s_waitcnt lgkmcnt(0)
	v_add_u32_e32 v6, s8, v6
	v_ashrrev_i32_e32 v7, 31, v6
	v_lshlrev_b64 v[6:7], 2, v[6:7]
	v_add_co_u32_e32 v6, vcc, s6, v6
	v_addc_co_u32_e32 v7, vcc, v4, v7, vcc
	global_load_dword v6, v[6:7], off
.LBB14_11:
	s_load_dwordx2 s[28:29], s[4:5], 0x78
	s_waitcnt vmcnt(0)
	v_ashrrev_i32_e32 v7, 31, v6
	v_lshrrev_b32_e32 v27, 4, v2
	v_and_b32_e32 v2, 3, v0
	v_bfe_u32 v4, v0, 2, 2
	s_andn2_b64 vcc, exec, s[2:3]
	v_lshlrev_b64 v[6:7], 2, v[6:7]
	s_cbranch_vccnz .LBB14_42
; %bb.12:
	s_load_dwordx2 s[2:3], s[4:5], 0x28
	v_subrev_u32_e32 v10, s24, v27
	s_waitcnt lgkmcnt(0)
	v_mov_b32_e32 v9, s3
	v_add_co_u32_e32 v8, vcc, s2, v6
	v_addc_co_u32_e32 v9, vcc, v9, v7, vcc
	global_load_dwordx2 v[8:9], v[8:9], off
	s_waitcnt vmcnt(0)
	v_subrev_u32_e32 v29, s24, v9
	v_add_u32_e32 v8, v8, v10
	v_cmp_lt_i32_e32 vcc, v8, v29
	s_and_saveexec_b64 s[10:11], vcc
	s_cbranch_execz .LBB14_41
; %bb.13:
	s_load_dwordx2 s[30:31], s[4:5], 0x50
	s_load_dwordx8 s[12:19], s[4:5], 0x30
	s_cmp_lg_u32 s20, 0
	v_max_i32_e32 v9, v2, v4
	s_cselect_b64 s[6:7], -1, 0
	s_cmp_gt_i32 s23, 0
	v_cmp_gt_i32_e64 s[2:3], s23, v9
	s_cselect_b64 s[8:9], -1, 0
	s_mul_i32 s21, s23, s23
	v_cndmask_b32_e64 v9, 0, 1, s[6:7]
	v_mad_u64_u32 v[10:11], s[34:35], s21, v8, v[4:5]
	v_mad_u64_u32 v[12:13], s[34:35], s23, v8, v[4:5]
	v_cmp_ne_u32_e64 s[6:7], 1, v9
	v_cndmask_b32_e64 v9, 0, 1, s[8:9]
	v_and_b32_e32 v30, 15, v0
	s_lshl_b32 s33, s21, 2
	v_mul_lo_u32 v12, s23, v12
	s_mov_b64 s[34:35], 0
	s_waitcnt lgkmcnt(0)
	v_mov_b32_e32 v11, s13
	v_mov_b32_e32 v31, s17
	v_cmp_ne_u32_e64 s[8:9], 1, v9
	s_branch .LBB14_15
.LBB14_14:                              ;   in Loop: Header=BB14_15 Depth=1
	s_or_b64 exec, exec, s[36:37]
	v_add_u32_e32 v8, 4, v8
	v_cmp_ge_i32_e32 vcc, v8, v29
	v_add_u32_e32 v10, s33, v10
	s_or_b64 s[34:35], vcc, s[34:35]
	v_add_u32_e32 v12, s33, v12
	s_andn2_b64 exec, exec, s[34:35]
	s_cbranch_execz .LBB14_41
.LBB14_15:                              ; =>This Loop Header: Depth=1
                                        ;     Child Loop BB14_18 Depth 2
                                        ;       Child Loop BB14_22 Depth 3
                                        ;       Child Loop BB14_28 Depth 3
	;; [unrolled: 1-line block ×3, first 2 shown]
	v_ashrrev_i32_e32 v9, 31, v8
	v_lshlrev_b64 v[14:15], 2, v[8:9]
	v_add_co_u32_e32 v14, vcc, s12, v14
	v_addc_co_u32_e32 v15, vcc, v11, v15, vcc
	global_load_dword v9, v[14:15], off
	s_waitcnt vmcnt(0)
	v_subrev_u32_e32 v14, s24, v9
	v_ashrrev_i32_e32 v15, 31, v14
	v_lshlrev_b64 v[14:15], 2, v[14:15]
	v_add_co_u32_e32 v14, vcc, s16, v14
	v_addc_co_u32_e32 v15, vcc, v31, v15, vcc
	global_load_dwordx2 v[16:17], v[14:15], off
	s_waitcnt vmcnt(0)
	v_cmp_lt_i32_e32 vcc, v16, v17
	s_and_saveexec_b64 s[36:37], vcc
	s_cbranch_execz .LBB14_14
; %bb.16:                               ;   in Loop: Header=BB14_15 Depth=1
	v_ashrrev_i32_e32 v13, 31, v12
	v_lshlrev_b64 v[14:15], 2, v[12:13]
	v_subrev_u32_e32 v16, s25, v16
	v_mov_b32_e32 v9, s15
	v_add_co_u32_e32 v14, vcc, s14, v14
	v_mad_u64_u32 v[18:19], s[38:39], s23, v16, v[2:3]
	v_mad_u64_u32 v[20:21], s[38:39], s21, v16, v[2:3]
	v_addc_co_u32_e32 v15, vcc, v9, v15, vcc
	v_subrev_u32_e32 v9, s25, v17
	v_mul_lo_u32 v18, s23, v18
	s_mov_b64 s[38:39], 0
	s_branch .LBB14_18
.LBB14_17:                              ;   in Loop: Header=BB14_18 Depth=2
	s_or_b64 exec, exec, s[40:41]
	v_add_u32_e32 v16, 1, v16
	v_cmp_ge_i32_e32 vcc, v16, v9
	v_add_u32_e32 v18, s21, v18
	s_or_b64 s[38:39], vcc, s[38:39]
	v_add_u32_e32 v20, s21, v20
	s_andn2_b64 exec, exec, s[38:39]
	s_cbranch_execz .LBB14_14
.LBB14_18:                              ;   Parent Loop BB14_15 Depth=1
                                        ; =>  This Loop Header: Depth=2
                                        ;       Child Loop BB14_22 Depth 3
                                        ;       Child Loop BB14_28 Depth 3
	;; [unrolled: 1-line block ×3, first 2 shown]
	s_and_saveexec_b64 s[40:41], s[2:3]
	s_cbranch_execz .LBB14_17
; %bb.19:                               ;   in Loop: Header=BB14_18 Depth=2
	v_ashrrev_i32_e32 v17, 31, v16
	v_lshlrev_b64 v[22:23], 2, v[16:17]
	v_mov_b32_e32 v13, s19
	v_add_co_u32_e32 v22, vcc, s18, v22
	v_addc_co_u32_e32 v23, vcc, v13, v23, vcc
	global_load_dword v13, v[22:23], off
	s_and_b64 vcc, exec, s[6:7]
	s_cbranch_vccnz .LBB14_24
; %bb.20:                               ;   in Loop: Header=BB14_18 Depth=2
	s_and_b64 vcc, exec, s[8:9]
	s_cbranch_vccnz .LBB14_25
; %bb.21:                               ;   in Loop: Header=BB14_18 Depth=2
	v_ashrrev_i32_e32 v19, 31, v18
	v_lshlrev_b64 v[22:23], 2, v[18:19]
	v_mov_b32_e32 v17, s31
	v_add_co_u32_e32 v22, vcc, s30, v22
	v_addc_co_u32_e32 v23, vcc, v17, v23, vcc
	v_mov_b32_e32 v17, 0
	v_mov_b32_e32 v24, v10
	s_mov_b32 s13, s23
.LBB14_22:                              ;   Parent Loop BB14_15 Depth=1
                                        ;     Parent Loop BB14_18 Depth=2
                                        ; =>    This Inner Loop Header: Depth=3
	v_ashrrev_i32_e32 v25, 31, v24
	v_lshlrev_b64 v[32:33], 2, v[24:25]
	v_mov_b32_e32 v19, s15
	v_add_co_u32_e32 v32, vcc, s14, v32
	v_addc_co_u32_e32 v33, vcc, v19, v33, vcc
	global_load_dword v21, v[22:23], off
	global_load_dword v19, v[32:33], off
	s_add_i32 s13, s13, -1
	v_add_co_u32_e32 v22, vcc, 4, v22
	v_addc_co_u32_e32 v23, vcc, 0, v23, vcc
	v_add_u32_e32 v24, s23, v24
	s_cmp_lg_u32 s13, 0
	s_waitcnt vmcnt(0)
	v_fmac_f32_e32 v17, v19, v21
	s_cbranch_scc1 .LBB14_22
; %bb.23:                               ;   in Loop: Header=BB14_18 Depth=2
	s_cbranch_execz .LBB14_26
	s_branch .LBB14_29
.LBB14_24:                              ;   in Loop: Header=BB14_18 Depth=2
                                        ; implicit-def: $vgpr17
	s_branch .LBB14_26
.LBB14_25:                              ;   in Loop: Header=BB14_18 Depth=2
	v_mov_b32_e32 v17, 0
	s_cbranch_execnz .LBB14_29
.LBB14_26:                              ;   in Loop: Header=BB14_18 Depth=2
	v_mov_b32_e32 v17, 0
	s_and_b64 vcc, exec, s[8:9]
	s_cbranch_vccnz .LBB14_29
; %bb.27:                               ;   in Loop: Header=BB14_18 Depth=2
	v_pk_mov_b32 v[22:23], v[14:15], v[14:15] op_sel:[0,1]
	v_mov_b32_e32 v24, v20
	s_mov_b32 s13, s23
.LBB14_28:                              ;   Parent Loop BB14_15 Depth=1
                                        ;     Parent Loop BB14_18 Depth=2
                                        ; =>    This Inner Loop Header: Depth=3
	v_ashrrev_i32_e32 v25, 31, v24
	v_lshlrev_b64 v[32:33], 2, v[24:25]
	v_mov_b32_e32 v21, s31
	v_add_co_u32_e32 v32, vcc, s30, v32
	v_addc_co_u32_e32 v33, vcc, v21, v33, vcc
	global_load_dword v19, v[22:23], off
	global_load_dword v21, v[32:33], off
	s_add_i32 s13, s13, -1
	v_add_co_u32_e32 v22, vcc, 4, v22
	v_addc_co_u32_e32 v23, vcc, 0, v23, vcc
	v_add_u32_e32 v24, s23, v24
	s_cmp_eq_u32 s13, 0
	s_waitcnt vmcnt(0)
	v_fmac_f32_e32 v17, v19, v21
	s_cbranch_scc0 .LBB14_28
.LBB14_29:                              ;   in Loop: Header=BB14_18 Depth=2
	s_waitcnt vmcnt(0)
	v_subrev_u32_e32 v13, s25, v13
	v_lshl_add_u32 v19, v13, 3, v13
	v_mul_f32_e32 v17, v28, v17
	v_and_b32_e32 v19, 15, v19
	s_mov_b64 s[42:43], 0
	s_branch .LBB14_31
.LBB14_30:                              ;   in Loop: Header=BB14_31 Depth=3
	s_or_b64 exec, exec, s[44:45]
	s_xor_b64 s[44:45], s[46:47], -1
	s_and_b64 s[44:45], exec, s[44:45]
	s_or_b64 s[42:43], s[44:45], s[42:43]
	s_andn2_b64 exec, exec, s[42:43]
	s_cbranch_execz .LBB14_17
.LBB14_31:                              ;   Parent Loop BB14_15 Depth=1
                                        ;     Parent Loop BB14_18 Depth=2
                                        ; =>    This Inner Loop Header: Depth=3
	v_lshl_add_u32 v21, v19, 2, v3
	ds_read_b32 v22, v21
                                        ; implicit-def: $sgpr46_sgpr47
	s_waitcnt lgkmcnt(0)
	v_cmp_ne_u32_e32 vcc, v22, v13
	s_and_saveexec_b64 s[44:45], vcc
	s_xor_b64 s[44:45], exec, s[44:45]
	s_cbranch_execz .LBB14_39
; %bb.32:                               ;   in Loop: Header=BB14_31 Depth=3
	v_cmp_ne_u32_e32 vcc, s22, v22
                                        ; implicit-def: $sgpr46_sgpr47
	s_and_saveexec_b64 s[48:49], vcc
	s_xor_b64 s[48:49], exec, s[48:49]
; %bb.33:                               ;   in Loop: Header=BB14_31 Depth=3
	v_add_u32_e32 v19, 1, v19
	v_and_b32_e32 v19, 15, v19
	s_mov_b64 s[46:47], -1
                                        ; implicit-def: $vgpr21
; %bb.34:                               ;   in Loop: Header=BB14_31 Depth=3
	s_andn2_saveexec_b64 s[48:49], s[48:49]
	s_cbranch_execz .LBB14_38
; %bb.35:                               ;   in Loop: Header=BB14_31 Depth=3
	v_mov_b32_e32 v22, s22
	ds_cmpst_rtn_b32 v21, v21, v22, v13
	s_mov_b64 s[52:53], -1
	s_waitcnt lgkmcnt(0)
	v_cmp_eq_u32_e32 vcc, s22, v21
	s_and_saveexec_b64 s[50:51], vcc
	s_cbranch_execz .LBB14_37
; %bb.36:                               ;   in Loop: Header=BB14_31 Depth=3
	v_lshlrev_b32_e32 v21, 2, v30
	v_lshl_or_b32 v21, v19, 6, v21
	v_add_u32_e32 v21, v26, v21
	ds_add_f32 v21, v17
	s_xor_b64 s[52:53], exec, -1
.LBB14_37:                              ;   in Loop: Header=BB14_31 Depth=3
	s_or_b64 exec, exec, s[50:51]
	s_andn2_b64 s[46:47], s[46:47], exec
	s_and_b64 s[50:51], s[52:53], exec
	s_or_b64 s[46:47], s[46:47], s[50:51]
.LBB14_38:                              ;   in Loop: Header=BB14_31 Depth=3
	s_or_b64 exec, exec, s[48:49]
	s_and_b64 s[46:47], s[46:47], exec
.LBB14_39:                              ;   in Loop: Header=BB14_31 Depth=3
	s_andn2_saveexec_b64 s[44:45], s[44:45]
	s_cbranch_execz .LBB14_30
; %bb.40:                               ;   in Loop: Header=BB14_31 Depth=3
	v_lshlrev_b32_e32 v21, 2, v30
	v_lshl_or_b32 v21, v19, 6, v21
	v_add_u32_e32 v21, v26, v21
	ds_add_f32 v21, v17
	s_andn2_b64 s[46:47], s[46:47], exec
	s_branch .LBB14_30
.LBB14_41:
	s_or_b64 exec, exec, s[10:11]
.LBB14_42:
	s_load_dwordx4 s[8:11], s[4:5], 0x80
	s_andn2_b64 vcc, exec, s[0:1]
	s_waitcnt lgkmcnt(0)
	s_barrier
	s_cbranch_vccnz .LBB14_60
; %bb.43:
	s_load_dwordx2 s[0:1], s[4:5], 0x60
	v_subrev_u32_e32 v10, s27, v27
	s_waitcnt lgkmcnt(0)
	v_mov_b32_e32 v9, s1
	v_add_co_u32_e32 v8, vcc, s0, v6
	v_addc_co_u32_e32 v9, vcc, v9, v7, vcc
	global_load_dwordx2 v[8:9], v[8:9], off
	s_waitcnt vmcnt(0)
	v_subrev_u32_e32 v11, s27, v9
	v_add_u32_e32 v8, v8, v10
	v_cmp_lt_i32_e32 vcc, v8, v11
	s_and_saveexec_b64 s[2:3], vcc
	s_cbranch_execz .LBB14_59
; %bb.44:
	s_load_dwordx4 s[4:7], s[4:5], 0x68
	v_max_i32_e32 v9, v2, v4
	s_cmp_eq_u32 s20, 0
	v_cmp_gt_i32_e32 vcc, s23, v9
	v_and_b32_e32 v9, 15, v0
	s_cselect_b64 s[0:1], -1, 0
	v_cndmask_b32_e64 v0, v2, v4, s[0:1]
	v_cndmask_b32_e64 v10, v4, v2, s[0:1]
	s_mov_b64 s[12:13], 0
	v_lshlrev_b32_e32 v12, 2, v9
	s_branch .LBB14_46
.LBB14_45:                              ;   in Loop: Header=BB14_46 Depth=1
	s_or_b64 exec, exec, s[14:15]
	v_add_u32_e32 v8, 4, v8
	v_cmp_ge_i32_e64 s[0:1], v8, v11
	s_or_b64 s[12:13], s[0:1], s[12:13]
	s_andn2_b64 exec, exec, s[12:13]
	s_cbranch_execz .LBB14_59
.LBB14_46:                              ; =>This Loop Header: Depth=1
                                        ;     Child Loop BB14_49 Depth 2
	s_and_saveexec_b64 s[14:15], vcc
	s_cbranch_execz .LBB14_45
; %bb.47:                               ;   in Loop: Header=BB14_46 Depth=1
	v_ashrrev_i32_e32 v9, 31, v8
	v_lshlrev_b64 v[14:15], 2, v[8:9]
	s_waitcnt lgkmcnt(0)
	v_mov_b32_e32 v9, s5
	v_add_co_u32_e64 v14, s[0:1], s4, v14
	v_addc_co_u32_e64 v15, s[0:1], v9, v15, s[0:1]
	global_load_dword v9, v[14:15], off
	v_mad_u64_u32 v[14:15], s[0:1], v8, s23, v[0:1]
	v_mad_u64_u32 v[14:15], s[0:1], v14, s23, v[10:11]
	v_ashrrev_i32_e32 v15, 31, v14
	v_lshlrev_b64 v[14:15], 2, v[14:15]
	v_mov_b32_e32 v13, s7
	v_add_co_u32_e64 v14, s[0:1], s6, v14
	v_addc_co_u32_e64 v15, s[0:1], v13, v15, s[0:1]
	global_load_dword v13, v[14:15], off
	s_mov_b64 s[16:17], 0
	s_waitcnt vmcnt(1)
	v_subrev_u32_e32 v9, s27, v9
	v_lshl_add_u32 v14, v9, 3, v9
	v_and_b32_e32 v14, 15, v14
	s_waitcnt vmcnt(0)
	v_mul_f32_e32 v13, v5, v13
	s_branch .LBB14_49
.LBB14_48:                              ;   in Loop: Header=BB14_49 Depth=2
	s_or_b64 exec, exec, s[0:1]
	s_xor_b64 s[0:1], s[24:25], -1
	s_and_b64 s[0:1], exec, s[0:1]
	s_or_b64 s[16:17], s[0:1], s[16:17]
	s_andn2_b64 exec, exec, s[16:17]
	s_cbranch_execz .LBB14_45
.LBB14_49:                              ;   Parent Loop BB14_46 Depth=1
                                        ; =>  This Inner Loop Header: Depth=2
	v_lshl_add_u32 v15, v14, 2, v3
	ds_read_b32 v16, v15
                                        ; implicit-def: $sgpr24_sgpr25
	s_waitcnt lgkmcnt(0)
	v_cmp_ne_u32_e64 s[0:1], v16, v9
	s_and_saveexec_b64 s[18:19], s[0:1]
	s_xor_b64 s[18:19], exec, s[18:19]
	s_cbranch_execz .LBB14_57
; %bb.50:                               ;   in Loop: Header=BB14_49 Depth=2
	v_cmp_ne_u32_e64 s[0:1], s22, v16
                                        ; implicit-def: $sgpr24_sgpr25
	s_and_saveexec_b64 s[30:31], s[0:1]
	s_xor_b64 s[0:1], exec, s[30:31]
; %bb.51:                               ;   in Loop: Header=BB14_49 Depth=2
	v_add_u32_e32 v14, 1, v14
	v_and_b32_e32 v14, 15, v14
	s_mov_b64 s[24:25], -1
                                        ; implicit-def: $vgpr15
; %bb.52:                               ;   in Loop: Header=BB14_49 Depth=2
	s_andn2_saveexec_b64 s[30:31], s[0:1]
	s_cbranch_execz .LBB14_56
; %bb.53:                               ;   in Loop: Header=BB14_49 Depth=2
	v_mov_b32_e32 v16, s22
	ds_cmpst_rtn_b32 v15, v15, v16, v9
	s_mov_b64 s[34:35], -1
	s_waitcnt lgkmcnt(0)
	v_cmp_eq_u32_e64 s[0:1], s22, v15
	s_and_saveexec_b64 s[36:37], s[0:1]
	s_cbranch_execz .LBB14_55
; %bb.54:                               ;   in Loop: Header=BB14_49 Depth=2
	v_lshl_or_b32 v15, v14, 6, v12
	v_add_u32_e32 v15, v26, v15
	ds_add_f32 v15, v13
	s_xor_b64 s[34:35], exec, -1
.LBB14_55:                              ;   in Loop: Header=BB14_49 Depth=2
	s_or_b64 exec, exec, s[36:37]
	s_andn2_b64 s[0:1], s[24:25], exec
	s_and_b64 s[24:25], s[34:35], exec
	s_or_b64 s[24:25], s[0:1], s[24:25]
.LBB14_56:                              ;   in Loop: Header=BB14_49 Depth=2
	s_or_b64 exec, exec, s[30:31]
	s_and_b64 s[24:25], s[24:25], exec
.LBB14_57:                              ;   in Loop: Header=BB14_49 Depth=2
	s_andn2_saveexec_b64 s[0:1], s[18:19]
	s_cbranch_execz .LBB14_48
; %bb.58:                               ;   in Loop: Header=BB14_49 Depth=2
	v_lshl_or_b32 v15, v14, 6, v12
	v_add_u32_e32 v15, v26, v15
	ds_add_f32 v15, v13
	s_andn2_b64 s[24:25], s[24:25], exec
	s_branch .LBB14_48
.LBB14_59:
	s_or_b64 exec, exec, s[2:3]
.LBB14_60:
	v_mov_b32_e32 v0, s29
	v_add_co_u32_e32 v6, vcc, s28, v6
	v_addc_co_u32_e32 v7, vcc, v0, v7, vcc
	s_waitcnt lgkmcnt(0)
	s_barrier
	global_load_dword v0, v[6:7], off
	s_cmp_eq_u32 s20, 0
	v_max_i32_e32 v6, v2, v4
	v_lshlrev_b32_e32 v7, 6, v1
	v_lshlrev_b32_e32 v8, 2, v27
	s_movk_i32 s2, 0x1000
	s_cselect_b64 s[0:1], -1, 0
	v_cmp_gt_i32_e32 vcc, s23, v6
	v_or3_b32 v6, v7, v8, s2
	v_cndmask_b32_e64 v7, v4, v2, s[0:1]
	v_lshlrev_b32_e32 v7, 2, v7
	v_cndmask_b32_e64 v9, v2, v4, s[0:1]
	v_lshl_or_b32 v7, v27, 6, v7
	v_lshl_or_b32 v7, v9, 4, v7
	v_or_b32_e32 v5, -4, v27
	v_lshl_or_b32 v7, v1, 10, v7
	s_mov_b64 s[2:3], 0
	s_waitcnt vmcnt(0)
	v_subrev_u32_e32 v8, s26, v0
	s_branch .LBB14_62
.LBB14_61:                              ;   in Loop: Header=BB14_62 Depth=1
	s_or_b64 exec, exec, s[4:5]
	v_add_u32_e32 v5, 4, v5
	v_cmp_lt_u32_e64 s[0:1], 11, v5
	v_add_u32_e32 v7, 0x100, v7
	s_or_b64 s[2:3], s[0:1], s[2:3]
	v_add_u32_e32 v6, 16, v6
	s_andn2_b64 exec, exec, s[2:3]
	s_cbranch_execz .LBB14_65
.LBB14_62:                              ; =>This Inner Loop Header: Depth=1
	ds_read_b32 v1, v6
	s_waitcnt lgkmcnt(0)
	v_cmp_gt_i32_e64 s[0:1], s22, v1
	s_and_saveexec_b64 s[4:5], s[0:1]
	s_cbranch_execz .LBB14_61
; %bb.63:                               ;   in Loop: Header=BB14_62 Depth=1
	ds_read_b128 v[10:13], v3
	ds_read_b128 v[14:17], v3 offset:16
	ds_read_b128 v[18:21], v3 offset:32
	;; [unrolled: 1-line block ×3, first 2 shown]
	s_waitcnt lgkmcnt(3)
	v_cmp_gt_i32_e64 s[0:1], v1, v10
	v_cndmask_b32_e64 v0, 0, 1, s[0:1]
	v_cmp_gt_i32_e64 s[0:1], v1, v11
	v_addc_co_u32_e64 v0, s[0:1], v8, v0, s[0:1]
	v_cmp_gt_i32_e64 s[0:1], v1, v12
	v_cndmask_b32_e64 v9, 0, 1, s[0:1]
	v_cmp_gt_i32_e64 s[0:1], v1, v13
	v_addc_co_u32_e64 v0, s[0:1], v0, v9, s[0:1]
	s_waitcnt lgkmcnt(2)
	v_cmp_gt_i32_e64 s[0:1], v1, v14
	v_cndmask_b32_e64 v9, 0, 1, s[0:1]
	v_cmp_gt_i32_e64 s[0:1], v1, v15
	v_addc_co_u32_e64 v0, s[0:1], v0, v9, s[0:1]
	v_cmp_gt_i32_e64 s[0:1], v1, v16
	v_cndmask_b32_e64 v9, 0, 1, s[0:1]
	v_cmp_gt_i32_e64 s[0:1], v1, v17
	v_addc_co_u32_e64 v0, s[0:1], v0, v9, s[0:1]
	s_waitcnt lgkmcnt(1)
	v_cmp_gt_i32_e64 s[0:1], v1, v18
	v_cndmask_b32_e64 v9, 0, 1, s[0:1]
	v_cmp_gt_i32_e64 s[0:1], v1, v19
	v_addc_co_u32_e64 v0, s[0:1], v0, v9, s[0:1]
	v_cmp_gt_i32_e64 s[0:1], v1, v20
	v_cndmask_b32_e64 v9, 0, 1, s[0:1]
	v_cmp_gt_i32_e64 s[0:1], v1, v21
	v_addc_co_u32_e64 v0, s[0:1], v0, v9, s[0:1]
	s_waitcnt lgkmcnt(0)
	v_cmp_gt_i32_e64 s[0:1], v1, v22
	v_cndmask_b32_e64 v9, 0, 1, s[0:1]
	v_cmp_gt_i32_e64 s[0:1], v1, v23
	v_addc_co_u32_e64 v0, s[0:1], v0, v9, s[0:1]
	v_cmp_gt_i32_e64 s[0:1], v1, v24
	v_cndmask_b32_e64 v9, 0, 1, s[0:1]
	v_cmp_gt_i32_e64 s[0:1], v1, v25
	v_addc_co_u32_e64 v0, s[0:1], v0, v9, s[0:1]
	v_add_u32_e32 v9, s26, v1
	v_ashrrev_i32_e32 v1, 31, v0
	v_lshlrev_b64 v[10:11], 2, v[0:1]
	v_mov_b32_e32 v1, s9
	v_add_co_u32_e64 v10, s[0:1], s8, v10
	v_addc_co_u32_e64 v11, s[0:1], v1, v11, s[0:1]
	global_store_dword v[10:11], v9, off
	s_and_b64 exec, exec, vcc
	s_cbranch_execz .LBB14_61
; %bb.64:                               ;   in Loop: Header=BB14_62 Depth=1
	v_mad_u64_u32 v[0:1], s[0:1], v0, s23, v[4:5]
	v_mad_u64_u32 v[0:1], s[0:1], v0, s23, v[2:3]
	ds_read_b32 v10, v7
	v_ashrrev_i32_e32 v1, 31, v0
	v_lshlrev_b64 v[0:1], 2, v[0:1]
	v_mov_b32_e32 v9, s11
	v_add_co_u32_e64 v0, s[0:1], s10, v0
	v_addc_co_u32_e64 v1, s[0:1], v9, v1, s[0:1]
	s_waitcnt lgkmcnt(0)
	global_store_dword v[0:1], v10, off
	s_branch .LBB14_61
.LBB14_65:
	s_endpgm
	.section	.rodata,"a",@progbits
	.p2align	6, 0x0
	.amdhsa_kernel _ZN9rocsparseL23bsrgemm_fill_wf_per_rowILj256ELj64ELj16ELj137ELj4EiifEEv20rocsparse_direction_T5_S2_S2_PKS2_S4_NS_24const_host_device_scalarIT6_EEPKT4_S4_PKS6_SA_S4_SC_S7_SA_S4_SC_SA_PS2_PS6_21rocsparse_index_base_SF_SF_SF_bbb
		.amdhsa_group_segment_fixed_size 4352
		.amdhsa_private_segment_fixed_size 0
		.amdhsa_kernarg_size 164
		.amdhsa_user_sgpr_count 6
		.amdhsa_user_sgpr_private_segment_buffer 1
		.amdhsa_user_sgpr_dispatch_ptr 0
		.amdhsa_user_sgpr_queue_ptr 0
		.amdhsa_user_sgpr_kernarg_segment_ptr 1
		.amdhsa_user_sgpr_dispatch_id 0
		.amdhsa_user_sgpr_flat_scratch_init 0
		.amdhsa_user_sgpr_kernarg_preload_length 0
		.amdhsa_user_sgpr_kernarg_preload_offset 0
		.amdhsa_user_sgpr_private_segment_size 0
		.amdhsa_uses_dynamic_stack 0
		.amdhsa_system_sgpr_private_segment_wavefront_offset 0
		.amdhsa_system_sgpr_workgroup_id_x 1
		.amdhsa_system_sgpr_workgroup_id_y 0
		.amdhsa_system_sgpr_workgroup_id_z 0
		.amdhsa_system_sgpr_workgroup_info 0
		.amdhsa_system_vgpr_workitem_id 0
		.amdhsa_next_free_vgpr 34
		.amdhsa_next_free_sgpr 54
		.amdhsa_accum_offset 36
		.amdhsa_reserve_vcc 1
		.amdhsa_reserve_flat_scratch 0
		.amdhsa_float_round_mode_32 0
		.amdhsa_float_round_mode_16_64 0
		.amdhsa_float_denorm_mode_32 3
		.amdhsa_float_denorm_mode_16_64 3
		.amdhsa_dx10_clamp 1
		.amdhsa_ieee_mode 1
		.amdhsa_fp16_overflow 0
		.amdhsa_tg_split 0
		.amdhsa_exception_fp_ieee_invalid_op 0
		.amdhsa_exception_fp_denorm_src 0
		.amdhsa_exception_fp_ieee_div_zero 0
		.amdhsa_exception_fp_ieee_overflow 0
		.amdhsa_exception_fp_ieee_underflow 0
		.amdhsa_exception_fp_ieee_inexact 0
		.amdhsa_exception_int_div_zero 0
	.end_amdhsa_kernel
	.section	.text._ZN9rocsparseL23bsrgemm_fill_wf_per_rowILj256ELj64ELj16ELj137ELj4EiifEEv20rocsparse_direction_T5_S2_S2_PKS2_S4_NS_24const_host_device_scalarIT6_EEPKT4_S4_PKS6_SA_S4_SC_S7_SA_S4_SC_SA_PS2_PS6_21rocsparse_index_base_SF_SF_SF_bbb,"axG",@progbits,_ZN9rocsparseL23bsrgemm_fill_wf_per_rowILj256ELj64ELj16ELj137ELj4EiifEEv20rocsparse_direction_T5_S2_S2_PKS2_S4_NS_24const_host_device_scalarIT6_EEPKT4_S4_PKS6_SA_S4_SC_S7_SA_S4_SC_SA_PS2_PS6_21rocsparse_index_base_SF_SF_SF_bbb,comdat
.Lfunc_end14:
	.size	_ZN9rocsparseL23bsrgemm_fill_wf_per_rowILj256ELj64ELj16ELj137ELj4EiifEEv20rocsparse_direction_T5_S2_S2_PKS2_S4_NS_24const_host_device_scalarIT6_EEPKT4_S4_PKS6_SA_S4_SC_S7_SA_S4_SC_SA_PS2_PS6_21rocsparse_index_base_SF_SF_SF_bbb, .Lfunc_end14-_ZN9rocsparseL23bsrgemm_fill_wf_per_rowILj256ELj64ELj16ELj137ELj4EiifEEv20rocsparse_direction_T5_S2_S2_PKS2_S4_NS_24const_host_device_scalarIT6_EEPKT4_S4_PKS6_SA_S4_SC_S7_SA_S4_SC_SA_PS2_PS6_21rocsparse_index_base_SF_SF_SF_bbb
                                        ; -- End function
	.section	.AMDGPU.csdata,"",@progbits
; Kernel info:
; codeLenInByte = 2520
; NumSgprs: 58
; NumVgprs: 34
; NumAgprs: 0
; TotalNumVgprs: 34
; ScratchSize: 0
; MemoryBound: 0
; FloatMode: 240
; IeeeMode: 1
; LDSByteSize: 4352 bytes/workgroup (compile time only)
; SGPRBlocks: 7
; VGPRBlocks: 4
; NumSGPRsForWavesPerEU: 58
; NumVGPRsForWavesPerEU: 34
; AccumOffset: 36
; Occupancy: 8
; WaveLimiterHint : 1
; COMPUTE_PGM_RSRC2:SCRATCH_EN: 0
; COMPUTE_PGM_RSRC2:USER_SGPR: 6
; COMPUTE_PGM_RSRC2:TRAP_HANDLER: 0
; COMPUTE_PGM_RSRC2:TGID_X_EN: 1
; COMPUTE_PGM_RSRC2:TGID_Y_EN: 0
; COMPUTE_PGM_RSRC2:TGID_Z_EN: 0
; COMPUTE_PGM_RSRC2:TIDIG_COMP_CNT: 0
; COMPUTE_PGM_RSRC3_GFX90A:ACCUM_OFFSET: 8
; COMPUTE_PGM_RSRC3_GFX90A:TG_SPLIT: 0
	.section	.text._ZN9rocsparseL38bsrgemm_block_per_row_atomic_multipassILj256ELj32ELj4EiifEEv20rocsparse_direction_T3_S2_PKS2_S4_NS_24const_host_device_scalarIT4_EEPKT2_S4_PKS6_SA_S4_SC_S7_SA_S4_SC_SA_PS2_PS6_PS8_21rocsparse_index_base_SG_SG_SG_bbb,"axG",@progbits,_ZN9rocsparseL38bsrgemm_block_per_row_atomic_multipassILj256ELj32ELj4EiifEEv20rocsparse_direction_T3_S2_PKS2_S4_NS_24const_host_device_scalarIT4_EEPKT2_S4_PKS6_SA_S4_SC_S7_SA_S4_SC_SA_PS2_PS6_PS8_21rocsparse_index_base_SG_SG_SG_bbb,comdat
	.globl	_ZN9rocsparseL38bsrgemm_block_per_row_atomic_multipassILj256ELj32ELj4EiifEEv20rocsparse_direction_T3_S2_PKS2_S4_NS_24const_host_device_scalarIT4_EEPKT2_S4_PKS6_SA_S4_SC_S7_SA_S4_SC_SA_PS2_PS6_PS8_21rocsparse_index_base_SG_SG_SG_bbb ; -- Begin function _ZN9rocsparseL38bsrgemm_block_per_row_atomic_multipassILj256ELj32ELj4EiifEEv20rocsparse_direction_T3_S2_PKS2_S4_NS_24const_host_device_scalarIT4_EEPKT2_S4_PKS6_SA_S4_SC_S7_SA_S4_SC_SA_PS2_PS6_PS8_21rocsparse_index_base_SG_SG_SG_bbb
	.p2align	8
	.type	_ZN9rocsparseL38bsrgemm_block_per_row_atomic_multipassILj256ELj32ELj4EiifEEv20rocsparse_direction_T3_S2_PKS2_S4_NS_24const_host_device_scalarIT4_EEPKT2_S4_PKS6_SA_S4_SC_S7_SA_S4_SC_SA_PS2_PS6_PS8_21rocsparse_index_base_SG_SG_SG_bbb,@function
_ZN9rocsparseL38bsrgemm_block_per_row_atomic_multipassILj256ELj32ELj4EiifEEv20rocsparse_direction_T3_S2_PKS2_S4_NS_24const_host_device_scalarIT4_EEPKT2_S4_PKS6_SA_S4_SC_S7_SA_S4_SC_SA_PS2_PS6_PS8_21rocsparse_index_base_SG_SG_SG_bbb: ; @_ZN9rocsparseL38bsrgemm_block_per_row_atomic_multipassILj256ELj32ELj4EiifEEv20rocsparse_direction_T3_S2_PKS2_S4_NS_24const_host_device_scalarIT4_EEPKT2_S4_PKS6_SA_S4_SC_S7_SA_S4_SC_SA_PS2_PS6_PS8_21rocsparse_index_base_SG_SG_SG_bbb
; %bb.0:
	s_load_dword s7, s[4:5], 0xa8
	s_load_dwordx4 s[28:31], s[4:5], 0x98
	s_load_dwordx2 s[0:1], s[4:5], 0x20
	s_load_dwordx2 s[8:9], s[4:5], 0x58
	s_waitcnt lgkmcnt(0)
	s_bitcmp1_b32 s7, 0
	s_cselect_b64 s[24:25], -1, 0
	s_bitcmp1_b32 s7, 16
	s_cselect_b64 s[10:11], -1, 0
	s_xor_b64 s[2:3], s[24:25], -1
	s_or_b64 s[2:3], s[2:3], s[10:11]
	s_and_b64 vcc, exec, s[2:3]
	s_cbranch_vccnz .LBB15_2
; %bb.1:
	s_load_dword s0, s[0:1], 0x0
	s_waitcnt lgkmcnt(0)
	v_mov_b32_e32 v1, s0
	s_branch .LBB15_3
.LBB15_2:
	v_mov_b32_e32 v1, s0
	v_cndmask_b32_e64 v1, 0, v1, s[24:25]
.LBB15_3:
	s_load_dwordx2 s[2:3], s[4:5], 0x18
	s_bitcmp1_b32 s7, 8
	s_cselect_b64 s[0:1], -1, 0
	s_xor_b64 s[12:13], s[0:1], -1
	s_or_b64 s[10:11], s[12:13], s[10:11]
	s_and_b64 vcc, exec, s[10:11]
	s_cbranch_vccnz .LBB15_5
; %bb.4:
	s_load_dword s7, s[8:9], 0x0
	s_waitcnt lgkmcnt(0)
	v_mov_b32_e32 v3, s7
	s_load_dwordx2 s[8:9], s[4:5], 0x28
	s_cmp_eq_u64 s[2:3], 0
	s_cbranch_scc0 .LBB15_6
	s_branch .LBB15_7
.LBB15_5:
	v_mov_b32_e32 v2, s8
	v_cndmask_b32_e64 v3, 0, v2, s[0:1]
	s_load_dwordx2 s[8:9], s[4:5], 0x28
	s_waitcnt lgkmcnt(0)
	s_cmp_eq_u64 s[2:3], 0
	s_cbranch_scc1 .LBB15_7
.LBB15_6:
	s_load_dwordx2 s[10:11], s[4:5], 0x10
	s_waitcnt lgkmcnt(0)
	s_load_dword s7, s[10:11], 0x0
	s_waitcnt lgkmcnt(0)
	s_add_i32 s6, s7, s6
	s_mov_b32 s7, 0
	s_lshl_b64 s[6:7], s[6:7], 2
	s_add_u32 s2, s2, s6
	s_addc_u32 s3, s3, s7
	s_load_dword s6, s[2:3], 0x0
.LBB15_7:
	v_cndmask_b32_e64 v2, 0, 1, s[24:25]
	s_mov_b32 s33, 0
	v_cmp_ne_u32_e64 s[2:3], 1, v2
	s_andn2_b64 vcc, exec, s[24:25]
	s_mov_b32 s82, 0
	s_cbranch_vccz .LBB15_10
; %bb.8:
	s_and_b64 vcc, exec, s[2:3]
	s_cbranch_vccz .LBB15_11
.LBB15_9:
	s_load_dwordx4 s[52:55], s[4:5], 0x0
	s_waitcnt lgkmcnt(0)
	s_cmp_lt_i32 s53, 1
	s_cbranch_scc0 .LBB15_12
	s_branch .LBB15_98
.LBB15_10:
	s_waitcnt lgkmcnt(0)
	s_ashr_i32 s7, s6, 31
	s_lshl_b64 s[10:11], s[6:7], 2
	s_add_u32 s10, s8, s10
	s_addc_u32 s11, s9, s11
	s_load_dword s7, s[10:11], 0x0
	s_waitcnt lgkmcnt(0)
	s_sub_i32 s82, s7, s28
	s_and_b64 vcc, exec, s[2:3]
	s_cbranch_vccnz .LBB15_9
.LBB15_11:
	s_waitcnt lgkmcnt(0)
	s_ashr_i32 s7, s6, 31
	s_lshl_b64 s[2:3], s[6:7], 2
	s_add_u32 s2, s8, s2
	s_addc_u32 s3, s9, s3
	s_load_dword s2, s[2:3], 0x4
	s_waitcnt lgkmcnt(0)
	s_sub_i32 s33, s2, s28
	s_load_dwordx4 s[52:55], s[4:5], 0x0
	s_waitcnt lgkmcnt(0)
	s_cmp_lt_i32 s53, 1
	s_cbranch_scc1 .LBB15_98
.LBB15_12:
	s_load_dwordx2 s[34:35], s[4:5], 0x90
	s_load_dwordx4 s[56:59], s[4:5], 0x80
	s_load_dwordx8 s[36:43], s[4:5], 0x60
	s_load_dwordx2 s[60:61], s[4:5], 0x50
	s_load_dwordx8 s[44:51], s[4:5], 0x30
	s_ashr_i32 s7, s6, 31
	s_lshl_b64 s[10:11], s[6:7], 2
	s_waitcnt lgkmcnt(0)
	s_add_u32 s2, s42, s10
	s_addc_u32 s3, s43, s11
	s_load_dword s2, s[2:3], 0x0
	v_and_b32_e32 v2, 3, v0
	v_bfe_u32 v4, v0, 2, 2
	s_movk_i32 s4, 0x200
	v_max_i32_e32 v7, v2, v4
	s_waitcnt lgkmcnt(0)
	s_sub_i32 s66, s2, s30
	s_cmp_lt_i32 s82, s33
	s_cselect_b64 s[26:27], -1, 0
	s_cmp_eq_u32 s52, 0
	s_cselect_b64 vcc, -1, 0
	s_cmp_lg_u32 s52, 0
	v_and_b32_e32 v6, 15, v0
	v_lshrrev_b32_e32 v5, 4, v0
	v_cmp_gt_u32_e64 s[2:3], 32, v0
	v_cmp_gt_u32_e64 s[4:5], s4, v0
	v_cmp_eq_u32_e64 s[6:7], 0, v0
	v_cmp_gt_i32_e64 s[8:9], s54, v7
	v_lshlrev_b32_e32 v7, 2, v0
	s_cselect_b64 s[42:43], -1, 0
	s_cmp_gt_i32 s54, 0
	v_and_b32_e32 v17, 12, v0
	v_and_b32_e32 v0, 31, v0
	s_cselect_b64 s[62:63], -1, 0
	s_add_u32 s36, s36, s10
	v_add_co_u32_e64 v8, s[12:13], -1, v0
	v_mov_b32_e32 v9, 0xc00
	s_movk_i32 s67, 0x800
	s_addc_u32 s37, s37, s11
	v_lshl_add_u32 v20, v8, 2, v9
	s_and_b64 s[64:65], s[24:25], s[26:27]
	v_lshlrev_b32_e32 v8, 6, v5
	v_cmp_eq_u32_e64 s[10:11], 15, v6
	v_lshlrev_b32_e32 v6, 2, v0
	s_add_u32 s52, s48, 4
	v_or3_b32 v26, v8, v17, s67
	s_mul_i32 s83, s54, s54
	v_and_b32_e32 v8, 0x3f0, v7
	s_mov_b32 s85, 0
	v_or_b32_e32 v16, 0x800, v7
	v_subrev_u32_e32 v18, s31, v5
	v_or_b32_e32 v19, 0xc00, v6
	v_or_b32_e32 v21, 0xc00, v7
	v_cmp_ne_u32_e64 s[14:15], 0, v0
	v_cmp_lt_u32_e64 s[16:17], 1, v0
	v_add_u32_e32 v22, 0xbf8, v6
	v_cmp_lt_u32_e64 s[18:19], 3, v0
	v_add_u32_e32 v23, 0xbf0, v6
	;; [unrolled: 2-line block ×4, first 2 shown]
	v_cndmask_b32_e32 v0, v2, v4, vcc
	v_cndmask_b32_e32 v6, v4, v2, vcc
	s_addc_u32 s55, s49, 0
	v_or_b32_e32 v27, 0x800, v8
	s_lshl_b32 s84, s83, 4
	v_lshl_or_b32 v28, v5, 2, v9
	v_mov_b32_e32 v32, 32
	v_mov_b32_e32 v29, s66
	;; [unrolled: 1-line block ×4, first 2 shown]
	s_branch .LBB15_14
.LBB15_13:                              ;   in Loop: Header=BB15_14 Depth=1
	s_or_b64 exec, exec, s[24:25]
	s_barrier
	ds_read_b32 v8, v30 offset:3200
	v_add_u32_e32 v29, v10, v29
	s_waitcnt lgkmcnt(0)
	s_barrier
	v_cmp_le_i32_e32 vcc, s53, v8
	v_readfirstlane_b32 s85, v8
	v_add_u32_e32 v32, 32, v8
	s_cbranch_vccnz .LBB15_98
.LBB15_14:                              ; =>This Loop Header: Depth=1
                                        ;     Child Loop BB15_19 Depth 2
                                        ;     Child Loop BB15_28 Depth 2
                                        ;       Child Loop BB15_41 Depth 3
                                        ;         Child Loop BB15_50 Depth 4
                                        ;         Child Loop BB15_55 Depth 4
                                        ;     Child Loop BB15_66 Depth 2
                                        ;     Child Loop BB15_75 Depth 2
	;; [unrolled: 1-line block ×3, first 2 shown]
	s_and_saveexec_b64 s[24:25], s[2:3]
	s_cbranch_execz .LBB15_16
; %bb.15:                               ;   in Loop: Header=BB15_14 Depth=1
	ds_write_b32 v21, v30
.LBB15_16:                              ;   in Loop: Header=BB15_14 Depth=1
	s_or_b64 exec, exec, s[24:25]
	s_and_saveexec_b64 s[24:25], s[4:5]
	s_cbranch_execz .LBB15_23
; %bb.17:                               ;   in Loop: Header=BB15_14 Depth=1
	s_mov_b32 s70, 0
	s_mov_b64 s[26:27], 0
	v_mov_b32_e32 v8, v7
	s_branch .LBB15_19
.LBB15_18:                              ;   in Loop: Header=BB15_19 Depth=2
	s_or_b64 exec, exec, s[68:69]
	s_add_i32 s70, s70, 2
	v_cmp_eq_u32_e64 s[66:67], 2, s70
	s_or_b64 s[26:27], s[66:67], s[26:27]
	v_add_u32_e32 v8, 0x800, v8
	s_andn2_b64 exec, exec, s[26:27]
	s_cbranch_execz .LBB15_23
.LBB15_19:                              ;   Parent Loop BB15_14 Depth=1
                                        ; =>  This Inner Loop Header: Depth=2
	s_or_b32 s66, s70, 1
	v_cmp_le_u32_e64 s[66:67], s66, 1
	v_cmp_le_u32_e64 s[72:73], s70, 1
	s_and_saveexec_b64 s[68:69], s[72:73]
	s_cbranch_execz .LBB15_21
; %bb.20:                               ;   in Loop: Header=BB15_19 Depth=2
	ds_write_b32 v8, v30
.LBB15_21:                              ;   in Loop: Header=BB15_19 Depth=2
	s_or_b64 exec, exec, s[68:69]
	s_and_saveexec_b64 s[68:69], s[66:67]
	s_cbranch_execz .LBB15_18
; %bb.22:                               ;   in Loop: Header=BB15_19 Depth=2
	ds_write_b32 v8, v30 offset:1024
	s_branch .LBB15_18
.LBB15_23:                              ;   in Loop: Header=BB15_14 Depth=1
	s_or_b64 exec, exec, s[24:25]
	s_and_saveexec_b64 s[24:25], s[6:7]
	s_cbranch_execz .LBB15_25
; %bb.24:                               ;   in Loop: Header=BB15_14 Depth=1
	v_mov_b32_e32 v8, s53
	ds_write_b32 v30, v8 offset:3200
.LBB15_25:                              ;   in Loop: Header=BB15_14 Depth=1
	s_or_b64 exec, exec, s[24:25]
	s_andn2_b64 vcc, exec, s[64:65]
	v_mov_b32_e32 v33, s53
	s_waitcnt lgkmcnt(0)
	s_barrier
	s_cbranch_vccnz .LBB15_61
; %bb.26:                               ;   in Loop: Header=BB15_14 Depth=1
	s_cmp_lg_u32 s85, 0
	s_cselect_b64 s[66:67], -1, 0
	v_mov_b32_e32 v33, s53
	s_mov_b32 s86, s82
	s_branch .LBB15_28
.LBB15_27:                              ;   in Loop: Header=BB15_28 Depth=2
	s_or_b64 exec, exec, s[26:27]
	s_add_i32 s86, s86, 16
	s_cmp_lt_i32 s86, s33
	s_cbranch_scc0 .LBB15_61
.LBB15_28:                              ;   Parent Loop BB15_14 Depth=1
                                        ; =>  This Loop Header: Depth=2
                                        ;       Child Loop BB15_41 Depth 3
                                        ;         Child Loop BB15_50 Depth 4
                                        ;         Child Loop BB15_55 Depth 4
	v_add_u32_e32 v8, s86, v5
	v_cmp_gt_i32_e64 s[24:25], s33, v8
	s_barrier
	s_and_saveexec_b64 s[26:27], s[24:25]
	s_cbranch_execz .LBB15_32
; %bb.29:                               ;   in Loop: Header=BB15_28 Depth=2
	v_mov_b32_e32 v9, 0
	s_and_saveexec_b64 s[68:69], s[8:9]
	s_cbranch_execz .LBB15_31
; %bb.30:                               ;   in Loop: Header=BB15_28 Depth=2
	v_mad_u64_u32 v[10:11], s[70:71], v8, s54, v[4:5]
	v_mad_u64_u32 v[10:11], s[70:71], v10, s54, v[2:3]
	v_ashrrev_i32_e32 v11, 31, v10
	v_lshlrev_b64 v[10:11], 2, v[10:11]
	v_mov_b32_e32 v9, s47
	v_add_co_u32_e32 v10, vcc, s46, v10
	v_addc_co_u32_e32 v11, vcc, v9, v11, vcc
	global_load_dword v9, v[10:11], off
.LBB15_31:                              ;   in Loop: Header=BB15_28 Depth=2
	s_or_b64 exec, exec, s[68:69]
	s_waitcnt vmcnt(0)
	ds_write_b32 v16, v9
.LBB15_32:                              ;   in Loop: Header=BB15_28 Depth=2
	s_or_b64 exec, exec, s[26:27]
	v_mov_b32_e32 v10, 0
	s_waitcnt lgkmcnt(0)
	s_barrier
	s_and_saveexec_b64 s[68:69], s[24:25]
	s_cbranch_execz .LBB15_58
; %bb.33:                               ;   in Loop: Header=BB15_28 Depth=2
	v_ashrrev_i32_e32 v9, 31, v8
	v_lshlrev_b64 v[10:11], 2, v[8:9]
	v_mov_b32_e32 v9, s45
	v_add_co_u32_e32 v12, vcc, s44, v10
	v_addc_co_u32_e32 v13, vcc, v9, v11, vcc
	global_load_dword v9, v[12:13], off
	s_and_b64 vcc, exec, s[66:67]
	s_waitcnt vmcnt(0)
	v_subrev_u32_e32 v12, s28, v9
	v_ashrrev_i32_e32 v13, 31, v12
	s_cbranch_vccz .LBB15_60
; %bb.34:                               ;   in Loop: Header=BB15_28 Depth=2
	v_mov_b32_e32 v9, s35
	v_add_co_u32_e32 v10, vcc, s34, v10
	v_addc_co_u32_e32 v11, vcc, v9, v11, vcc
	global_load_dword v10, v[10:11], off
	s_cbranch_execnz .LBB15_36
.LBB15_35:                              ;   in Loop: Header=BB15_28 Depth=2
	s_waitcnt vmcnt(0)
	v_lshlrev_b64 v[10:11], 2, v[12:13]
	v_mov_b32_e32 v9, s49
	v_add_co_u32_e32 v10, vcc, s48, v10
	v_addc_co_u32_e32 v11, vcc, v9, v11, vcc
	global_load_dword v9, v[10:11], off
	s_waitcnt vmcnt(0)
	v_subrev_u32_e32 v10, s29, v9
.LBB15_36:                              ;   in Loop: Header=BB15_28 Depth=2
	v_lshlrev_b64 v[12:13], 2, v[12:13]
	v_mov_b32_e32 v9, s55
	v_add_co_u32_e32 v12, vcc, s52, v12
	v_addc_co_u32_e32 v13, vcc, v9, v13, vcc
	global_load_dword v9, v[12:13], off
	s_waitcnt vmcnt(0)
	v_subrev_u32_e32 v9, s29, v9
	v_cmp_lt_i32_e32 vcc, v10, v9
	s_and_saveexec_b64 s[70:71], vcc
	s_cbranch_execz .LBB15_57
; %bb.37:                               ;   in Loop: Header=BB15_28 Depth=2
	v_mad_u64_u32 v[12:13], s[26:27], s54, v10, v[2:3]
	v_mul_lo_u32 v34, s54, v12
	v_mad_u64_u32 v[12:13], s[26:27], s83, v10, v[2:3]
	s_mov_b64 s[72:73], 0
	v_mov_b32_e32 v13, v10
	s_branch .LBB15_41
.LBB15_38:                              ;   in Loop: Header=BB15_41 Depth=3
	v_lshlrev_b32_e32 v11, 4, v11
	v_or3_b32 v11, v11, v17, v2
	v_lshlrev_b32_e32 v11, 2, v11
	v_mul_f32_e32 v14, v1, v35
	ds_add_f32 v11, v14
.LBB15_39:                              ;   in Loop: Header=BB15_41 Depth=3
	s_or_b64 exec, exec, s[78:79]
	s_or_b64 s[74:75], s[74:75], exec
.LBB15_40:                              ;   in Loop: Header=BB15_41 Depth=3
	s_or_b64 exec, exec, s[76:77]
	v_add_u32_e32 v10, 1, v10
	v_cmp_ge_i32_e32 vcc, v10, v9
	s_xor_b64 s[26:27], s[74:75], -1
	s_or_b64 s[26:27], s[26:27], vcc
	s_and_b64 s[26:27], exec, s[26:27]
	v_add_u32_e32 v34, s83, v34
	s_or_b64 s[72:73], s[26:27], s[72:73]
	v_add_u32_e32 v12, s83, v12
	s_andn2_b64 exec, exec, s[72:73]
	s_cbranch_execz .LBB15_56
.LBB15_41:                              ;   Parent Loop BB15_14 Depth=1
                                        ;     Parent Loop BB15_28 Depth=2
                                        ; =>    This Loop Header: Depth=3
                                        ;         Child Loop BB15_50 Depth 4
                                        ;         Child Loop BB15_55 Depth 4
	v_ashrrev_i32_e32 v11, 31, v10
	v_lshlrev_b64 v[14:15], 2, v[10:11]
	v_mov_b32_e32 v11, s51
	v_add_co_u32_e32 v14, vcc, s50, v14
	v_addc_co_u32_e32 v15, vcc, v11, v15, vcc
	global_load_dword v11, v[14:15], off
                                        ; implicit-def: $sgpr74_sgpr75
	s_waitcnt vmcnt(0)
	v_subrev_u32_e32 v11, s29, v11
	v_cmp_gt_i32_e64 s[26:27], s85, v11
	v_cmp_ge_i32_e32 vcc, v11, v32
	s_or_b64 s[26:27], s[26:27], vcc
	s_and_saveexec_b64 s[76:77], s[26:27]
	s_xor_b64 s[26:27], exec, s[76:77]
	s_cbranch_execz .LBB15_45
; %bb.42:                               ;   in Loop: Header=BB15_41 Depth=3
	s_mov_b64 s[74:75], -1
	s_and_saveexec_b64 s[76:77], vcc
; %bb.43:                               ;   in Loop: Header=BB15_41 Depth=3
	v_min_i32_e32 v33, v11, v33
	s_xor_b64 s[74:75], exec, -1
	v_mov_b32_e32 v13, v10
; %bb.44:                               ;   in Loop: Header=BB15_41 Depth=3
	s_or_b64 exec, exec, s[76:77]
	s_and_b64 s[74:75], s[74:75], exec
                                        ; implicit-def: $vgpr11
.LBB15_45:                              ;   in Loop: Header=BB15_41 Depth=3
	s_andn2_saveexec_b64 s[76:77], s[26:27]
	s_cbranch_execz .LBB15_40
; %bb.46:                               ;   in Loop: Header=BB15_41 Depth=3
	v_subrev_u32_e32 v11, s85, v11
	v_lshlrev_b32_e32 v14, 2, v11
	ds_write_b32 v14, v31 offset:3072
	s_and_saveexec_b64 s[78:79], s[8:9]
	s_cbranch_execz .LBB15_39
; %bb.47:                               ;   in Loop: Header=BB15_41 Depth=3
	v_cndmask_b32_e64 v14, 0, 1, s[62:63]
	s_andn2_b64 vcc, exec, s[42:43]
	v_cmp_ne_u32_e64 s[26:27], 1, v14
	s_cbranch_vccnz .LBB15_52
; %bb.48:                               ;   in Loop: Header=BB15_41 Depth=3
	v_mov_b32_e32 v35, 0
	s_and_b64 vcc, exec, s[26:27]
	s_cbranch_vccnz .LBB15_51
; %bb.49:                               ;   in Loop: Header=BB15_41 Depth=3
	v_mov_b32_e32 v14, v34
	s_mov_b32 s80, s54
	v_mov_b32_e32 v36, v26
.LBB15_50:                              ;   Parent Loop BB15_14 Depth=1
                                        ;     Parent Loop BB15_28 Depth=2
                                        ;       Parent Loop BB15_41 Depth=3
                                        ; =>      This Inner Loop Header: Depth=4
	v_ashrrev_i32_e32 v15, 31, v14
	v_lshlrev_b64 v[38:39], 2, v[14:15]
	v_mov_b32_e32 v37, s61
	v_add_co_u32_e32 v38, vcc, s60, v38
	v_addc_co_u32_e32 v39, vcc, v37, v39, vcc
	global_load_dword v15, v[38:39], off
	ds_read_b32 v37, v36
	s_add_i32 s80, s80, -1
	v_add_u32_e32 v36, 16, v36
	v_add_u32_e32 v14, 1, v14
	s_cmp_lg_u32 s80, 0
	s_waitcnt vmcnt(0) lgkmcnt(0)
	v_fmac_f32_e32 v35, v37, v15
	s_cbranch_scc1 .LBB15_50
.LBB15_51:                              ;   in Loop: Header=BB15_41 Depth=3
	s_cbranch_execnz .LBB15_38
	s_branch .LBB15_53
.LBB15_52:                              ;   in Loop: Header=BB15_41 Depth=3
                                        ; implicit-def: $vgpr35
.LBB15_53:                              ;   in Loop: Header=BB15_41 Depth=3
	v_mov_b32_e32 v35, 0
	s_and_b64 vcc, exec, s[26:27]
	s_cbranch_vccnz .LBB15_38
; %bb.54:                               ;   in Loop: Header=BB15_41 Depth=3
	v_mov_b32_e32 v36, v27
	v_mov_b32_e32 v14, v12
	s_mov_b32 s26, s54
.LBB15_55:                              ;   Parent Loop BB15_14 Depth=1
                                        ;     Parent Loop BB15_28 Depth=2
                                        ;       Parent Loop BB15_41 Depth=3
                                        ; =>      This Inner Loop Header: Depth=4
	v_ashrrev_i32_e32 v15, 31, v14
	v_lshlrev_b64 v[38:39], 2, v[14:15]
	v_mov_b32_e32 v37, s61
	v_add_co_u32_e32 v38, vcc, s60, v38
	v_addc_co_u32_e32 v39, vcc, v37, v39, vcc
	global_load_dword v15, v[38:39], off
	ds_read_b32 v37, v36
	s_add_i32 s26, s26, -1
	v_add_u32_e32 v36, 4, v36
	v_add_u32_e32 v14, s54, v14
	s_cmp_eq_u32 s26, 0
	s_waitcnt vmcnt(0) lgkmcnt(0)
	v_fmac_f32_e32 v35, v37, v15
	s_cbranch_scc0 .LBB15_55
	s_branch .LBB15_38
.LBB15_56:                              ;   in Loop: Header=BB15_28 Depth=2
	s_or_b64 exec, exec, s[72:73]
	v_mov_b32_e32 v10, v13
.LBB15_57:                              ;   in Loop: Header=BB15_28 Depth=2
	s_or_b64 exec, exec, s[70:71]
.LBB15_58:                              ;   in Loop: Header=BB15_28 Depth=2
	s_or_b64 exec, exec, s[68:69]
	s_waitcnt lgkmcnt(0)
	s_barrier
	s_and_saveexec_b64 s[26:27], s[24:25]
	s_cbranch_execz .LBB15_27
; %bb.59:                               ;   in Loop: Header=BB15_28 Depth=2
	v_ashrrev_i32_e32 v9, 31, v8
	v_lshlrev_b64 v[8:9], 2, v[8:9]
	v_mov_b32_e32 v11, s35
	v_add_co_u32_e32 v8, vcc, s34, v8
	v_addc_co_u32_e32 v9, vcc, v11, v9, vcc
	global_store_dword v[8:9], v10, off
	s_branch .LBB15_27
.LBB15_60:                              ;   in Loop: Header=BB15_28 Depth=2
                                        ; implicit-def: $vgpr10
	s_branch .LBB15_35
.LBB15_61:                              ;   in Loop: Header=BB15_14 Depth=1
	s_andn2_b64 vcc, exec, s[0:1]
	s_cbranch_vccnz .LBB15_73
; %bb.62:                               ;   in Loop: Header=BB15_14 Depth=1
	s_load_dwordx2 s[24:25], s[36:37], 0x0
	s_waitcnt lgkmcnt(0)
	s_sub_i32 s72, s25, s31
	v_add_u32_e32 v8, s24, v18
	v_cmp_gt_i32_e32 vcc, s72, v8
	s_and_saveexec_b64 s[66:67], vcc
	s_cbranch_execz .LBB15_72
; %bb.63:                               ;   in Loop: Header=BB15_14 Depth=1
	v_mad_u64_u32 v[10:11], s[24:25], s54, v8, v[0:1]
	v_mad_u64_u32 v[10:11], s[24:25], s54, v10, v[6:7]
	s_mov_b64 s[68:69], 0
	s_branch .LBB15_66
.LBB15_64:                              ;   in Loop: Header=BB15_66 Depth=2
	s_or_b64 exec, exec, s[70:71]
	s_or_b64 s[24:25], s[24:25], exec
.LBB15_65:                              ;   in Loop: Header=BB15_66 Depth=2
	s_or_b64 exec, exec, s[26:27]
	v_add_u32_e32 v8, 16, v8
	v_cmp_le_i32_e32 vcc, s72, v8
	s_xor_b64 s[24:25], s[24:25], -1
	s_or_b64 s[24:25], vcc, s[24:25]
	s_and_b64 s[24:25], exec, s[24:25]
	s_or_b64 s[68:69], s[24:25], s[68:69]
	v_add_u32_e32 v10, s84, v10
	s_andn2_b64 exec, exec, s[68:69]
	s_cbranch_execz .LBB15_71
.LBB15_66:                              ;   Parent Loop BB15_14 Depth=1
                                        ; =>  This Inner Loop Header: Depth=2
	v_ashrrev_i32_e32 v9, 31, v8
	v_lshlrev_b64 v[12:13], 2, v[8:9]
	v_mov_b32_e32 v9, s39
	v_add_co_u32_e32 v12, vcc, s38, v12
	v_addc_co_u32_e32 v13, vcc, v9, v13, vcc
	global_load_dword v9, v[12:13], off
	s_waitcnt vmcnt(0)
	v_subrev_u32_e32 v9, s31, v9
	v_cmp_gt_i32_e64 s[24:25], s85, v9
	v_cmp_ge_i32_e64 s[26:27], v9, v32
	v_cmp_lt_i32_e32 vcc, v9, v32
	s_or_b64 s[26:27], s[24:25], s[26:27]
                                        ; implicit-def: $sgpr24_sgpr25
	s_and_saveexec_b64 s[70:71], s[26:27]
	s_xor_b64 s[26:27], exec, s[70:71]
; %bb.67:                               ;   in Loop: Header=BB15_66 Depth=2
	v_min_i32_e32 v9, v9, v33
	v_cndmask_b32_e32 v33, v9, v33, vcc
	s_and_b64 s[24:25], vcc, exec
                                        ; implicit-def: $vgpr9
; %bb.68:                               ;   in Loop: Header=BB15_66 Depth=2
	s_andn2_saveexec_b64 s[26:27], s[26:27]
	s_cbranch_execz .LBB15_65
; %bb.69:                               ;   in Loop: Header=BB15_66 Depth=2
	v_subrev_u32_e32 v9, s85, v9
	v_lshlrev_b32_e32 v11, 2, v9
	ds_write_b32 v11, v31 offset:3072
	s_and_saveexec_b64 s[70:71], s[8:9]
	s_cbranch_execz .LBB15_64
; %bb.70:                               ;   in Loop: Header=BB15_66 Depth=2
	v_ashrrev_i32_e32 v11, 31, v10
	v_lshlrev_b64 v[12:13], 2, v[10:11]
	v_mov_b32_e32 v11, s41
	v_add_co_u32_e32 v12, vcc, s40, v12
	v_addc_co_u32_e32 v13, vcc, v11, v13, vcc
	global_load_dword v11, v[12:13], off
	v_lshlrev_b32_e32 v9, 4, v9
	v_or3_b32 v9, v9, v17, v2
	v_lshlrev_b32_e32 v9, 2, v9
	s_waitcnt vmcnt(0)
	v_mul_f32_e32 v11, v3, v11
	ds_add_f32 v9, v11
	s_branch .LBB15_64
.LBB15_71:                              ;   in Loop: Header=BB15_14 Depth=1
	s_or_b64 exec, exec, s[68:69]
.LBB15_72:                              ;   in Loop: Header=BB15_14 Depth=1
	s_or_b64 exec, exec, s[66:67]
.LBB15_73:                              ;   in Loop: Header=BB15_14 Depth=1
	s_and_saveexec_b64 s[24:25], s[10:11]
	s_cbranch_execz .LBB15_78
; %bb.74:                               ;   in Loop: Header=BB15_14 Depth=1
	s_mov_b64 s[26:27], exec
	s_brev_b32 s66, -2
.LBB15_75:                              ;   Parent Loop BB15_14 Depth=1
                                        ; =>  This Inner Loop Header: Depth=2
	s_ff1_i32_b64 s67, s[26:27]
	v_readlane_b32 s70, v33, s67
	s_lshl_b64 s[68:69], 1, s67
	s_min_i32 s66, s66, s70
	s_andn2_b64 s[26:27], s[26:27], s[68:69]
	s_cmp_lg_u64 s[26:27], 0
	s_cbranch_scc1 .LBB15_75
; %bb.76:                               ;   in Loop: Header=BB15_14 Depth=1
	v_mbcnt_lo_u32_b32 v8, exec_lo, 0
	v_mbcnt_hi_u32_b32 v8, exec_hi, v8
	v_cmp_eq_u32_e32 vcc, 0, v8
	s_and_saveexec_b64 s[26:27], vcc
	s_xor_b64 s[26:27], exec, s[26:27]
	s_cbranch_execz .LBB15_78
; %bb.77:                               ;   in Loop: Header=BB15_14 Depth=1
	v_mov_b32_e32 v8, s66
	ds_min_i32 v30, v8 offset:3200
.LBB15_78:                              ;   in Loop: Header=BB15_14 Depth=1
	s_or_b64 exec, exec, s[24:25]
	s_waitcnt lgkmcnt(0)
	s_barrier
	ds_read_b32 v8, v19
	s_waitcnt lgkmcnt(0)
	s_barrier
	s_and_saveexec_b64 s[24:25], s[14:15]
	s_cbranch_execz .LBB15_80
; %bb.79:                               ;   in Loop: Header=BB15_14 Depth=1
	ds_read_b32 v9, v20
	s_waitcnt lgkmcnt(0)
	v_add_u32_e32 v8, v9, v8
.LBB15_80:                              ;   in Loop: Header=BB15_14 Depth=1
	s_or_b64 exec, exec, s[24:25]
	s_barrier
	ds_write_b32 v19, v8
	s_waitcnt lgkmcnt(0)
	s_barrier
	s_and_saveexec_b64 s[24:25], s[16:17]
	s_cbranch_execz .LBB15_82
; %bb.81:                               ;   in Loop: Header=BB15_14 Depth=1
	ds_read_b32 v9, v22
	s_waitcnt lgkmcnt(0)
	v_add_u32_e32 v8, v9, v8
.LBB15_82:                              ;   in Loop: Header=BB15_14 Depth=1
	s_or_b64 exec, exec, s[24:25]
	s_barrier
	ds_write_b32 v19, v8
	;; [unrolled: 12-line block ×5, first 2 shown]
	s_waitcnt lgkmcnt(0)
	s_barrier
	ds_read_b32 v10, v30 offset:3196
	v_mov_b32_e32 v9, 0
	s_and_saveexec_b64 s[24:25], s[12:13]
	s_cbranch_execz .LBB15_90
; %bb.89:                               ;   in Loop: Header=BB15_14 Depth=1
	ds_read_b32 v9, v20
.LBB15_90:                              ;   in Loop: Header=BB15_14 Depth=1
	s_or_b64 exec, exec, s[24:25]
	s_waitcnt lgkmcnt(0)
	v_cmp_eq_u32_e32 vcc, v8, v9
	s_and_b64 s[26:27], s[12:13], vcc
	s_barrier
	s_and_saveexec_b64 s[24:25], s[26:27]
	s_cbranch_execz .LBB15_92
; %bb.91:                               ;   in Loop: Header=BB15_14 Depth=1
	ds_write_b32 v19, v30
.LBB15_92:                              ;   in Loop: Header=BB15_14 Depth=1
	s_or_b64 exec, exec, s[24:25]
	s_waitcnt lgkmcnt(0)
	s_barrier
	s_and_saveexec_b64 s[24:25], s[4:5]
	s_cbranch_execz .LBB15_13
; %bb.93:                               ;   in Loop: Header=BB15_14 Depth=1
	v_add_u32_e32 v11, -1, v29
	s_add_i32 s68, s30, s85
	s_mov_b64 s[26:27], 0
	v_mov_b32_e32 v12, v28
	v_mov_b32_e32 v13, v7
	;; [unrolled: 1-line block ×3, first 2 shown]
	s_branch .LBB15_95
.LBB15_94:                              ;   in Loop: Header=BB15_95 Depth=2
	s_or_b64 exec, exec, s[66:67]
	v_add_u32_e32 v8, 16, v14
	v_cmp_lt_u32_e32 vcc, 15, v14
	v_add_u32_e32 v13, 0x400, v13
	v_add_u32_e32 v12, 64, v12
	s_or_b64 s[26:27], vcc, s[26:27]
	v_mov_b32_e32 v14, v8
	s_andn2_b64 exec, exec, s[26:27]
	s_cbranch_execz .LBB15_13
.LBB15_95:                              ;   Parent Loop BB15_14 Depth=1
                                        ; =>  This Inner Loop Header: Depth=2
	ds_read_b32 v8, v12
	s_waitcnt lgkmcnt(0)
	v_cmp_ne_u32_e32 vcc, 0, v8
	s_and_saveexec_b64 s[66:67], vcc
	s_cbranch_execz .LBB15_94
; %bb.96:                               ;   in Loop: Header=BB15_95 Depth=2
	v_add_u32_e32 v8, v11, v8
	v_ashrrev_i32_e32 v9, 31, v8
	v_lshlrev_b64 v[32:33], 2, v[8:9]
	v_mov_b32_e32 v9, s57
	v_add_co_u32_e32 v32, vcc, s56, v32
	v_add_u32_e32 v15, s68, v14
	v_addc_co_u32_e32 v33, vcc, v9, v33, vcc
	global_store_dword v[32:33], v15, off
	s_and_b64 exec, exec, s[8:9]
	s_cbranch_execz .LBB15_94
; %bb.97:                               ;   in Loop: Header=BB15_95 Depth=2
	v_mad_u64_u32 v[8:9], s[70:71], v8, s54, v[0:1]
	ds_read_b32 v15, v13
	v_mad_u64_u32 v[8:9], s[70:71], v8, s54, v[6:7]
	v_ashrrev_i32_e32 v9, 31, v8
	v_lshlrev_b64 v[8:9], 2, v[8:9]
	v_mov_b32_e32 v32, s59
	v_add_co_u32_e32 v8, vcc, s58, v8
	v_addc_co_u32_e32 v9, vcc, v32, v9, vcc
	s_waitcnt lgkmcnt(0)
	global_store_dword v[8:9], v15, off
	s_branch .LBB15_94
.LBB15_98:
	s_endpgm
	.section	.rodata,"a",@progbits
	.p2align	6, 0x0
	.amdhsa_kernel _ZN9rocsparseL38bsrgemm_block_per_row_atomic_multipassILj256ELj32ELj4EiifEEv20rocsparse_direction_T3_S2_PKS2_S4_NS_24const_host_device_scalarIT4_EEPKT2_S4_PKS6_SA_S4_SC_S7_SA_S4_SC_SA_PS2_PS6_PS8_21rocsparse_index_base_SG_SG_SG_bbb
		.amdhsa_group_segment_fixed_size 3204
		.amdhsa_private_segment_fixed_size 0
		.amdhsa_kernarg_size 172
		.amdhsa_user_sgpr_count 6
		.amdhsa_user_sgpr_private_segment_buffer 1
		.amdhsa_user_sgpr_dispatch_ptr 0
		.amdhsa_user_sgpr_queue_ptr 0
		.amdhsa_user_sgpr_kernarg_segment_ptr 1
		.amdhsa_user_sgpr_dispatch_id 0
		.amdhsa_user_sgpr_flat_scratch_init 0
		.amdhsa_user_sgpr_kernarg_preload_length 0
		.amdhsa_user_sgpr_kernarg_preload_offset 0
		.amdhsa_user_sgpr_private_segment_size 0
		.amdhsa_uses_dynamic_stack 0
		.amdhsa_system_sgpr_private_segment_wavefront_offset 0
		.amdhsa_system_sgpr_workgroup_id_x 1
		.amdhsa_system_sgpr_workgroup_id_y 0
		.amdhsa_system_sgpr_workgroup_id_z 0
		.amdhsa_system_sgpr_workgroup_info 0
		.amdhsa_system_vgpr_workitem_id 0
		.amdhsa_next_free_vgpr 40
		.amdhsa_next_free_sgpr 87
		.amdhsa_accum_offset 40
		.amdhsa_reserve_vcc 1
		.amdhsa_reserve_flat_scratch 0
		.amdhsa_float_round_mode_32 0
		.amdhsa_float_round_mode_16_64 0
		.amdhsa_float_denorm_mode_32 3
		.amdhsa_float_denorm_mode_16_64 3
		.amdhsa_dx10_clamp 1
		.amdhsa_ieee_mode 1
		.amdhsa_fp16_overflow 0
		.amdhsa_tg_split 0
		.amdhsa_exception_fp_ieee_invalid_op 0
		.amdhsa_exception_fp_denorm_src 0
		.amdhsa_exception_fp_ieee_div_zero 0
		.amdhsa_exception_fp_ieee_overflow 0
		.amdhsa_exception_fp_ieee_underflow 0
		.amdhsa_exception_fp_ieee_inexact 0
		.amdhsa_exception_int_div_zero 0
	.end_amdhsa_kernel
	.section	.text._ZN9rocsparseL38bsrgemm_block_per_row_atomic_multipassILj256ELj32ELj4EiifEEv20rocsparse_direction_T3_S2_PKS2_S4_NS_24const_host_device_scalarIT4_EEPKT2_S4_PKS6_SA_S4_SC_S7_SA_S4_SC_SA_PS2_PS6_PS8_21rocsparse_index_base_SG_SG_SG_bbb,"axG",@progbits,_ZN9rocsparseL38bsrgemm_block_per_row_atomic_multipassILj256ELj32ELj4EiifEEv20rocsparse_direction_T3_S2_PKS2_S4_NS_24const_host_device_scalarIT4_EEPKT2_S4_PKS6_SA_S4_SC_S7_SA_S4_SC_SA_PS2_PS6_PS8_21rocsparse_index_base_SG_SG_SG_bbb,comdat
.Lfunc_end15:
	.size	_ZN9rocsparseL38bsrgemm_block_per_row_atomic_multipassILj256ELj32ELj4EiifEEv20rocsparse_direction_T3_S2_PKS2_S4_NS_24const_host_device_scalarIT4_EEPKT2_S4_PKS6_SA_S4_SC_S7_SA_S4_SC_SA_PS2_PS6_PS8_21rocsparse_index_base_SG_SG_SG_bbb, .Lfunc_end15-_ZN9rocsparseL38bsrgemm_block_per_row_atomic_multipassILj256ELj32ELj4EiifEEv20rocsparse_direction_T3_S2_PKS2_S4_NS_24const_host_device_scalarIT4_EEPKT2_S4_PKS6_SA_S4_SC_S7_SA_S4_SC_SA_PS2_PS6_PS8_21rocsparse_index_base_SG_SG_SG_bbb
                                        ; -- End function
	.section	.AMDGPU.csdata,"",@progbits
; Kernel info:
; codeLenInByte = 2880
; NumSgprs: 91
; NumVgprs: 40
; NumAgprs: 0
; TotalNumVgprs: 40
; ScratchSize: 0
; MemoryBound: 0
; FloatMode: 240
; IeeeMode: 1
; LDSByteSize: 3204 bytes/workgroup (compile time only)
; SGPRBlocks: 11
; VGPRBlocks: 4
; NumSGPRsForWavesPerEU: 91
; NumVGPRsForWavesPerEU: 40
; AccumOffset: 40
; Occupancy: 8
; WaveLimiterHint : 1
; COMPUTE_PGM_RSRC2:SCRATCH_EN: 0
; COMPUTE_PGM_RSRC2:USER_SGPR: 6
; COMPUTE_PGM_RSRC2:TRAP_HANDLER: 0
; COMPUTE_PGM_RSRC2:TGID_X_EN: 1
; COMPUTE_PGM_RSRC2:TGID_Y_EN: 0
; COMPUTE_PGM_RSRC2:TGID_Z_EN: 0
; COMPUTE_PGM_RSRC2:TIDIG_COMP_CNT: 0
; COMPUTE_PGM_RSRC3_GFX90A:ACCUM_OFFSET: 9
; COMPUTE_PGM_RSRC3_GFX90A:TG_SPLIT: 0
	.section	.text._ZN9rocsparseL38bsrgemm_block_per_row_atomic_multipassILj256ELj64ELj4EiifEEv20rocsparse_direction_T3_S2_PKS2_S4_NS_24const_host_device_scalarIT4_EEPKT2_S4_PKS6_SA_S4_SC_S7_SA_S4_SC_SA_PS2_PS6_PS8_21rocsparse_index_base_SG_SG_SG_bbb,"axG",@progbits,_ZN9rocsparseL38bsrgemm_block_per_row_atomic_multipassILj256ELj64ELj4EiifEEv20rocsparse_direction_T3_S2_PKS2_S4_NS_24const_host_device_scalarIT4_EEPKT2_S4_PKS6_SA_S4_SC_S7_SA_S4_SC_SA_PS2_PS6_PS8_21rocsparse_index_base_SG_SG_SG_bbb,comdat
	.globl	_ZN9rocsparseL38bsrgemm_block_per_row_atomic_multipassILj256ELj64ELj4EiifEEv20rocsparse_direction_T3_S2_PKS2_S4_NS_24const_host_device_scalarIT4_EEPKT2_S4_PKS6_SA_S4_SC_S7_SA_S4_SC_SA_PS2_PS6_PS8_21rocsparse_index_base_SG_SG_SG_bbb ; -- Begin function _ZN9rocsparseL38bsrgemm_block_per_row_atomic_multipassILj256ELj64ELj4EiifEEv20rocsparse_direction_T3_S2_PKS2_S4_NS_24const_host_device_scalarIT4_EEPKT2_S4_PKS6_SA_S4_SC_S7_SA_S4_SC_SA_PS2_PS6_PS8_21rocsparse_index_base_SG_SG_SG_bbb
	.p2align	8
	.type	_ZN9rocsparseL38bsrgemm_block_per_row_atomic_multipassILj256ELj64ELj4EiifEEv20rocsparse_direction_T3_S2_PKS2_S4_NS_24const_host_device_scalarIT4_EEPKT2_S4_PKS6_SA_S4_SC_S7_SA_S4_SC_SA_PS2_PS6_PS8_21rocsparse_index_base_SG_SG_SG_bbb,@function
_ZN9rocsparseL38bsrgemm_block_per_row_atomic_multipassILj256ELj64ELj4EiifEEv20rocsparse_direction_T3_S2_PKS2_S4_NS_24const_host_device_scalarIT4_EEPKT2_S4_PKS6_SA_S4_SC_S7_SA_S4_SC_SA_PS2_PS6_PS8_21rocsparse_index_base_SG_SG_SG_bbb: ; @_ZN9rocsparseL38bsrgemm_block_per_row_atomic_multipassILj256ELj64ELj4EiifEEv20rocsparse_direction_T3_S2_PKS2_S4_NS_24const_host_device_scalarIT4_EEPKT2_S4_PKS6_SA_S4_SC_S7_SA_S4_SC_SA_PS2_PS6_PS8_21rocsparse_index_base_SG_SG_SG_bbb
; %bb.0:
	s_load_dword s7, s[4:5], 0xa8
	s_load_dwordx4 s[28:31], s[4:5], 0x98
	s_load_dwordx2 s[0:1], s[4:5], 0x20
	s_load_dwordx2 s[8:9], s[4:5], 0x58
	s_waitcnt lgkmcnt(0)
	s_bitcmp1_b32 s7, 0
	s_cselect_b64 s[24:25], -1, 0
	s_bitcmp1_b32 s7, 16
	s_cselect_b64 s[10:11], -1, 0
	s_xor_b64 s[2:3], s[24:25], -1
	s_or_b64 s[2:3], s[2:3], s[10:11]
	s_and_b64 vcc, exec, s[2:3]
	s_cbranch_vccnz .LBB16_2
; %bb.1:
	s_load_dword s0, s[0:1], 0x0
	s_waitcnt lgkmcnt(0)
	v_mov_b32_e32 v1, s0
	s_branch .LBB16_3
.LBB16_2:
	v_mov_b32_e32 v1, s0
	v_cndmask_b32_e64 v1, 0, v1, s[24:25]
.LBB16_3:
	s_load_dwordx2 s[2:3], s[4:5], 0x18
	s_bitcmp1_b32 s7, 8
	s_cselect_b64 s[0:1], -1, 0
	s_xor_b64 s[12:13], s[0:1], -1
	s_or_b64 s[10:11], s[12:13], s[10:11]
	s_and_b64 vcc, exec, s[10:11]
	s_cbranch_vccnz .LBB16_5
; %bb.4:
	s_load_dword s7, s[8:9], 0x0
	s_waitcnt lgkmcnt(0)
	v_mov_b32_e32 v3, s7
	s_load_dwordx2 s[8:9], s[4:5], 0x28
	s_cmp_eq_u64 s[2:3], 0
	s_cbranch_scc0 .LBB16_6
	s_branch .LBB16_7
.LBB16_5:
	v_mov_b32_e32 v2, s8
	v_cndmask_b32_e64 v3, 0, v2, s[0:1]
	s_load_dwordx2 s[8:9], s[4:5], 0x28
	s_waitcnt lgkmcnt(0)
	s_cmp_eq_u64 s[2:3], 0
	s_cbranch_scc1 .LBB16_7
.LBB16_6:
	s_load_dwordx2 s[10:11], s[4:5], 0x10
	s_waitcnt lgkmcnt(0)
	s_load_dword s7, s[10:11], 0x0
	s_waitcnt lgkmcnt(0)
	s_add_i32 s6, s7, s6
	s_mov_b32 s7, 0
	s_lshl_b64 s[6:7], s[6:7], 2
	s_add_u32 s2, s2, s6
	s_addc_u32 s3, s3, s7
	s_load_dword s6, s[2:3], 0x0
.LBB16_7:
	v_cndmask_b32_e64 v2, 0, 1, s[24:25]
	s_mov_b32 s33, 0
	v_cmp_ne_u32_e64 s[2:3], 1, v2
	s_andn2_b64 vcc, exec, s[24:25]
	s_mov_b32 s82, 0
	s_cbranch_vccz .LBB16_10
; %bb.8:
	s_and_b64 vcc, exec, s[2:3]
	s_cbranch_vccz .LBB16_11
.LBB16_9:
	s_load_dwordx4 s[52:55], s[4:5], 0x0
	s_waitcnt lgkmcnt(0)
	s_cmp_lt_i32 s53, 1
	s_cbranch_scc0 .LBB16_12
	s_branch .LBB16_98
.LBB16_10:
	s_waitcnt lgkmcnt(0)
	s_ashr_i32 s7, s6, 31
	s_lshl_b64 s[10:11], s[6:7], 2
	s_add_u32 s10, s8, s10
	s_addc_u32 s11, s9, s11
	s_load_dword s7, s[10:11], 0x0
	s_waitcnt lgkmcnt(0)
	s_sub_i32 s82, s7, s28
	s_and_b64 vcc, exec, s[2:3]
	s_cbranch_vccnz .LBB16_9
.LBB16_11:
	s_waitcnt lgkmcnt(0)
	s_ashr_i32 s7, s6, 31
	s_lshl_b64 s[2:3], s[6:7], 2
	s_add_u32 s2, s8, s2
	s_addc_u32 s3, s9, s3
	s_load_dword s2, s[2:3], 0x4
	s_waitcnt lgkmcnt(0)
	s_sub_i32 s33, s2, s28
	s_load_dwordx4 s[52:55], s[4:5], 0x0
	s_waitcnt lgkmcnt(0)
	s_cmp_lt_i32 s53, 1
	s_cbranch_scc1 .LBB16_98
.LBB16_12:
	s_load_dwordx2 s[34:35], s[4:5], 0x90
	s_load_dwordx4 s[56:59], s[4:5], 0x80
	s_load_dwordx8 s[36:43], s[4:5], 0x60
	s_load_dwordx2 s[60:61], s[4:5], 0x50
	s_load_dwordx8 s[44:51], s[4:5], 0x30
	s_ashr_i32 s7, s6, 31
	s_lshl_b64 s[8:9], s[6:7], 2
	s_waitcnt lgkmcnt(0)
	s_add_u32 s2, s42, s8
	s_addc_u32 s3, s43, s9
	s_load_dword s2, s[2:3], 0x0
	v_and_b32_e32 v2, 3, v0
	v_bfe_u32 v4, v0, 2, 2
	v_max_i32_e32 v7, v2, v4
	v_and_b32_e32 v6, 15, v0
	s_waitcnt lgkmcnt(0)
	s_sub_i32 s66, s2, s30
	s_cmp_lt_i32 s82, s33
	s_cselect_b64 s[26:27], -1, 0
	s_cmp_eq_u32 s52, 0
	s_cselect_b64 vcc, -1, 0
	s_cmp_lg_u32 s52, 0
	v_lshrrev_b32_e32 v5, 4, v0
	v_cmp_gt_u32_e64 s[2:3], 64, v0
	v_cmp_eq_u32_e64 s[4:5], 0, v0
	v_cmp_gt_i32_e64 s[6:7], s54, v7
	v_lshlrev_b32_e32 v7, 2, v0
	s_cselect_b64 s[42:43], -1, 0
	s_cmp_gt_i32 s54, 0
	v_and_b32_e32 v17, 12, v0
	v_and_b32_e32 v0, 63, v0
	s_cselect_b64 s[62:63], -1, 0
	s_add_u32 s36, s36, s8
	v_add_co_u32_e64 v8, s[10:11], -1, v0
	v_mov_b32_e32 v9, 0x1400
	s_movk_i32 s67, 0x1000
	s_addc_u32 s37, s37, s9
	v_lshl_add_u32 v20, v8, 2, v9
	s_and_b64 s[64:65], s[24:25], s[26:27]
	v_lshlrev_b32_e32 v8, 6, v5
	v_cmp_eq_u32_e64 s[8:9], 15, v6
	v_lshlrev_b32_e32 v6, 2, v0
	s_add_u32 s52, s48, 4
	v_or3_b32 v27, v8, v17, s67
	s_mul_i32 s83, s54, s54
	v_and_b32_e32 v8, 0x3f0, v7
	s_mov_b32 s85, 0
	v_or_b32_e32 v16, 0x1000, v7
	v_subrev_u32_e32 v18, s31, v5
	v_or_b32_e32 v19, 0x1400, v6
	v_or_b32_e32 v21, 0x1400, v7
	v_cmp_ne_u32_e64 s[12:13], 0, v0
	v_cmp_lt_u32_e64 s[14:15], 1, v0
	v_add_u32_e32 v22, 0x13f8, v6
	v_cmp_lt_u32_e64 s[16:17], 3, v0
	v_add_u32_e32 v23, 0x13f0, v6
	;; [unrolled: 2-line block ×5, first 2 shown]
	v_cndmask_b32_e32 v0, v2, v4, vcc
	v_cndmask_b32_e32 v6, v4, v2, vcc
	s_addc_u32 s55, s49, 0
	v_or_b32_e32 v28, 0x1000, v8
	s_lshl_b32 s84, s83, 4
	v_lshl_or_b32 v29, v5, 2, v9
	v_mov_b32_e32 v33, 64
	v_mov_b32_e32 v30, s66
	;; [unrolled: 1-line block ×4, first 2 shown]
	s_branch .LBB16_14
.LBB16_13:                              ;   in Loop: Header=BB16_14 Depth=1
	s_or_b64 exec, exec, s[24:25]
	s_barrier
	ds_read_b32 v8, v31 offset:5376
	v_add_u32_e32 v30, v10, v30
	s_waitcnt lgkmcnt(0)
	s_barrier
	v_cmp_le_i32_e32 vcc, s53, v8
	v_readfirstlane_b32 s85, v8
	v_add_u32_e32 v33, 64, v8
	s_cbranch_vccnz .LBB16_98
.LBB16_14:                              ; =>This Loop Header: Depth=1
                                        ;     Child Loop BB16_18 Depth 2
                                        ;     Child Loop BB16_27 Depth 2
                                        ;       Child Loop BB16_40 Depth 3
                                        ;         Child Loop BB16_49 Depth 4
                                        ;         Child Loop BB16_54 Depth 4
                                        ;     Child Loop BB16_65 Depth 2
                                        ;     Child Loop BB16_74 Depth 2
	;; [unrolled: 1-line block ×3, first 2 shown]
	s_and_saveexec_b64 s[24:25], s[2:3]
	s_cbranch_execz .LBB16_16
; %bb.15:                               ;   in Loop: Header=BB16_14 Depth=1
	ds_write_b32 v21, v31
.LBB16_16:                              ;   in Loop: Header=BB16_14 Depth=1
	s_or_b64 exec, exec, s[24:25]
	s_mov_b32 s68, 0
	s_mov_b64 s[24:25], 0
	v_mov_b32_e32 v8, v7
	s_branch .LBB16_18
.LBB16_17:                              ;   in Loop: Header=BB16_18 Depth=2
	s_or_b64 exec, exec, s[66:67]
	s_add_i32 s68, s68, 2
	v_cmp_eq_u32_e64 s[26:27], 4, s68
	s_or_b64 s[24:25], s[26:27], s[24:25]
	v_add_u32_e32 v8, 0x800, v8
	s_andn2_b64 exec, exec, s[24:25]
	s_cbranch_execz .LBB16_22
.LBB16_18:                              ;   Parent Loop BB16_14 Depth=1
                                        ; =>  This Inner Loop Header: Depth=2
	s_or_b32 s26, s68, 1
	v_cmp_le_u32_e64 s[26:27], s26, 3
	v_cmp_le_u32_e64 s[70:71], s68, 3
	s_and_saveexec_b64 s[66:67], s[70:71]
	s_cbranch_execz .LBB16_20
; %bb.19:                               ;   in Loop: Header=BB16_18 Depth=2
	ds_write_b32 v8, v31
.LBB16_20:                              ;   in Loop: Header=BB16_18 Depth=2
	s_or_b64 exec, exec, s[66:67]
	s_and_saveexec_b64 s[66:67], s[26:27]
	s_cbranch_execz .LBB16_17
; %bb.21:                               ;   in Loop: Header=BB16_18 Depth=2
	ds_write_b32 v8, v31 offset:1024
	s_branch .LBB16_17
.LBB16_22:                              ;   in Loop: Header=BB16_14 Depth=1
	s_or_b64 exec, exec, s[24:25]
	s_and_saveexec_b64 s[24:25], s[4:5]
	s_cbranch_execz .LBB16_24
; %bb.23:                               ;   in Loop: Header=BB16_14 Depth=1
	v_mov_b32_e32 v8, s53
	ds_write_b32 v31, v8 offset:5376
.LBB16_24:                              ;   in Loop: Header=BB16_14 Depth=1
	s_or_b64 exec, exec, s[24:25]
	s_andn2_b64 vcc, exec, s[64:65]
	v_mov_b32_e32 v34, s53
	s_waitcnt lgkmcnt(0)
	s_barrier
	s_cbranch_vccnz .LBB16_60
; %bb.25:                               ;   in Loop: Header=BB16_14 Depth=1
	s_cmp_lg_u32 s85, 0
	s_cselect_b64 s[66:67], -1, 0
	v_mov_b32_e32 v34, s53
	s_mov_b32 s86, s82
	s_branch .LBB16_27
.LBB16_26:                              ;   in Loop: Header=BB16_27 Depth=2
	s_or_b64 exec, exec, s[26:27]
	s_add_i32 s86, s86, 16
	s_cmp_lt_i32 s86, s33
	s_cbranch_scc0 .LBB16_60
.LBB16_27:                              ;   Parent Loop BB16_14 Depth=1
                                        ; =>  This Loop Header: Depth=2
                                        ;       Child Loop BB16_40 Depth 3
                                        ;         Child Loop BB16_49 Depth 4
                                        ;         Child Loop BB16_54 Depth 4
	v_add_u32_e32 v8, s86, v5
	v_cmp_gt_i32_e64 s[24:25], s33, v8
	s_barrier
	s_and_saveexec_b64 s[26:27], s[24:25]
	s_cbranch_execz .LBB16_31
; %bb.28:                               ;   in Loop: Header=BB16_27 Depth=2
	v_mov_b32_e32 v9, 0
	s_and_saveexec_b64 s[68:69], s[6:7]
	s_cbranch_execz .LBB16_30
; %bb.29:                               ;   in Loop: Header=BB16_27 Depth=2
	v_mad_u64_u32 v[10:11], s[70:71], v8, s54, v[4:5]
	v_mad_u64_u32 v[10:11], s[70:71], v10, s54, v[2:3]
	v_ashrrev_i32_e32 v11, 31, v10
	v_lshlrev_b64 v[10:11], 2, v[10:11]
	v_mov_b32_e32 v9, s47
	v_add_co_u32_e32 v10, vcc, s46, v10
	v_addc_co_u32_e32 v11, vcc, v9, v11, vcc
	global_load_dword v9, v[10:11], off
.LBB16_30:                              ;   in Loop: Header=BB16_27 Depth=2
	s_or_b64 exec, exec, s[68:69]
	s_waitcnt vmcnt(0)
	ds_write_b32 v16, v9
.LBB16_31:                              ;   in Loop: Header=BB16_27 Depth=2
	s_or_b64 exec, exec, s[26:27]
	v_mov_b32_e32 v10, 0
	s_waitcnt lgkmcnt(0)
	s_barrier
	s_and_saveexec_b64 s[68:69], s[24:25]
	s_cbranch_execz .LBB16_57
; %bb.32:                               ;   in Loop: Header=BB16_27 Depth=2
	v_ashrrev_i32_e32 v9, 31, v8
	v_lshlrev_b64 v[10:11], 2, v[8:9]
	v_mov_b32_e32 v9, s45
	v_add_co_u32_e32 v12, vcc, s44, v10
	v_addc_co_u32_e32 v13, vcc, v9, v11, vcc
	global_load_dword v9, v[12:13], off
	s_and_b64 vcc, exec, s[66:67]
	s_waitcnt vmcnt(0)
	v_subrev_u32_e32 v12, s28, v9
	v_ashrrev_i32_e32 v13, 31, v12
	s_cbranch_vccz .LBB16_59
; %bb.33:                               ;   in Loop: Header=BB16_27 Depth=2
	v_mov_b32_e32 v9, s35
	v_add_co_u32_e32 v10, vcc, s34, v10
	v_addc_co_u32_e32 v11, vcc, v9, v11, vcc
	global_load_dword v10, v[10:11], off
	s_cbranch_execnz .LBB16_35
.LBB16_34:                              ;   in Loop: Header=BB16_27 Depth=2
	s_waitcnt vmcnt(0)
	v_lshlrev_b64 v[10:11], 2, v[12:13]
	v_mov_b32_e32 v9, s49
	v_add_co_u32_e32 v10, vcc, s48, v10
	v_addc_co_u32_e32 v11, vcc, v9, v11, vcc
	global_load_dword v9, v[10:11], off
	s_waitcnt vmcnt(0)
	v_subrev_u32_e32 v10, s29, v9
.LBB16_35:                              ;   in Loop: Header=BB16_27 Depth=2
	v_lshlrev_b64 v[12:13], 2, v[12:13]
	v_mov_b32_e32 v9, s55
	v_add_co_u32_e32 v12, vcc, s52, v12
	v_addc_co_u32_e32 v13, vcc, v9, v13, vcc
	global_load_dword v9, v[12:13], off
	s_waitcnt vmcnt(0)
	v_subrev_u32_e32 v9, s29, v9
	v_cmp_lt_i32_e32 vcc, v10, v9
	s_and_saveexec_b64 s[70:71], vcc
	s_cbranch_execz .LBB16_56
; %bb.36:                               ;   in Loop: Header=BB16_27 Depth=2
	v_mad_u64_u32 v[12:13], s[26:27], s54, v10, v[2:3]
	v_mul_lo_u32 v35, s54, v12
	v_mad_u64_u32 v[12:13], s[26:27], s83, v10, v[2:3]
	s_mov_b64 s[72:73], 0
	v_mov_b32_e32 v13, v10
	s_branch .LBB16_40
.LBB16_37:                              ;   in Loop: Header=BB16_40 Depth=3
	v_lshlrev_b32_e32 v11, 4, v11
	v_or3_b32 v11, v11, v17, v2
	v_lshlrev_b32_e32 v11, 2, v11
	v_mul_f32_e32 v14, v1, v36
	ds_add_f32 v11, v14
.LBB16_38:                              ;   in Loop: Header=BB16_40 Depth=3
	s_or_b64 exec, exec, s[78:79]
	s_or_b64 s[74:75], s[74:75], exec
.LBB16_39:                              ;   in Loop: Header=BB16_40 Depth=3
	s_or_b64 exec, exec, s[76:77]
	v_add_u32_e32 v10, 1, v10
	v_cmp_ge_i32_e32 vcc, v10, v9
	s_xor_b64 s[26:27], s[74:75], -1
	s_or_b64 s[26:27], s[26:27], vcc
	s_and_b64 s[26:27], exec, s[26:27]
	v_add_u32_e32 v35, s83, v35
	s_or_b64 s[72:73], s[26:27], s[72:73]
	v_add_u32_e32 v12, s83, v12
	s_andn2_b64 exec, exec, s[72:73]
	s_cbranch_execz .LBB16_55
.LBB16_40:                              ;   Parent Loop BB16_14 Depth=1
                                        ;     Parent Loop BB16_27 Depth=2
                                        ; =>    This Loop Header: Depth=3
                                        ;         Child Loop BB16_49 Depth 4
                                        ;         Child Loop BB16_54 Depth 4
	v_ashrrev_i32_e32 v11, 31, v10
	v_lshlrev_b64 v[14:15], 2, v[10:11]
	v_mov_b32_e32 v11, s51
	v_add_co_u32_e32 v14, vcc, s50, v14
	v_addc_co_u32_e32 v15, vcc, v11, v15, vcc
	global_load_dword v11, v[14:15], off
                                        ; implicit-def: $sgpr74_sgpr75
	s_waitcnt vmcnt(0)
	v_subrev_u32_e32 v11, s29, v11
	v_cmp_gt_i32_e64 s[26:27], s85, v11
	v_cmp_ge_i32_e32 vcc, v11, v33
	s_or_b64 s[26:27], s[26:27], vcc
	s_and_saveexec_b64 s[76:77], s[26:27]
	s_xor_b64 s[26:27], exec, s[76:77]
	s_cbranch_execz .LBB16_44
; %bb.41:                               ;   in Loop: Header=BB16_40 Depth=3
	s_mov_b64 s[74:75], -1
	s_and_saveexec_b64 s[76:77], vcc
; %bb.42:                               ;   in Loop: Header=BB16_40 Depth=3
	v_min_i32_e32 v34, v11, v34
	s_xor_b64 s[74:75], exec, -1
	v_mov_b32_e32 v13, v10
; %bb.43:                               ;   in Loop: Header=BB16_40 Depth=3
	s_or_b64 exec, exec, s[76:77]
	s_and_b64 s[74:75], s[74:75], exec
                                        ; implicit-def: $vgpr11
.LBB16_44:                              ;   in Loop: Header=BB16_40 Depth=3
	s_andn2_saveexec_b64 s[76:77], s[26:27]
	s_cbranch_execz .LBB16_39
; %bb.45:                               ;   in Loop: Header=BB16_40 Depth=3
	v_subrev_u32_e32 v11, s85, v11
	v_lshlrev_b32_e32 v14, 2, v11
	ds_write_b32 v14, v32 offset:5120
	s_and_saveexec_b64 s[78:79], s[6:7]
	s_cbranch_execz .LBB16_38
; %bb.46:                               ;   in Loop: Header=BB16_40 Depth=3
	v_cndmask_b32_e64 v14, 0, 1, s[62:63]
	s_andn2_b64 vcc, exec, s[42:43]
	v_cmp_ne_u32_e64 s[26:27], 1, v14
	s_cbranch_vccnz .LBB16_51
; %bb.47:                               ;   in Loop: Header=BB16_40 Depth=3
	v_mov_b32_e32 v36, 0
	s_and_b64 vcc, exec, s[26:27]
	s_cbranch_vccnz .LBB16_50
; %bb.48:                               ;   in Loop: Header=BB16_40 Depth=3
	v_mov_b32_e32 v14, v35
	s_mov_b32 s80, s54
	v_mov_b32_e32 v37, v27
.LBB16_49:                              ;   Parent Loop BB16_14 Depth=1
                                        ;     Parent Loop BB16_27 Depth=2
                                        ;       Parent Loop BB16_40 Depth=3
                                        ; =>      This Inner Loop Header: Depth=4
	v_ashrrev_i32_e32 v15, 31, v14
	v_lshlrev_b64 v[38:39], 2, v[14:15]
	v_mov_b32_e32 v40, s61
	v_add_co_u32_e32 v38, vcc, s60, v38
	v_addc_co_u32_e32 v39, vcc, v40, v39, vcc
	global_load_dword v15, v[38:39], off
	ds_read_b32 v38, v37
	s_add_i32 s80, s80, -1
	v_add_u32_e32 v37, 16, v37
	v_add_u32_e32 v14, 1, v14
	s_cmp_lg_u32 s80, 0
	s_waitcnt vmcnt(0) lgkmcnt(0)
	v_fmac_f32_e32 v36, v38, v15
	s_cbranch_scc1 .LBB16_49
.LBB16_50:                              ;   in Loop: Header=BB16_40 Depth=3
	s_cbranch_execnz .LBB16_37
	s_branch .LBB16_52
.LBB16_51:                              ;   in Loop: Header=BB16_40 Depth=3
                                        ; implicit-def: $vgpr36
.LBB16_52:                              ;   in Loop: Header=BB16_40 Depth=3
	v_mov_b32_e32 v36, 0
	s_and_b64 vcc, exec, s[26:27]
	s_cbranch_vccnz .LBB16_37
; %bb.53:                               ;   in Loop: Header=BB16_40 Depth=3
	v_mov_b32_e32 v37, v28
	v_mov_b32_e32 v14, v12
	s_mov_b32 s26, s54
.LBB16_54:                              ;   Parent Loop BB16_14 Depth=1
                                        ;     Parent Loop BB16_27 Depth=2
                                        ;       Parent Loop BB16_40 Depth=3
                                        ; =>      This Inner Loop Header: Depth=4
	v_ashrrev_i32_e32 v15, 31, v14
	v_lshlrev_b64 v[38:39], 2, v[14:15]
	v_mov_b32_e32 v40, s61
	v_add_co_u32_e32 v38, vcc, s60, v38
	v_addc_co_u32_e32 v39, vcc, v40, v39, vcc
	global_load_dword v15, v[38:39], off
	ds_read_b32 v38, v37
	s_add_i32 s26, s26, -1
	v_add_u32_e32 v37, 4, v37
	v_add_u32_e32 v14, s54, v14
	s_cmp_eq_u32 s26, 0
	s_waitcnt vmcnt(0) lgkmcnt(0)
	v_fmac_f32_e32 v36, v38, v15
	s_cbranch_scc0 .LBB16_54
	s_branch .LBB16_37
.LBB16_55:                              ;   in Loop: Header=BB16_27 Depth=2
	s_or_b64 exec, exec, s[72:73]
	v_mov_b32_e32 v10, v13
.LBB16_56:                              ;   in Loop: Header=BB16_27 Depth=2
	s_or_b64 exec, exec, s[70:71]
.LBB16_57:                              ;   in Loop: Header=BB16_27 Depth=2
	s_or_b64 exec, exec, s[68:69]
	s_waitcnt lgkmcnt(0)
	s_barrier
	s_and_saveexec_b64 s[26:27], s[24:25]
	s_cbranch_execz .LBB16_26
; %bb.58:                               ;   in Loop: Header=BB16_27 Depth=2
	v_ashrrev_i32_e32 v9, 31, v8
	v_lshlrev_b64 v[8:9], 2, v[8:9]
	v_mov_b32_e32 v11, s35
	v_add_co_u32_e32 v8, vcc, s34, v8
	v_addc_co_u32_e32 v9, vcc, v11, v9, vcc
	global_store_dword v[8:9], v10, off
	s_branch .LBB16_26
.LBB16_59:                              ;   in Loop: Header=BB16_27 Depth=2
                                        ; implicit-def: $vgpr10
	s_branch .LBB16_34
.LBB16_60:                              ;   in Loop: Header=BB16_14 Depth=1
	s_andn2_b64 vcc, exec, s[0:1]
	s_cbranch_vccnz .LBB16_72
; %bb.61:                               ;   in Loop: Header=BB16_14 Depth=1
	s_load_dwordx2 s[24:25], s[36:37], 0x0
	s_waitcnt lgkmcnt(0)
	s_sub_i32 s72, s25, s31
	v_add_u32_e32 v8, s24, v18
	v_cmp_gt_i32_e32 vcc, s72, v8
	s_and_saveexec_b64 s[66:67], vcc
	s_cbranch_execz .LBB16_71
; %bb.62:                               ;   in Loop: Header=BB16_14 Depth=1
	v_mad_u64_u32 v[10:11], s[24:25], s54, v8, v[0:1]
	v_mad_u64_u32 v[10:11], s[24:25], s54, v10, v[6:7]
	s_mov_b64 s[68:69], 0
	s_branch .LBB16_65
.LBB16_63:                              ;   in Loop: Header=BB16_65 Depth=2
	s_or_b64 exec, exec, s[70:71]
	s_or_b64 s[24:25], s[24:25], exec
.LBB16_64:                              ;   in Loop: Header=BB16_65 Depth=2
	s_or_b64 exec, exec, s[26:27]
	v_add_u32_e32 v8, 16, v8
	v_cmp_le_i32_e32 vcc, s72, v8
	s_xor_b64 s[24:25], s[24:25], -1
	s_or_b64 s[24:25], vcc, s[24:25]
	s_and_b64 s[24:25], exec, s[24:25]
	s_or_b64 s[68:69], s[24:25], s[68:69]
	v_add_u32_e32 v10, s84, v10
	s_andn2_b64 exec, exec, s[68:69]
	s_cbranch_execz .LBB16_70
.LBB16_65:                              ;   Parent Loop BB16_14 Depth=1
                                        ; =>  This Inner Loop Header: Depth=2
	v_ashrrev_i32_e32 v9, 31, v8
	v_lshlrev_b64 v[12:13], 2, v[8:9]
	v_mov_b32_e32 v9, s39
	v_add_co_u32_e32 v12, vcc, s38, v12
	v_addc_co_u32_e32 v13, vcc, v9, v13, vcc
	global_load_dword v9, v[12:13], off
	s_waitcnt vmcnt(0)
	v_subrev_u32_e32 v9, s31, v9
	v_cmp_gt_i32_e64 s[24:25], s85, v9
	v_cmp_ge_i32_e64 s[26:27], v9, v33
	v_cmp_lt_i32_e32 vcc, v9, v33
	s_or_b64 s[26:27], s[24:25], s[26:27]
                                        ; implicit-def: $sgpr24_sgpr25
	s_and_saveexec_b64 s[70:71], s[26:27]
	s_xor_b64 s[26:27], exec, s[70:71]
; %bb.66:                               ;   in Loop: Header=BB16_65 Depth=2
	v_min_i32_e32 v9, v9, v34
	v_cndmask_b32_e32 v34, v9, v34, vcc
	s_and_b64 s[24:25], vcc, exec
                                        ; implicit-def: $vgpr9
; %bb.67:                               ;   in Loop: Header=BB16_65 Depth=2
	s_andn2_saveexec_b64 s[26:27], s[26:27]
	s_cbranch_execz .LBB16_64
; %bb.68:                               ;   in Loop: Header=BB16_65 Depth=2
	v_subrev_u32_e32 v9, s85, v9
	v_lshlrev_b32_e32 v11, 2, v9
	ds_write_b32 v11, v32 offset:5120
	s_and_saveexec_b64 s[70:71], s[6:7]
	s_cbranch_execz .LBB16_63
; %bb.69:                               ;   in Loop: Header=BB16_65 Depth=2
	v_ashrrev_i32_e32 v11, 31, v10
	v_lshlrev_b64 v[12:13], 2, v[10:11]
	v_mov_b32_e32 v11, s41
	v_add_co_u32_e32 v12, vcc, s40, v12
	v_addc_co_u32_e32 v13, vcc, v11, v13, vcc
	global_load_dword v11, v[12:13], off
	v_lshlrev_b32_e32 v9, 4, v9
	v_or3_b32 v9, v9, v17, v2
	v_lshlrev_b32_e32 v9, 2, v9
	s_waitcnt vmcnt(0)
	v_mul_f32_e32 v11, v3, v11
	ds_add_f32 v9, v11
	s_branch .LBB16_63
.LBB16_70:                              ;   in Loop: Header=BB16_14 Depth=1
	s_or_b64 exec, exec, s[68:69]
.LBB16_71:                              ;   in Loop: Header=BB16_14 Depth=1
	s_or_b64 exec, exec, s[66:67]
.LBB16_72:                              ;   in Loop: Header=BB16_14 Depth=1
	s_and_saveexec_b64 s[24:25], s[8:9]
	s_cbranch_execz .LBB16_77
; %bb.73:                               ;   in Loop: Header=BB16_14 Depth=1
	s_mov_b64 s[26:27], exec
	s_brev_b32 s66, -2
.LBB16_74:                              ;   Parent Loop BB16_14 Depth=1
                                        ; =>  This Inner Loop Header: Depth=2
	s_ff1_i32_b64 s67, s[26:27]
	v_readlane_b32 s70, v34, s67
	s_lshl_b64 s[68:69], 1, s67
	s_min_i32 s66, s66, s70
	s_andn2_b64 s[26:27], s[26:27], s[68:69]
	s_cmp_lg_u64 s[26:27], 0
	s_cbranch_scc1 .LBB16_74
; %bb.75:                               ;   in Loop: Header=BB16_14 Depth=1
	v_mbcnt_lo_u32_b32 v8, exec_lo, 0
	v_mbcnt_hi_u32_b32 v8, exec_hi, v8
	v_cmp_eq_u32_e32 vcc, 0, v8
	s_and_saveexec_b64 s[26:27], vcc
	s_xor_b64 s[26:27], exec, s[26:27]
	s_cbranch_execz .LBB16_77
; %bb.76:                               ;   in Loop: Header=BB16_14 Depth=1
	v_mov_b32_e32 v8, s66
	ds_min_i32 v31, v8 offset:5376
.LBB16_77:                              ;   in Loop: Header=BB16_14 Depth=1
	s_or_b64 exec, exec, s[24:25]
	s_waitcnt lgkmcnt(0)
	s_barrier
	ds_read_b32 v8, v19
	s_waitcnt lgkmcnt(0)
	s_barrier
	s_and_saveexec_b64 s[24:25], s[12:13]
	s_cbranch_execz .LBB16_79
; %bb.78:                               ;   in Loop: Header=BB16_14 Depth=1
	ds_read_b32 v9, v20
	s_waitcnt lgkmcnt(0)
	v_add_u32_e32 v8, v9, v8
.LBB16_79:                              ;   in Loop: Header=BB16_14 Depth=1
	s_or_b64 exec, exec, s[24:25]
	s_barrier
	ds_write_b32 v19, v8
	s_waitcnt lgkmcnt(0)
	s_barrier
	s_and_saveexec_b64 s[24:25], s[14:15]
	s_cbranch_execz .LBB16_81
; %bb.80:                               ;   in Loop: Header=BB16_14 Depth=1
	ds_read_b32 v9, v22
	s_waitcnt lgkmcnt(0)
	v_add_u32_e32 v8, v9, v8
.LBB16_81:                              ;   in Loop: Header=BB16_14 Depth=1
	s_or_b64 exec, exec, s[24:25]
	s_barrier
	ds_write_b32 v19, v8
	;; [unrolled: 12-line block ×6, first 2 shown]
	s_waitcnt lgkmcnt(0)
	s_barrier
	ds_read_b32 v10, v31 offset:5372
	v_mov_b32_e32 v9, 0
	s_and_saveexec_b64 s[24:25], s[10:11]
	s_cbranch_execz .LBB16_91
; %bb.90:                               ;   in Loop: Header=BB16_14 Depth=1
	ds_read_b32 v9, v20
.LBB16_91:                              ;   in Loop: Header=BB16_14 Depth=1
	s_or_b64 exec, exec, s[24:25]
	s_waitcnt lgkmcnt(0)
	v_cmp_eq_u32_e32 vcc, v8, v9
	s_and_b64 s[26:27], s[10:11], vcc
	s_barrier
	s_and_saveexec_b64 s[24:25], s[26:27]
	s_cbranch_execz .LBB16_93
; %bb.92:                               ;   in Loop: Header=BB16_14 Depth=1
	ds_write_b32 v19, v31
.LBB16_93:                              ;   in Loop: Header=BB16_14 Depth=1
	s_or_b64 exec, exec, s[24:25]
	v_add_u32_e32 v11, -1, v30
	s_add_i32 s66, s30, s85
	s_mov_b64 s[24:25], 0
	v_mov_b32_e32 v12, v29
	v_mov_b32_e32 v13, v7
	v_mov_b32_e32 v14, v5
	s_waitcnt lgkmcnt(0)
	s_barrier
	s_branch .LBB16_95
.LBB16_94:                              ;   in Loop: Header=BB16_95 Depth=2
	s_or_b64 exec, exec, s[26:27]
	v_add_u32_e32 v8, 16, v14
	v_cmp_lt_u32_e32 vcc, 47, v14
	v_add_u32_e32 v13, 0x400, v13
	v_add_u32_e32 v12, 64, v12
	s_or_b64 s[24:25], vcc, s[24:25]
	v_mov_b32_e32 v14, v8
	s_andn2_b64 exec, exec, s[24:25]
	s_cbranch_execz .LBB16_13
.LBB16_95:                              ;   Parent Loop BB16_14 Depth=1
                                        ; =>  This Inner Loop Header: Depth=2
	ds_read_b32 v8, v12
	s_waitcnt lgkmcnt(0)
	v_cmp_ne_u32_e32 vcc, 0, v8
	s_and_saveexec_b64 s[26:27], vcc
	s_cbranch_execz .LBB16_94
; %bb.96:                               ;   in Loop: Header=BB16_95 Depth=2
	v_add_u32_e32 v8, v11, v8
	v_ashrrev_i32_e32 v9, 31, v8
	v_lshlrev_b64 v[34:35], 2, v[8:9]
	v_mov_b32_e32 v9, s57
	v_add_co_u32_e32 v34, vcc, s56, v34
	v_add_u32_e32 v15, s66, v14
	v_addc_co_u32_e32 v35, vcc, v9, v35, vcc
	global_store_dword v[34:35], v15, off
	s_and_b64 exec, exec, s[6:7]
	s_cbranch_execz .LBB16_94
; %bb.97:                               ;   in Loop: Header=BB16_95 Depth=2
	v_mad_u64_u32 v[8:9], s[68:69], v8, s54, v[0:1]
	ds_read_b32 v15, v13
	v_mad_u64_u32 v[8:9], s[68:69], v8, s54, v[6:7]
	v_ashrrev_i32_e32 v9, 31, v8
	v_lshlrev_b64 v[8:9], 2, v[8:9]
	v_mov_b32_e32 v33, s59
	v_add_co_u32_e32 v8, vcc, s58, v8
	v_addc_co_u32_e32 v9, vcc, v33, v9, vcc
	s_waitcnt lgkmcnt(0)
	global_store_dword v[8:9], v15, off
	s_branch .LBB16_94
.LBB16_98:
	s_endpgm
	.section	.rodata,"a",@progbits
	.p2align	6, 0x0
	.amdhsa_kernel _ZN9rocsparseL38bsrgemm_block_per_row_atomic_multipassILj256ELj64ELj4EiifEEv20rocsparse_direction_T3_S2_PKS2_S4_NS_24const_host_device_scalarIT4_EEPKT2_S4_PKS6_SA_S4_SC_S7_SA_S4_SC_SA_PS2_PS6_PS8_21rocsparse_index_base_SG_SG_SG_bbb
		.amdhsa_group_segment_fixed_size 5380
		.amdhsa_private_segment_fixed_size 0
		.amdhsa_kernarg_size 172
		.amdhsa_user_sgpr_count 6
		.amdhsa_user_sgpr_private_segment_buffer 1
		.amdhsa_user_sgpr_dispatch_ptr 0
		.amdhsa_user_sgpr_queue_ptr 0
		.amdhsa_user_sgpr_kernarg_segment_ptr 1
		.amdhsa_user_sgpr_dispatch_id 0
		.amdhsa_user_sgpr_flat_scratch_init 0
		.amdhsa_user_sgpr_kernarg_preload_length 0
		.amdhsa_user_sgpr_kernarg_preload_offset 0
		.amdhsa_user_sgpr_private_segment_size 0
		.amdhsa_uses_dynamic_stack 0
		.amdhsa_system_sgpr_private_segment_wavefront_offset 0
		.amdhsa_system_sgpr_workgroup_id_x 1
		.amdhsa_system_sgpr_workgroup_id_y 0
		.amdhsa_system_sgpr_workgroup_id_z 0
		.amdhsa_system_sgpr_workgroup_info 0
		.amdhsa_system_vgpr_workitem_id 0
		.amdhsa_next_free_vgpr 41
		.amdhsa_next_free_sgpr 87
		.amdhsa_accum_offset 44
		.amdhsa_reserve_vcc 1
		.amdhsa_reserve_flat_scratch 0
		.amdhsa_float_round_mode_32 0
		.amdhsa_float_round_mode_16_64 0
		.amdhsa_float_denorm_mode_32 3
		.amdhsa_float_denorm_mode_16_64 3
		.amdhsa_dx10_clamp 1
		.amdhsa_ieee_mode 1
		.amdhsa_fp16_overflow 0
		.amdhsa_tg_split 0
		.amdhsa_exception_fp_ieee_invalid_op 0
		.amdhsa_exception_fp_denorm_src 0
		.amdhsa_exception_fp_ieee_div_zero 0
		.amdhsa_exception_fp_ieee_overflow 0
		.amdhsa_exception_fp_ieee_underflow 0
		.amdhsa_exception_fp_ieee_inexact 0
		.amdhsa_exception_int_div_zero 0
	.end_amdhsa_kernel
	.section	.text._ZN9rocsparseL38bsrgemm_block_per_row_atomic_multipassILj256ELj64ELj4EiifEEv20rocsparse_direction_T3_S2_PKS2_S4_NS_24const_host_device_scalarIT4_EEPKT2_S4_PKS6_SA_S4_SC_S7_SA_S4_SC_SA_PS2_PS6_PS8_21rocsparse_index_base_SG_SG_SG_bbb,"axG",@progbits,_ZN9rocsparseL38bsrgemm_block_per_row_atomic_multipassILj256ELj64ELj4EiifEEv20rocsparse_direction_T3_S2_PKS2_S4_NS_24const_host_device_scalarIT4_EEPKT2_S4_PKS6_SA_S4_SC_S7_SA_S4_SC_SA_PS2_PS6_PS8_21rocsparse_index_base_SG_SG_SG_bbb,comdat
.Lfunc_end16:
	.size	_ZN9rocsparseL38bsrgemm_block_per_row_atomic_multipassILj256ELj64ELj4EiifEEv20rocsparse_direction_T3_S2_PKS2_S4_NS_24const_host_device_scalarIT4_EEPKT2_S4_PKS6_SA_S4_SC_S7_SA_S4_SC_SA_PS2_PS6_PS8_21rocsparse_index_base_SG_SG_SG_bbb, .Lfunc_end16-_ZN9rocsparseL38bsrgemm_block_per_row_atomic_multipassILj256ELj64ELj4EiifEEv20rocsparse_direction_T3_S2_PKS2_S4_NS_24const_host_device_scalarIT4_EEPKT2_S4_PKS6_SA_S4_SC_S7_SA_S4_SC_SA_PS2_PS6_PS8_21rocsparse_index_base_SG_SG_SG_bbb
                                        ; -- End function
	.section	.AMDGPU.csdata,"",@progbits
; Kernel info:
; codeLenInByte = 2916
; NumSgprs: 91
; NumVgprs: 41
; NumAgprs: 0
; TotalNumVgprs: 41
; ScratchSize: 0
; MemoryBound: 0
; FloatMode: 240
; IeeeMode: 1
; LDSByteSize: 5380 bytes/workgroup (compile time only)
; SGPRBlocks: 11
; VGPRBlocks: 5
; NumSGPRsForWavesPerEU: 91
; NumVGPRsForWavesPerEU: 41
; AccumOffset: 44
; Occupancy: 8
; WaveLimiterHint : 1
; COMPUTE_PGM_RSRC2:SCRATCH_EN: 0
; COMPUTE_PGM_RSRC2:USER_SGPR: 6
; COMPUTE_PGM_RSRC2:TRAP_HANDLER: 0
; COMPUTE_PGM_RSRC2:TGID_X_EN: 1
; COMPUTE_PGM_RSRC2:TGID_Y_EN: 0
; COMPUTE_PGM_RSRC2:TGID_Z_EN: 0
; COMPUTE_PGM_RSRC2:TIDIG_COMP_CNT: 0
; COMPUTE_PGM_RSRC3_GFX90A:ACCUM_OFFSET: 10
; COMPUTE_PGM_RSRC3_GFX90A:TG_SPLIT: 0
	.section	.text._ZN9rocsparseL38bsrgemm_block_per_row_atomic_multipassILj256ELj128ELj4EiifEEv20rocsparse_direction_T3_S2_PKS2_S4_NS_24const_host_device_scalarIT4_EEPKT2_S4_PKS6_SA_S4_SC_S7_SA_S4_SC_SA_PS2_PS6_PS8_21rocsparse_index_base_SG_SG_SG_bbb,"axG",@progbits,_ZN9rocsparseL38bsrgemm_block_per_row_atomic_multipassILj256ELj128ELj4EiifEEv20rocsparse_direction_T3_S2_PKS2_S4_NS_24const_host_device_scalarIT4_EEPKT2_S4_PKS6_SA_S4_SC_S7_SA_S4_SC_SA_PS2_PS6_PS8_21rocsparse_index_base_SG_SG_SG_bbb,comdat
	.globl	_ZN9rocsparseL38bsrgemm_block_per_row_atomic_multipassILj256ELj128ELj4EiifEEv20rocsparse_direction_T3_S2_PKS2_S4_NS_24const_host_device_scalarIT4_EEPKT2_S4_PKS6_SA_S4_SC_S7_SA_S4_SC_SA_PS2_PS6_PS8_21rocsparse_index_base_SG_SG_SG_bbb ; -- Begin function _ZN9rocsparseL38bsrgemm_block_per_row_atomic_multipassILj256ELj128ELj4EiifEEv20rocsparse_direction_T3_S2_PKS2_S4_NS_24const_host_device_scalarIT4_EEPKT2_S4_PKS6_SA_S4_SC_S7_SA_S4_SC_SA_PS2_PS6_PS8_21rocsparse_index_base_SG_SG_SG_bbb
	.p2align	8
	.type	_ZN9rocsparseL38bsrgemm_block_per_row_atomic_multipassILj256ELj128ELj4EiifEEv20rocsparse_direction_T3_S2_PKS2_S4_NS_24const_host_device_scalarIT4_EEPKT2_S4_PKS6_SA_S4_SC_S7_SA_S4_SC_SA_PS2_PS6_PS8_21rocsparse_index_base_SG_SG_SG_bbb,@function
_ZN9rocsparseL38bsrgemm_block_per_row_atomic_multipassILj256ELj128ELj4EiifEEv20rocsparse_direction_T3_S2_PKS2_S4_NS_24const_host_device_scalarIT4_EEPKT2_S4_PKS6_SA_S4_SC_S7_SA_S4_SC_SA_PS2_PS6_PS8_21rocsparse_index_base_SG_SG_SG_bbb: ; @_ZN9rocsparseL38bsrgemm_block_per_row_atomic_multipassILj256ELj128ELj4EiifEEv20rocsparse_direction_T3_S2_PKS2_S4_NS_24const_host_device_scalarIT4_EEPKT2_S4_PKS6_SA_S4_SC_S7_SA_S4_SC_SA_PS2_PS6_PS8_21rocsparse_index_base_SG_SG_SG_bbb
; %bb.0:
	s_load_dword s7, s[4:5], 0xa8
	s_load_dwordx4 s[52:55], s[4:5], 0x98
	s_load_dwordx2 s[0:1], s[4:5], 0x20
	s_load_dwordx2 s[8:9], s[4:5], 0x58
	s_waitcnt lgkmcnt(0)
	s_bitcmp1_b32 s7, 0
	s_cselect_b64 s[26:27], -1, 0
	s_bitcmp1_b32 s7, 16
	s_cselect_b64 s[10:11], -1, 0
	s_xor_b64 s[2:3], s[26:27], -1
	s_or_b64 s[2:3], s[2:3], s[10:11]
	s_and_b64 vcc, exec, s[2:3]
	s_cbranch_vccnz .LBB17_2
; %bb.1:
	s_load_dword s0, s[0:1], 0x0
	s_waitcnt lgkmcnt(0)
	v_mov_b32_e32 v1, s0
	s_branch .LBB17_3
.LBB17_2:
	v_mov_b32_e32 v1, s0
	v_cndmask_b32_e64 v1, 0, v1, s[26:27]
.LBB17_3:
	s_load_dwordx2 s[2:3], s[4:5], 0x18
	s_bitcmp1_b32 s7, 8
	s_cselect_b64 s[0:1], -1, 0
	s_xor_b64 s[12:13], s[0:1], -1
	s_or_b64 s[10:11], s[12:13], s[10:11]
	s_and_b64 vcc, exec, s[10:11]
	s_cbranch_vccnz .LBB17_5
; %bb.4:
	s_load_dword s7, s[8:9], 0x0
	s_waitcnt lgkmcnt(0)
	v_mov_b32_e32 v3, s7
	s_load_dwordx2 s[8:9], s[4:5], 0x28
	s_cmp_eq_u64 s[2:3], 0
	s_cbranch_scc0 .LBB17_6
	s_branch .LBB17_7
.LBB17_5:
	v_mov_b32_e32 v2, s8
	v_cndmask_b32_e64 v3, 0, v2, s[0:1]
	s_load_dwordx2 s[8:9], s[4:5], 0x28
	s_waitcnt lgkmcnt(0)
	s_cmp_eq_u64 s[2:3], 0
	s_cbranch_scc1 .LBB17_7
.LBB17_6:
	s_load_dwordx2 s[10:11], s[4:5], 0x10
	s_waitcnt lgkmcnt(0)
	s_load_dword s7, s[10:11], 0x0
	s_waitcnt lgkmcnt(0)
	s_add_i32 s6, s7, s6
	s_mov_b32 s7, 0
	s_lshl_b64 s[6:7], s[6:7], 2
	s_add_u32 s2, s2, s6
	s_addc_u32 s3, s3, s7
	s_load_dword s6, s[2:3], 0x0
.LBB17_7:
	v_cndmask_b32_e64 v2, 0, 1, s[26:27]
	s_mov_b32 s33, 0
	v_cmp_ne_u32_e64 s[2:3], 1, v2
	s_andn2_b64 vcc, exec, s[26:27]
	s_mov_b32 s84, 0
	s_cbranch_vccz .LBB17_10
; %bb.8:
	s_and_b64 vcc, exec, s[2:3]
	s_cbranch_vccz .LBB17_11
.LBB17_9:
	s_load_dwordx4 s[56:59], s[4:5], 0x0
	s_waitcnt lgkmcnt(0)
	s_cmp_lt_i32 s57, 1
	s_cbranch_scc0 .LBB17_12
	s_branch .LBB17_100
.LBB17_10:
	s_waitcnt lgkmcnt(0)
	s_ashr_i32 s7, s6, 31
	s_lshl_b64 s[10:11], s[6:7], 2
	s_add_u32 s10, s8, s10
	s_addc_u32 s11, s9, s11
	s_load_dword s7, s[10:11], 0x0
	s_waitcnt lgkmcnt(0)
	s_sub_i32 s84, s7, s52
	s_and_b64 vcc, exec, s[2:3]
	s_cbranch_vccnz .LBB17_9
.LBB17_11:
	s_waitcnt lgkmcnt(0)
	s_ashr_i32 s7, s6, 31
	s_lshl_b64 s[2:3], s[6:7], 2
	s_add_u32 s2, s8, s2
	s_addc_u32 s3, s9, s3
	s_load_dword s2, s[2:3], 0x4
	s_waitcnt lgkmcnt(0)
	s_sub_i32 s33, s2, s52
	s_load_dwordx4 s[56:59], s[4:5], 0x0
	s_waitcnt lgkmcnt(0)
	s_cmp_lt_i32 s57, 1
	s_cbranch_scc1 .LBB17_100
.LBB17_12:
	s_load_dwordx2 s[34:35], s[4:5], 0x90
	s_load_dwordx4 s[60:63], s[4:5], 0x80
	s_load_dwordx8 s[36:43], s[4:5], 0x60
	s_load_dwordx2 s[64:65], s[4:5], 0x50
	s_load_dwordx8 s[44:51], s[4:5], 0x30
	s_ashr_i32 s7, s6, 31
	s_lshl_b64 s[8:9], s[6:7], 2
	s_waitcnt lgkmcnt(0)
	s_add_u32 s2, s42, s8
	s_addc_u32 s3, s43, s9
	s_load_dword s2, s[2:3], 0x0
	v_and_b32_e32 v2, 3, v0
	v_bfe_u32 v4, v0, 2, 2
	v_max_i32_e32 v7, v2, v4
	v_and_b32_e32 v6, 15, v0
	s_waitcnt lgkmcnt(0)
	s_sub_i32 s30, s2, s54
	s_cmp_lt_i32 s84, s33
	s_movk_i32 s2, 0x80
	s_cselect_b64 s[28:29], -1, 0
	s_cmp_eq_u32 s56, 0
	v_lshrrev_b32_e32 v5, 4, v0
	v_cmp_gt_u32_e64 s[2:3], s2, v0
	v_cmp_eq_u32_e64 s[4:5], 0, v0
	v_cmp_gt_i32_e64 s[6:7], s58, v7
	v_lshlrev_b32_e32 v7, 2, v0
	s_cselect_b64 vcc, -1, 0
	s_cmp_lg_u32 s56, 0
	v_and_b32_e32 v17, 12, v0
	v_and_b32_e32 v0, 0x7f, v0
	s_cselect_b64 s[42:43], -1, 0
	s_cmp_gt_i32 s58, 0
	v_add_co_u32_e64 v8, s[10:11], -1, v0
	v_mov_b32_e32 v9, 0x2400
	s_movk_i32 s31, 0x2000
	s_cselect_b64 s[66:67], -1, 0
	s_add_u32 s36, s36, s8
	v_lshl_add_u32 v20, v8, 2, v9
	v_lshlrev_b32_e32 v8, 6, v5
	s_addc_u32 s37, s37, s9
	s_and_b64 s[26:27], s[26:27], s[28:29]
	v_or3_b32 v28, v8, v17, s31
	v_and_b32_e32 v8, 0x3f0, v7
	v_cmp_eq_u32_e64 s[8:9], 15, v6
	v_lshlrev_b32_e32 v6, 2, v0
	s_add_u32 s56, s48, 4
	s_mul_i32 s85, s58, s58
	v_or_b32_e32 v29, 0x2000, v8
	v_cndmask_b32_e64 v8, 0, 1, s[26:27]
	s_mov_b32 s88, 0
	v_or_b32_e32 v16, 0x2000, v7
	v_subrev_u32_e32 v18, s55, v5
	v_or_b32_e32 v19, 0x2400, v6
	v_or_b32_e32 v21, 0x2400, v7
	v_cmp_ne_u32_e64 s[12:13], 0, v0
	v_cmp_lt_u32_e64 s[14:15], 1, v0
	v_add_u32_e32 v22, 0x23f8, v6
	v_cmp_lt_u32_e64 s[16:17], 3, v0
	v_add_u32_e32 v23, 0x23f0, v6
	;; [unrolled: 2-line block ×6, first 2 shown]
	v_cndmask_b32_e32 v0, v2, v4, vcc
	v_cndmask_b32_e32 v6, v4, v2, vcc
	s_addc_u32 s59, s49, 0
	s_lshl_b32 s86, s85, 4
	v_lshl_or_b32 v30, v5, 2, v9
	v_mov_b32_e32 v34, 0x80
	v_mov_b32_e32 v31, s30
	;; [unrolled: 1-line block ×3, first 2 shown]
	v_cmp_ne_u32_e64 s[26:27], 1, v8
	v_mov_b32_e32 v33, 1
	s_movk_i32 s87, 0x6f
	s_branch .LBB17_14
.LBB17_13:                              ;   in Loop: Header=BB17_14 Depth=1
	s_or_b64 exec, exec, s[28:29]
	s_barrier
	ds_read_b32 v8, v32 offset:9728
	v_add_u32_e32 v31, v10, v31
	s_waitcnt lgkmcnt(0)
	s_barrier
	v_cmp_le_i32_e32 vcc, s57, v8
	v_readfirstlane_b32 s88, v8
	v_add_u32_e32 v34, 0x80, v8
	s_cbranch_vccnz .LBB17_100
.LBB17_14:                              ; =>This Loop Header: Depth=1
                                        ;     Child Loop BB17_18 Depth 2
                                        ;     Child Loop BB17_27 Depth 2
                                        ;       Child Loop BB17_40 Depth 3
                                        ;         Child Loop BB17_49 Depth 4
                                        ;         Child Loop BB17_54 Depth 4
                                        ;     Child Loop BB17_65 Depth 2
                                        ;     Child Loop BB17_74 Depth 2
	;; [unrolled: 1-line block ×3, first 2 shown]
	s_and_saveexec_b64 s[28:29], s[2:3]
	s_cbranch_execz .LBB17_16
; %bb.15:                               ;   in Loop: Header=BB17_14 Depth=1
	ds_write_b32 v21, v32
.LBB17_16:                              ;   in Loop: Header=BB17_14 Depth=1
	s_or_b64 exec, exec, s[28:29]
	s_mov_b32 s70, 0
	s_mov_b64 s[28:29], 0
	v_mov_b32_e32 v8, v7
	s_branch .LBB17_18
.LBB17_17:                              ;   in Loop: Header=BB17_18 Depth=2
	s_or_b64 exec, exec, s[68:69]
	s_add_i32 s70, s70, 2
	v_cmp_eq_u32_e64 s[30:31], 8, s70
	s_or_b64 s[28:29], s[30:31], s[28:29]
	v_add_u32_e32 v8, 0x800, v8
	s_andn2_b64 exec, exec, s[28:29]
	s_cbranch_execz .LBB17_22
.LBB17_18:                              ;   Parent Loop BB17_14 Depth=1
                                        ; =>  This Inner Loop Header: Depth=2
	s_or_b32 s30, s70, 1
	v_cmp_le_u32_e64 s[30:31], s30, 7
	v_cmp_le_u32_e64 s[72:73], s70, 7
	s_and_saveexec_b64 s[68:69], s[72:73]
	s_cbranch_execz .LBB17_20
; %bb.19:                               ;   in Loop: Header=BB17_18 Depth=2
	ds_write_b32 v8, v32
.LBB17_20:                              ;   in Loop: Header=BB17_18 Depth=2
	s_or_b64 exec, exec, s[68:69]
	s_and_saveexec_b64 s[68:69], s[30:31]
	s_cbranch_execz .LBB17_17
; %bb.21:                               ;   in Loop: Header=BB17_18 Depth=2
	ds_write_b32 v8, v32 offset:1024
	s_branch .LBB17_17
.LBB17_22:                              ;   in Loop: Header=BB17_14 Depth=1
	s_or_b64 exec, exec, s[28:29]
	s_and_saveexec_b64 s[28:29], s[4:5]
	s_cbranch_execz .LBB17_24
; %bb.23:                               ;   in Loop: Header=BB17_14 Depth=1
	v_mov_b32_e32 v8, s57
	ds_write_b32 v32, v8 offset:9728
.LBB17_24:                              ;   in Loop: Header=BB17_14 Depth=1
	s_or_b64 exec, exec, s[28:29]
	s_and_b64 vcc, exec, s[26:27]
	v_mov_b32_e32 v35, s57
	s_waitcnt lgkmcnt(0)
	s_barrier
	s_cbranch_vccnz .LBB17_60
; %bb.25:                               ;   in Loop: Header=BB17_14 Depth=1
	s_cmp_lg_u32 s88, 0
	s_cselect_b64 s[68:69], -1, 0
	v_mov_b32_e32 v35, s57
	s_mov_b32 s89, s84
	s_branch .LBB17_27
.LBB17_26:                              ;   in Loop: Header=BB17_27 Depth=2
	s_or_b64 exec, exec, s[30:31]
	s_add_i32 s89, s89, 16
	s_cmp_lt_i32 s89, s33
	s_cbranch_scc0 .LBB17_60
.LBB17_27:                              ;   Parent Loop BB17_14 Depth=1
                                        ; =>  This Loop Header: Depth=2
                                        ;       Child Loop BB17_40 Depth 3
                                        ;         Child Loop BB17_49 Depth 4
                                        ;         Child Loop BB17_54 Depth 4
	v_add_u32_e32 v8, s89, v5
	v_cmp_gt_i32_e64 s[28:29], s33, v8
	s_barrier
	s_and_saveexec_b64 s[30:31], s[28:29]
	s_cbranch_execz .LBB17_31
; %bb.28:                               ;   in Loop: Header=BB17_27 Depth=2
	v_mov_b32_e32 v9, 0
	s_and_saveexec_b64 s[70:71], s[6:7]
	s_cbranch_execz .LBB17_30
; %bb.29:                               ;   in Loop: Header=BB17_27 Depth=2
	v_mad_u64_u32 v[10:11], s[72:73], v8, s58, v[4:5]
	v_mad_u64_u32 v[10:11], s[72:73], v10, s58, v[2:3]
	v_ashrrev_i32_e32 v11, 31, v10
	v_lshlrev_b64 v[10:11], 2, v[10:11]
	v_mov_b32_e32 v9, s47
	v_add_co_u32_e32 v10, vcc, s46, v10
	v_addc_co_u32_e32 v11, vcc, v9, v11, vcc
	global_load_dword v9, v[10:11], off
.LBB17_30:                              ;   in Loop: Header=BB17_27 Depth=2
	s_or_b64 exec, exec, s[70:71]
	s_waitcnt vmcnt(0)
	ds_write_b32 v16, v9
.LBB17_31:                              ;   in Loop: Header=BB17_27 Depth=2
	s_or_b64 exec, exec, s[30:31]
	v_mov_b32_e32 v10, 0
	s_waitcnt lgkmcnt(0)
	s_barrier
	s_and_saveexec_b64 s[70:71], s[28:29]
	s_cbranch_execz .LBB17_57
; %bb.32:                               ;   in Loop: Header=BB17_27 Depth=2
	v_ashrrev_i32_e32 v9, 31, v8
	v_lshlrev_b64 v[10:11], 2, v[8:9]
	v_mov_b32_e32 v9, s45
	v_add_co_u32_e32 v12, vcc, s44, v10
	v_addc_co_u32_e32 v13, vcc, v9, v11, vcc
	global_load_dword v9, v[12:13], off
	s_and_b64 vcc, exec, s[68:69]
	s_waitcnt vmcnt(0)
	v_subrev_u32_e32 v12, s52, v9
	v_ashrrev_i32_e32 v13, 31, v12
	s_cbranch_vccz .LBB17_59
; %bb.33:                               ;   in Loop: Header=BB17_27 Depth=2
	v_mov_b32_e32 v9, s35
	v_add_co_u32_e32 v10, vcc, s34, v10
	v_addc_co_u32_e32 v11, vcc, v9, v11, vcc
	global_load_dword v10, v[10:11], off
	s_cbranch_execnz .LBB17_35
.LBB17_34:                              ;   in Loop: Header=BB17_27 Depth=2
	s_waitcnt vmcnt(0)
	v_lshlrev_b64 v[10:11], 2, v[12:13]
	v_mov_b32_e32 v9, s49
	v_add_co_u32_e32 v10, vcc, s48, v10
	v_addc_co_u32_e32 v11, vcc, v9, v11, vcc
	global_load_dword v9, v[10:11], off
	s_waitcnt vmcnt(0)
	v_subrev_u32_e32 v10, s53, v9
.LBB17_35:                              ;   in Loop: Header=BB17_27 Depth=2
	v_lshlrev_b64 v[12:13], 2, v[12:13]
	v_mov_b32_e32 v9, s59
	v_add_co_u32_e32 v12, vcc, s56, v12
	v_addc_co_u32_e32 v13, vcc, v9, v13, vcc
	global_load_dword v9, v[12:13], off
	s_waitcnt vmcnt(0)
	v_subrev_u32_e32 v9, s53, v9
	v_cmp_lt_i32_e32 vcc, v10, v9
	s_and_saveexec_b64 s[72:73], vcc
	s_cbranch_execz .LBB17_56
; %bb.36:                               ;   in Loop: Header=BB17_27 Depth=2
	v_mad_u64_u32 v[12:13], s[30:31], s58, v10, v[2:3]
	v_mul_lo_u32 v36, s58, v12
	v_mad_u64_u32 v[12:13], s[30:31], s85, v10, v[2:3]
	s_mov_b64 s[74:75], 0
	v_mov_b32_e32 v13, v10
	s_branch .LBB17_40
.LBB17_37:                              ;   in Loop: Header=BB17_40 Depth=3
	v_lshlrev_b32_e32 v11, 4, v11
	v_or3_b32 v11, v11, v17, v2
	v_lshlrev_b32_e32 v11, 2, v11
	v_mul_f32_e32 v14, v1, v37
	ds_add_f32 v11, v14
.LBB17_38:                              ;   in Loop: Header=BB17_40 Depth=3
	s_or_b64 exec, exec, s[80:81]
	s_or_b64 s[76:77], s[76:77], exec
.LBB17_39:                              ;   in Loop: Header=BB17_40 Depth=3
	s_or_b64 exec, exec, s[78:79]
	v_add_u32_e32 v10, 1, v10
	v_cmp_ge_i32_e32 vcc, v10, v9
	s_xor_b64 s[30:31], s[76:77], -1
	s_or_b64 s[30:31], s[30:31], vcc
	s_and_b64 s[30:31], exec, s[30:31]
	v_add_u32_e32 v36, s85, v36
	s_or_b64 s[74:75], s[30:31], s[74:75]
	v_add_u32_e32 v12, s85, v12
	s_andn2_b64 exec, exec, s[74:75]
	s_cbranch_execz .LBB17_55
.LBB17_40:                              ;   Parent Loop BB17_14 Depth=1
                                        ;     Parent Loop BB17_27 Depth=2
                                        ; =>    This Loop Header: Depth=3
                                        ;         Child Loop BB17_49 Depth 4
                                        ;         Child Loop BB17_54 Depth 4
	v_ashrrev_i32_e32 v11, 31, v10
	v_lshlrev_b64 v[14:15], 2, v[10:11]
	v_mov_b32_e32 v11, s51
	v_add_co_u32_e32 v14, vcc, s50, v14
	v_addc_co_u32_e32 v15, vcc, v11, v15, vcc
	global_load_dword v11, v[14:15], off
                                        ; implicit-def: $sgpr76_sgpr77
	s_waitcnt vmcnt(0)
	v_subrev_u32_e32 v11, s53, v11
	v_cmp_gt_i32_e64 s[30:31], s88, v11
	v_cmp_ge_i32_e32 vcc, v11, v34
	s_or_b64 s[30:31], s[30:31], vcc
	s_and_saveexec_b64 s[78:79], s[30:31]
	s_xor_b64 s[30:31], exec, s[78:79]
	s_cbranch_execz .LBB17_44
; %bb.41:                               ;   in Loop: Header=BB17_40 Depth=3
	s_mov_b64 s[76:77], -1
	s_and_saveexec_b64 s[78:79], vcc
; %bb.42:                               ;   in Loop: Header=BB17_40 Depth=3
	v_min_i32_e32 v35, v11, v35
	s_xor_b64 s[76:77], exec, -1
	v_mov_b32_e32 v13, v10
; %bb.43:                               ;   in Loop: Header=BB17_40 Depth=3
	s_or_b64 exec, exec, s[78:79]
	s_and_b64 s[76:77], s[76:77], exec
                                        ; implicit-def: $vgpr11
.LBB17_44:                              ;   in Loop: Header=BB17_40 Depth=3
	s_andn2_saveexec_b64 s[78:79], s[30:31]
	s_cbranch_execz .LBB17_39
; %bb.45:                               ;   in Loop: Header=BB17_40 Depth=3
	v_subrev_u32_e32 v11, s88, v11
	v_lshlrev_b32_e32 v14, 2, v11
	ds_write_b32 v14, v33 offset:9216
	s_and_saveexec_b64 s[80:81], s[6:7]
	s_cbranch_execz .LBB17_38
; %bb.46:                               ;   in Loop: Header=BB17_40 Depth=3
	v_cndmask_b32_e64 v14, 0, 1, s[66:67]
	s_andn2_b64 vcc, exec, s[42:43]
	v_cmp_ne_u32_e64 s[30:31], 1, v14
	s_cbranch_vccnz .LBB17_51
; %bb.47:                               ;   in Loop: Header=BB17_40 Depth=3
	v_mov_b32_e32 v37, 0
	s_and_b64 vcc, exec, s[30:31]
	s_cbranch_vccnz .LBB17_50
; %bb.48:                               ;   in Loop: Header=BB17_40 Depth=3
	v_mov_b32_e32 v14, v36
	s_mov_b32 s82, s58
	v_mov_b32_e32 v38, v28
.LBB17_49:                              ;   Parent Loop BB17_14 Depth=1
                                        ;     Parent Loop BB17_27 Depth=2
                                        ;       Parent Loop BB17_40 Depth=3
                                        ; =>      This Inner Loop Header: Depth=4
	v_ashrrev_i32_e32 v15, 31, v14
	v_lshlrev_b64 v[40:41], 2, v[14:15]
	v_mov_b32_e32 v39, s65
	v_add_co_u32_e32 v40, vcc, s64, v40
	v_addc_co_u32_e32 v41, vcc, v39, v41, vcc
	global_load_dword v15, v[40:41], off
	ds_read_b32 v39, v38
	s_add_i32 s82, s82, -1
	v_add_u32_e32 v38, 16, v38
	v_add_u32_e32 v14, 1, v14
	s_cmp_lg_u32 s82, 0
	s_waitcnt vmcnt(0) lgkmcnt(0)
	v_fmac_f32_e32 v37, v39, v15
	s_cbranch_scc1 .LBB17_49
.LBB17_50:                              ;   in Loop: Header=BB17_40 Depth=3
	s_cbranch_execnz .LBB17_37
	s_branch .LBB17_52
.LBB17_51:                              ;   in Loop: Header=BB17_40 Depth=3
                                        ; implicit-def: $vgpr37
.LBB17_52:                              ;   in Loop: Header=BB17_40 Depth=3
	v_mov_b32_e32 v37, 0
	s_and_b64 vcc, exec, s[30:31]
	s_cbranch_vccnz .LBB17_37
; %bb.53:                               ;   in Loop: Header=BB17_40 Depth=3
	v_mov_b32_e32 v38, v29
	v_mov_b32_e32 v14, v12
	s_mov_b32 s30, s58
.LBB17_54:                              ;   Parent Loop BB17_14 Depth=1
                                        ;     Parent Loop BB17_27 Depth=2
                                        ;       Parent Loop BB17_40 Depth=3
                                        ; =>      This Inner Loop Header: Depth=4
	v_ashrrev_i32_e32 v15, 31, v14
	v_lshlrev_b64 v[40:41], 2, v[14:15]
	v_mov_b32_e32 v39, s65
	v_add_co_u32_e32 v40, vcc, s64, v40
	v_addc_co_u32_e32 v41, vcc, v39, v41, vcc
	global_load_dword v15, v[40:41], off
	ds_read_b32 v39, v38
	s_add_i32 s30, s30, -1
	v_add_u32_e32 v38, 4, v38
	v_add_u32_e32 v14, s58, v14
	s_cmp_eq_u32 s30, 0
	s_waitcnt vmcnt(0) lgkmcnt(0)
	v_fmac_f32_e32 v37, v39, v15
	s_cbranch_scc0 .LBB17_54
	s_branch .LBB17_37
.LBB17_55:                              ;   in Loop: Header=BB17_27 Depth=2
	s_or_b64 exec, exec, s[74:75]
	v_mov_b32_e32 v10, v13
.LBB17_56:                              ;   in Loop: Header=BB17_27 Depth=2
	s_or_b64 exec, exec, s[72:73]
.LBB17_57:                              ;   in Loop: Header=BB17_27 Depth=2
	s_or_b64 exec, exec, s[70:71]
	s_waitcnt lgkmcnt(0)
	s_barrier
	s_and_saveexec_b64 s[30:31], s[28:29]
	s_cbranch_execz .LBB17_26
; %bb.58:                               ;   in Loop: Header=BB17_27 Depth=2
	v_ashrrev_i32_e32 v9, 31, v8
	v_lshlrev_b64 v[8:9], 2, v[8:9]
	v_mov_b32_e32 v11, s35
	v_add_co_u32_e32 v8, vcc, s34, v8
	v_addc_co_u32_e32 v9, vcc, v11, v9, vcc
	global_store_dword v[8:9], v10, off
	s_branch .LBB17_26
.LBB17_59:                              ;   in Loop: Header=BB17_27 Depth=2
                                        ; implicit-def: $vgpr10
	s_branch .LBB17_34
.LBB17_60:                              ;   in Loop: Header=BB17_14 Depth=1
	s_andn2_b64 vcc, exec, s[0:1]
	s_cbranch_vccnz .LBB17_72
; %bb.61:                               ;   in Loop: Header=BB17_14 Depth=1
	s_load_dwordx2 s[28:29], s[36:37], 0x0
	s_waitcnt lgkmcnt(0)
	s_sub_i32 s74, s29, s55
	v_add_u32_e32 v8, s28, v18
	v_cmp_gt_i32_e32 vcc, s74, v8
	s_and_saveexec_b64 s[68:69], vcc
	s_cbranch_execz .LBB17_71
; %bb.62:                               ;   in Loop: Header=BB17_14 Depth=1
	v_mad_u64_u32 v[10:11], s[28:29], s58, v8, v[0:1]
	v_mad_u64_u32 v[10:11], s[28:29], s58, v10, v[6:7]
	s_mov_b64 s[70:71], 0
	s_branch .LBB17_65
.LBB17_63:                              ;   in Loop: Header=BB17_65 Depth=2
	s_or_b64 exec, exec, s[72:73]
	s_or_b64 s[28:29], s[28:29], exec
.LBB17_64:                              ;   in Loop: Header=BB17_65 Depth=2
	s_or_b64 exec, exec, s[30:31]
	v_add_u32_e32 v8, 16, v8
	v_cmp_le_i32_e32 vcc, s74, v8
	s_xor_b64 s[28:29], s[28:29], -1
	s_or_b64 s[28:29], vcc, s[28:29]
	s_and_b64 s[28:29], exec, s[28:29]
	s_or_b64 s[70:71], s[28:29], s[70:71]
	v_add_u32_e32 v10, s86, v10
	s_andn2_b64 exec, exec, s[70:71]
	s_cbranch_execz .LBB17_70
.LBB17_65:                              ;   Parent Loop BB17_14 Depth=1
                                        ; =>  This Inner Loop Header: Depth=2
	v_ashrrev_i32_e32 v9, 31, v8
	v_lshlrev_b64 v[12:13], 2, v[8:9]
	v_mov_b32_e32 v9, s39
	v_add_co_u32_e32 v12, vcc, s38, v12
	v_addc_co_u32_e32 v13, vcc, v9, v13, vcc
	global_load_dword v9, v[12:13], off
	s_waitcnt vmcnt(0)
	v_subrev_u32_e32 v9, s55, v9
	v_cmp_gt_i32_e64 s[28:29], s88, v9
	v_cmp_ge_i32_e64 s[30:31], v9, v34
	v_cmp_lt_i32_e32 vcc, v9, v34
	s_or_b64 s[30:31], s[28:29], s[30:31]
                                        ; implicit-def: $sgpr28_sgpr29
	s_and_saveexec_b64 s[72:73], s[30:31]
	s_xor_b64 s[30:31], exec, s[72:73]
; %bb.66:                               ;   in Loop: Header=BB17_65 Depth=2
	v_min_i32_e32 v9, v9, v35
	v_cndmask_b32_e32 v35, v9, v35, vcc
	s_and_b64 s[28:29], vcc, exec
                                        ; implicit-def: $vgpr9
; %bb.67:                               ;   in Loop: Header=BB17_65 Depth=2
	s_andn2_saveexec_b64 s[30:31], s[30:31]
	s_cbranch_execz .LBB17_64
; %bb.68:                               ;   in Loop: Header=BB17_65 Depth=2
	v_subrev_u32_e32 v9, s88, v9
	v_lshlrev_b32_e32 v11, 2, v9
	ds_write_b32 v11, v33 offset:9216
	s_and_saveexec_b64 s[72:73], s[6:7]
	s_cbranch_execz .LBB17_63
; %bb.69:                               ;   in Loop: Header=BB17_65 Depth=2
	v_ashrrev_i32_e32 v11, 31, v10
	v_lshlrev_b64 v[12:13], 2, v[10:11]
	v_mov_b32_e32 v11, s41
	v_add_co_u32_e32 v12, vcc, s40, v12
	v_addc_co_u32_e32 v13, vcc, v11, v13, vcc
	global_load_dword v11, v[12:13], off
	v_lshlrev_b32_e32 v9, 4, v9
	v_or3_b32 v9, v9, v17, v2
	v_lshlrev_b32_e32 v9, 2, v9
	s_waitcnt vmcnt(0)
	v_mul_f32_e32 v11, v3, v11
	ds_add_f32 v9, v11
	s_branch .LBB17_63
.LBB17_70:                              ;   in Loop: Header=BB17_14 Depth=1
	s_or_b64 exec, exec, s[70:71]
.LBB17_71:                              ;   in Loop: Header=BB17_14 Depth=1
	s_or_b64 exec, exec, s[68:69]
.LBB17_72:                              ;   in Loop: Header=BB17_14 Depth=1
	s_and_saveexec_b64 s[28:29], s[8:9]
	s_cbranch_execz .LBB17_77
; %bb.73:                               ;   in Loop: Header=BB17_14 Depth=1
	s_mov_b64 s[30:31], exec
	s_brev_b32 s68, -2
.LBB17_74:                              ;   Parent Loop BB17_14 Depth=1
                                        ; =>  This Inner Loop Header: Depth=2
	s_ff1_i32_b64 s69, s[30:31]
	v_readlane_b32 s72, v35, s69
	s_lshl_b64 s[70:71], 1, s69
	s_min_i32 s68, s68, s72
	s_andn2_b64 s[30:31], s[30:31], s[70:71]
	s_cmp_lg_u64 s[30:31], 0
	s_cbranch_scc1 .LBB17_74
; %bb.75:                               ;   in Loop: Header=BB17_14 Depth=1
	v_mbcnt_lo_u32_b32 v8, exec_lo, 0
	v_mbcnt_hi_u32_b32 v8, exec_hi, v8
	v_cmp_eq_u32_e32 vcc, 0, v8
	s_and_saveexec_b64 s[30:31], vcc
	s_xor_b64 s[30:31], exec, s[30:31]
	s_cbranch_execz .LBB17_77
; %bb.76:                               ;   in Loop: Header=BB17_14 Depth=1
	v_mov_b32_e32 v8, s68
	ds_min_i32 v32, v8 offset:9728
.LBB17_77:                              ;   in Loop: Header=BB17_14 Depth=1
	s_or_b64 exec, exec, s[28:29]
	s_waitcnt lgkmcnt(0)
	s_barrier
	ds_read_b32 v8, v19
	s_waitcnt lgkmcnt(0)
	s_barrier
	s_and_saveexec_b64 s[28:29], s[12:13]
	s_cbranch_execz .LBB17_79
; %bb.78:                               ;   in Loop: Header=BB17_14 Depth=1
	ds_read_b32 v9, v20
	s_waitcnt lgkmcnt(0)
	v_add_u32_e32 v8, v9, v8
.LBB17_79:                              ;   in Loop: Header=BB17_14 Depth=1
	s_or_b64 exec, exec, s[28:29]
	s_barrier
	ds_write_b32 v19, v8
	s_waitcnt lgkmcnt(0)
	s_barrier
	s_and_saveexec_b64 s[28:29], s[14:15]
	s_cbranch_execz .LBB17_81
; %bb.80:                               ;   in Loop: Header=BB17_14 Depth=1
	ds_read_b32 v9, v22
	s_waitcnt lgkmcnt(0)
	v_add_u32_e32 v8, v9, v8
.LBB17_81:                              ;   in Loop: Header=BB17_14 Depth=1
	s_or_b64 exec, exec, s[28:29]
	s_barrier
	ds_write_b32 v19, v8
	;; [unrolled: 12-line block ×7, first 2 shown]
	s_waitcnt lgkmcnt(0)
	s_barrier
	ds_read_b32 v10, v32 offset:9724
	v_mov_b32_e32 v9, 0
	s_and_saveexec_b64 s[28:29], s[10:11]
	s_cbranch_execz .LBB17_93
; %bb.92:                               ;   in Loop: Header=BB17_14 Depth=1
	ds_read_b32 v9, v20
.LBB17_93:                              ;   in Loop: Header=BB17_14 Depth=1
	s_or_b64 exec, exec, s[28:29]
	s_waitcnt lgkmcnt(0)
	v_cmp_eq_u32_e32 vcc, v8, v9
	s_and_b64 s[30:31], s[10:11], vcc
	s_barrier
	s_and_saveexec_b64 s[28:29], s[30:31]
	s_cbranch_execz .LBB17_95
; %bb.94:                               ;   in Loop: Header=BB17_14 Depth=1
	ds_write_b32 v19, v32
.LBB17_95:                              ;   in Loop: Header=BB17_14 Depth=1
	s_or_b64 exec, exec, s[28:29]
	v_add_u32_e32 v11, -1, v31
	s_add_i32 s68, s54, s88
	s_mov_b64 s[28:29], 0
	v_mov_b32_e32 v12, v30
	v_mov_b32_e32 v13, v7
	v_mov_b32_e32 v14, v5
	s_waitcnt lgkmcnt(0)
	s_barrier
	s_branch .LBB17_97
.LBB17_96:                              ;   in Loop: Header=BB17_97 Depth=2
	s_or_b64 exec, exec, s[30:31]
	v_add_u32_e32 v8, 16, v14
	v_cmp_lt_u32_e32 vcc, s87, v14
	v_add_u32_e32 v13, 0x400, v13
	v_add_u32_e32 v12, 64, v12
	s_or_b64 s[28:29], vcc, s[28:29]
	v_mov_b32_e32 v14, v8
	s_andn2_b64 exec, exec, s[28:29]
	s_cbranch_execz .LBB17_13
.LBB17_97:                              ;   Parent Loop BB17_14 Depth=1
                                        ; =>  This Inner Loop Header: Depth=2
	ds_read_b32 v8, v12
	s_waitcnt lgkmcnt(0)
	v_cmp_ne_u32_e32 vcc, 0, v8
	s_and_saveexec_b64 s[30:31], vcc
	s_cbranch_execz .LBB17_96
; %bb.98:                               ;   in Loop: Header=BB17_97 Depth=2
	v_add_u32_e32 v8, v11, v8
	v_ashrrev_i32_e32 v9, 31, v8
	v_lshlrev_b64 v[34:35], 2, v[8:9]
	v_mov_b32_e32 v9, s61
	v_add_co_u32_e32 v34, vcc, s60, v34
	v_add_u32_e32 v15, s68, v14
	v_addc_co_u32_e32 v35, vcc, v9, v35, vcc
	global_store_dword v[34:35], v15, off
	s_and_b64 exec, exec, s[6:7]
	s_cbranch_execz .LBB17_96
; %bb.99:                               ;   in Loop: Header=BB17_97 Depth=2
	v_mad_u64_u32 v[8:9], s[70:71], v8, s58, v[0:1]
	ds_read_b32 v15, v13
	v_mad_u64_u32 v[8:9], s[70:71], v8, s58, v[6:7]
	v_ashrrev_i32_e32 v9, 31, v8
	v_lshlrev_b64 v[8:9], 2, v[8:9]
	v_mov_b32_e32 v34, s63
	v_add_co_u32_e32 v8, vcc, s62, v8
	v_addc_co_u32_e32 v9, vcc, v34, v9, vcc
	s_waitcnt lgkmcnt(0)
	global_store_dword v[8:9], v15, off
	s_branch .LBB17_96
.LBB17_100:
	s_endpgm
	.section	.rodata,"a",@progbits
	.p2align	6, 0x0
	.amdhsa_kernel _ZN9rocsparseL38bsrgemm_block_per_row_atomic_multipassILj256ELj128ELj4EiifEEv20rocsparse_direction_T3_S2_PKS2_S4_NS_24const_host_device_scalarIT4_EEPKT2_S4_PKS6_SA_S4_SC_S7_SA_S4_SC_SA_PS2_PS6_PS8_21rocsparse_index_base_SG_SG_SG_bbb
		.amdhsa_group_segment_fixed_size 9732
		.amdhsa_private_segment_fixed_size 0
		.amdhsa_kernarg_size 172
		.amdhsa_user_sgpr_count 6
		.amdhsa_user_sgpr_private_segment_buffer 1
		.amdhsa_user_sgpr_dispatch_ptr 0
		.amdhsa_user_sgpr_queue_ptr 0
		.amdhsa_user_sgpr_kernarg_segment_ptr 1
		.amdhsa_user_sgpr_dispatch_id 0
		.amdhsa_user_sgpr_flat_scratch_init 0
		.amdhsa_user_sgpr_kernarg_preload_length 0
		.amdhsa_user_sgpr_kernarg_preload_offset 0
		.amdhsa_user_sgpr_private_segment_size 0
		.amdhsa_uses_dynamic_stack 0
		.amdhsa_system_sgpr_private_segment_wavefront_offset 0
		.amdhsa_system_sgpr_workgroup_id_x 1
		.amdhsa_system_sgpr_workgroup_id_y 0
		.amdhsa_system_sgpr_workgroup_id_z 0
		.amdhsa_system_sgpr_workgroup_info 0
		.amdhsa_system_vgpr_workitem_id 0
		.amdhsa_next_free_vgpr 42
		.amdhsa_next_free_sgpr 90
		.amdhsa_accum_offset 44
		.amdhsa_reserve_vcc 1
		.amdhsa_reserve_flat_scratch 0
		.amdhsa_float_round_mode_32 0
		.amdhsa_float_round_mode_16_64 0
		.amdhsa_float_denorm_mode_32 3
		.amdhsa_float_denorm_mode_16_64 3
		.amdhsa_dx10_clamp 1
		.amdhsa_ieee_mode 1
		.amdhsa_fp16_overflow 0
		.amdhsa_tg_split 0
		.amdhsa_exception_fp_ieee_invalid_op 0
		.amdhsa_exception_fp_denorm_src 0
		.amdhsa_exception_fp_ieee_div_zero 0
		.amdhsa_exception_fp_ieee_overflow 0
		.amdhsa_exception_fp_ieee_underflow 0
		.amdhsa_exception_fp_ieee_inexact 0
		.amdhsa_exception_int_div_zero 0
	.end_amdhsa_kernel
	.section	.text._ZN9rocsparseL38bsrgemm_block_per_row_atomic_multipassILj256ELj128ELj4EiifEEv20rocsparse_direction_T3_S2_PKS2_S4_NS_24const_host_device_scalarIT4_EEPKT2_S4_PKS6_SA_S4_SC_S7_SA_S4_SC_SA_PS2_PS6_PS8_21rocsparse_index_base_SG_SG_SG_bbb,"axG",@progbits,_ZN9rocsparseL38bsrgemm_block_per_row_atomic_multipassILj256ELj128ELj4EiifEEv20rocsparse_direction_T3_S2_PKS2_S4_NS_24const_host_device_scalarIT4_EEPKT2_S4_PKS6_SA_S4_SC_S7_SA_S4_SC_SA_PS2_PS6_PS8_21rocsparse_index_base_SG_SG_SG_bbb,comdat
.Lfunc_end17:
	.size	_ZN9rocsparseL38bsrgemm_block_per_row_atomic_multipassILj256ELj128ELj4EiifEEv20rocsparse_direction_T3_S2_PKS2_S4_NS_24const_host_device_scalarIT4_EEPKT2_S4_PKS6_SA_S4_SC_S7_SA_S4_SC_SA_PS2_PS6_PS8_21rocsparse_index_base_SG_SG_SG_bbb, .Lfunc_end17-_ZN9rocsparseL38bsrgemm_block_per_row_atomic_multipassILj256ELj128ELj4EiifEEv20rocsparse_direction_T3_S2_PKS2_S4_NS_24const_host_device_scalarIT4_EEPKT2_S4_PKS6_SA_S4_SC_S7_SA_S4_SC_SA_PS2_PS6_PS8_21rocsparse_index_base_SG_SG_SG_bbb
                                        ; -- End function
	.section	.AMDGPU.csdata,"",@progbits
; Kernel info:
; codeLenInByte = 3016
; NumSgprs: 94
; NumVgprs: 42
; NumAgprs: 0
; TotalNumVgprs: 42
; ScratchSize: 0
; MemoryBound: 0
; FloatMode: 240
; IeeeMode: 1
; LDSByteSize: 9732 bytes/workgroup (compile time only)
; SGPRBlocks: 11
; VGPRBlocks: 5
; NumSGPRsForWavesPerEU: 94
; NumVGPRsForWavesPerEU: 42
; AccumOffset: 44
; Occupancy: 6
; WaveLimiterHint : 1
; COMPUTE_PGM_RSRC2:SCRATCH_EN: 0
; COMPUTE_PGM_RSRC2:USER_SGPR: 6
; COMPUTE_PGM_RSRC2:TRAP_HANDLER: 0
; COMPUTE_PGM_RSRC2:TGID_X_EN: 1
; COMPUTE_PGM_RSRC2:TGID_Y_EN: 0
; COMPUTE_PGM_RSRC2:TGID_Z_EN: 0
; COMPUTE_PGM_RSRC2:TIDIG_COMP_CNT: 0
; COMPUTE_PGM_RSRC3_GFX90A:ACCUM_OFFSET: 10
; COMPUTE_PGM_RSRC3_GFX90A:TG_SPLIT: 0
	.section	.text._ZN9rocsparseL23bsrgemm_fill_wf_per_rowILj256ELj64ELj8ELj137ELj8EiifEEv20rocsparse_direction_T5_S2_S2_PKS2_S4_NS_24const_host_device_scalarIT6_EEPKT4_S4_PKS6_SA_S4_SC_S7_SA_S4_SC_SA_PS2_PS6_21rocsparse_index_base_SF_SF_SF_bbb,"axG",@progbits,_ZN9rocsparseL23bsrgemm_fill_wf_per_rowILj256ELj64ELj8ELj137ELj8EiifEEv20rocsparse_direction_T5_S2_S2_PKS2_S4_NS_24const_host_device_scalarIT6_EEPKT4_S4_PKS6_SA_S4_SC_S7_SA_S4_SC_SA_PS2_PS6_21rocsparse_index_base_SF_SF_SF_bbb,comdat
	.globl	_ZN9rocsparseL23bsrgemm_fill_wf_per_rowILj256ELj64ELj8ELj137ELj8EiifEEv20rocsparse_direction_T5_S2_S2_PKS2_S4_NS_24const_host_device_scalarIT6_EEPKT4_S4_PKS6_SA_S4_SC_S7_SA_S4_SC_SA_PS2_PS6_21rocsparse_index_base_SF_SF_SF_bbb ; -- Begin function _ZN9rocsparseL23bsrgemm_fill_wf_per_rowILj256ELj64ELj8ELj137ELj8EiifEEv20rocsparse_direction_T5_S2_S2_PKS2_S4_NS_24const_host_device_scalarIT6_EEPKT4_S4_PKS6_SA_S4_SC_S7_SA_S4_SC_SA_PS2_PS6_21rocsparse_index_base_SF_SF_SF_bbb
	.p2align	8
	.type	_ZN9rocsparseL23bsrgemm_fill_wf_per_rowILj256ELj64ELj8ELj137ELj8EiifEEv20rocsparse_direction_T5_S2_S2_PKS2_S4_NS_24const_host_device_scalarIT6_EEPKT4_S4_PKS6_SA_S4_SC_S7_SA_S4_SC_SA_PS2_PS6_21rocsparse_index_base_SF_SF_SF_bbb,@function
_ZN9rocsparseL23bsrgemm_fill_wf_per_rowILj256ELj64ELj8ELj137ELj8EiifEEv20rocsparse_direction_T5_S2_S2_PKS2_S4_NS_24const_host_device_scalarIT6_EEPKT4_S4_PKS6_SA_S4_SC_S7_SA_S4_SC_SA_PS2_PS6_21rocsparse_index_base_SF_SF_SF_bbb: ; @_ZN9rocsparseL23bsrgemm_fill_wf_per_rowILj256ELj64ELj8ELj137ELj8EiifEEv20rocsparse_direction_T5_S2_S2_PKS2_S4_NS_24const_host_device_scalarIT6_EEPKT4_S4_PKS6_SA_S4_SC_S7_SA_S4_SC_SA_PS2_PS6_21rocsparse_index_base_SF_SF_SF_bbb
; %bb.0:
	s_load_dword s7, s[4:5], 0xa0
	s_load_dwordx2 s[0:1], s[4:5], 0x20
	s_load_dwordx2 s[8:9], s[4:5], 0x58
	s_waitcnt lgkmcnt(0)
	s_bitcmp1_b32 s7, 0
	s_cselect_b64 s[2:3], -1, 0
	s_bitcmp1_b32 s7, 16
	s_cselect_b64 s[10:11], -1, 0
	s_xor_b64 s[12:13], s[2:3], -1
	s_or_b64 s[12:13], s[12:13], s[10:11]
	s_and_b64 vcc, exec, s[12:13]
	s_cbranch_vccnz .LBB18_2
; %bb.1:
	s_load_dword s0, s[0:1], 0x0
	s_waitcnt lgkmcnt(0)
	v_mov_b32_e32 v27, s0
	s_branch .LBB18_3
.LBB18_2:
	v_mov_b32_e32 v1, s0
	v_cndmask_b32_e64 v27, 0, v1, s[2:3]
.LBB18_3:
	s_bitcmp1_b32 s7, 8
	s_cselect_b64 s[0:1], -1, 0
	s_xor_b64 s[12:13], s[0:1], -1
	s_or_b64 s[10:11], s[12:13], s[10:11]
	s_and_b64 vcc, exec, s[10:11]
	s_cbranch_vccnz .LBB18_5
; %bb.4:
	s_load_dword s7, s[8:9], 0x0
	s_waitcnt lgkmcnt(0)
	v_mov_b32_e32 v11, s7
	s_branch .LBB18_6
.LBB18_5:
	v_mov_b32_e32 v1, s8
	v_cndmask_b32_e64 v11, 0, v1, s[0:1]
.LBB18_6:
	s_load_dwordx4 s[20:23], s[4:5], 0x0
	v_and_b32_e32 v26, 63, v0
	v_lshrrev_b32_e32 v2, 6, v0
	v_mov_b32_e32 v1, 0x2000
	v_lshl_or_b32 v1, v2, 5, v1
	v_cmp_gt_u32_e32 vcc, 8, v26
	s_and_saveexec_b64 s[8:9], vcc
	s_cbranch_execz .LBB18_8
; %bb.7:
	v_lshl_add_u32 v3, v26, 2, v1
	s_waitcnt lgkmcnt(0)
	v_mov_b32_e32 v4, s22
	ds_write_b32 v3, v4
.LBB18_8:
	s_or_b64 exec, exec, s[8:9]
	v_lshlrev_b32_e32 v3, 5, v0
	v_lshl_or_b32 v2, s6, 2, v2
	v_and_b32_e32 v9, 0x1800, v3
	v_lshl_or_b32 v3, v26, 2, v9
	v_mov_b32_e32 v4, 0
	s_waitcnt lgkmcnt(0)
	v_cmp_gt_i32_e32 vcc, s21, v2
	ds_write2st64_b32 v3, v4, v4 offset1:1
	ds_write2st64_b32 v3, v4, v4 offset0:2 offset1:3
	ds_write2st64_b32 v3, v4, v4 offset0:4 offset1:5
	;; [unrolled: 1-line block ×3, first 2 shown]
	s_waitcnt lgkmcnt(0)
	s_barrier
	s_and_saveexec_b64 s[6:7], vcc
	s_cbranch_execz .LBB18_84
; %bb.9:
	s_load_dwordx2 s[6:7], s[4:5], 0x18
	s_load_dwordx4 s[24:27], s[4:5], 0x90
	s_waitcnt lgkmcnt(0)
	s_cmp_eq_u64 s[6:7], 0
	s_cbranch_scc1 .LBB18_11
; %bb.10:
	s_load_dwordx2 s[8:9], s[4:5], 0x10
	v_mov_b32_e32 v4, s7
	s_waitcnt lgkmcnt(0)
	s_load_dword s8, s[8:9], 0x0
	s_waitcnt lgkmcnt(0)
	v_add_u32_e32 v2, s8, v2
	v_ashrrev_i32_e32 v3, 31, v2
	v_lshlrev_b64 v[2:3], 2, v[2:3]
	v_add_co_u32_e32 v2, vcc, s6, v2
	v_addc_co_u32_e32 v3, vcc, v4, v3, vcc
	global_load_dword v2, v[2:3], off
.LBB18_11:
	s_load_dwordx2 s[28:29], s[4:5], 0x78
	s_waitcnt vmcnt(0)
	v_ashrrev_i32_e32 v3, 31, v2
	v_and_b32_e32 v8, 7, v0
	v_lshrrev_b32_e32 v10, 3, v26
	s_andn2_b64 vcc, exec, s[2:3]
	v_lshlrev_b64 v[2:3], 2, v[2:3]
	s_cbranch_vccnz .LBB18_42
; %bb.12:
	s_load_dwordx2 s[2:3], s[4:5], 0x28
	s_waitcnt lgkmcnt(0)
	v_mov_b32_e32 v5, s3
	v_add_co_u32_e32 v4, vcc, s2, v2
	v_addc_co_u32_e32 v5, vcc, v5, v3, vcc
	global_load_dwordx2 v[4:5], v[4:5], off
	s_waitcnt vmcnt(0)
	v_cmp_lt_i32_e32 vcc, v4, v5
	s_and_saveexec_b64 s[10:11], vcc
	s_cbranch_execz .LBB18_41
; %bb.13:
	s_load_dwordx2 s[30:31], s[4:5], 0x50
	s_load_dwordx8 s[12:19], s[4:5], 0x30
	v_subrev_u32_e32 v4, s24, v4
	s_cmp_lg_u32 s20, 0
	s_mul_i32 s21, s23, s23
	v_subrev_u32_e32 v28, s24, v5
	v_max_i32_e32 v5, v8, v10
	s_cselect_b64 s[6:7], -1, 0
	s_cmp_gt_i32 s23, 0
	v_mad_u64_u32 v[6:7], s[8:9], s21, v4, v[10:11]
	v_mad_u64_u32 v[12:13], s[8:9], s23, v4, v[10:11]
	v_cmp_gt_i32_e64 s[2:3], s23, v5
	v_cndmask_b32_e64 v5, 0, 1, s[6:7]
	s_cselect_b64 s[8:9], -1, 0
	v_cmp_ne_u32_e64 s[6:7], 1, v5
	v_cndmask_b32_e64 v5, 0, 1, s[8:9]
	v_mul_lo_u32 v12, s23, v12
	s_mov_b64 s[34:35], 0
	s_waitcnt lgkmcnt(0)
	v_mov_b32_e32 v7, s13
	v_mov_b32_e32 v29, s17
	v_cmp_ne_u32_e64 s[8:9], 1, v5
	s_branch .LBB18_15
.LBB18_14:                              ;   in Loop: Header=BB18_15 Depth=1
	s_or_b64 exec, exec, s[36:37]
	v_add_u32_e32 v4, 1, v4
	v_cmp_ge_i32_e32 vcc, v4, v28
	v_add_u32_e32 v6, s21, v6
	s_or_b64 s[34:35], vcc, s[34:35]
	v_add_u32_e32 v12, s21, v12
	s_andn2_b64 exec, exec, s[34:35]
	s_cbranch_execz .LBB18_41
.LBB18_15:                              ; =>This Loop Header: Depth=1
                                        ;     Child Loop BB18_18 Depth 2
                                        ;       Child Loop BB18_22 Depth 3
                                        ;       Child Loop BB18_28 Depth 3
	;; [unrolled: 1-line block ×3, first 2 shown]
	v_ashrrev_i32_e32 v5, 31, v4
	v_lshlrev_b64 v[14:15], 2, v[4:5]
	v_add_co_u32_e32 v14, vcc, s12, v14
	v_addc_co_u32_e32 v15, vcc, v7, v15, vcc
	global_load_dword v5, v[14:15], off
	s_waitcnt vmcnt(0)
	v_subrev_u32_e32 v14, s24, v5
	v_ashrrev_i32_e32 v15, 31, v14
	v_lshlrev_b64 v[14:15], 2, v[14:15]
	v_add_co_u32_e32 v14, vcc, s16, v14
	v_addc_co_u32_e32 v15, vcc, v29, v15, vcc
	global_load_dwordx2 v[16:17], v[14:15], off
	s_waitcnt vmcnt(0)
	v_cmp_lt_i32_e32 vcc, v16, v17
	s_and_saveexec_b64 s[36:37], vcc
	s_cbranch_execz .LBB18_14
; %bb.16:                               ;   in Loop: Header=BB18_15 Depth=1
	v_ashrrev_i32_e32 v13, 31, v12
	v_lshlrev_b64 v[14:15], 2, v[12:13]
	v_subrev_u32_e32 v16, s25, v16
	v_mov_b32_e32 v5, s15
	v_add_co_u32_e32 v14, vcc, s14, v14
	v_mad_u64_u32 v[18:19], s[38:39], s23, v16, v[8:9]
	v_mad_u64_u32 v[20:21], s[38:39], s21, v16, v[8:9]
	v_addc_co_u32_e32 v15, vcc, v5, v15, vcc
	v_subrev_u32_e32 v5, s25, v17
	v_mul_lo_u32 v18, s23, v18
	s_mov_b64 s[38:39], 0
	s_branch .LBB18_18
.LBB18_17:                              ;   in Loop: Header=BB18_18 Depth=2
	s_or_b64 exec, exec, s[40:41]
	v_add_u32_e32 v16, 1, v16
	v_cmp_ge_i32_e32 vcc, v16, v5
	v_add_u32_e32 v18, s21, v18
	s_or_b64 s[38:39], vcc, s[38:39]
	v_add_u32_e32 v20, s21, v20
	s_andn2_b64 exec, exec, s[38:39]
	s_cbranch_execz .LBB18_14
.LBB18_18:                              ;   Parent Loop BB18_15 Depth=1
                                        ; =>  This Loop Header: Depth=2
                                        ;       Child Loop BB18_22 Depth 3
                                        ;       Child Loop BB18_28 Depth 3
	;; [unrolled: 1-line block ×3, first 2 shown]
	s_and_saveexec_b64 s[40:41], s[2:3]
	s_cbranch_execz .LBB18_17
; %bb.19:                               ;   in Loop: Header=BB18_18 Depth=2
	v_ashrrev_i32_e32 v17, 31, v16
	v_lshlrev_b64 v[22:23], 2, v[16:17]
	v_mov_b32_e32 v13, s19
	v_add_co_u32_e32 v22, vcc, s18, v22
	v_addc_co_u32_e32 v23, vcc, v13, v23, vcc
	global_load_dword v13, v[22:23], off
	s_and_b64 vcc, exec, s[6:7]
	s_cbranch_vccnz .LBB18_24
; %bb.20:                               ;   in Loop: Header=BB18_18 Depth=2
	s_and_b64 vcc, exec, s[8:9]
	s_cbranch_vccnz .LBB18_25
; %bb.21:                               ;   in Loop: Header=BB18_18 Depth=2
	v_ashrrev_i32_e32 v19, 31, v18
	v_lshlrev_b64 v[22:23], 2, v[18:19]
	v_mov_b32_e32 v17, s31
	v_add_co_u32_e32 v22, vcc, s30, v22
	v_addc_co_u32_e32 v23, vcc, v17, v23, vcc
	v_mov_b32_e32 v17, 0
	v_mov_b32_e32 v24, v6
	s_mov_b32 s13, s23
.LBB18_22:                              ;   Parent Loop BB18_15 Depth=1
                                        ;     Parent Loop BB18_18 Depth=2
                                        ; =>    This Inner Loop Header: Depth=3
	v_ashrrev_i32_e32 v25, 31, v24
	v_lshlrev_b64 v[30:31], 2, v[24:25]
	v_mov_b32_e32 v19, s15
	v_add_co_u32_e32 v30, vcc, s14, v30
	v_addc_co_u32_e32 v31, vcc, v19, v31, vcc
	global_load_dword v21, v[22:23], off
	global_load_dword v19, v[30:31], off
	s_add_i32 s13, s13, -1
	v_add_co_u32_e32 v22, vcc, 4, v22
	v_addc_co_u32_e32 v23, vcc, 0, v23, vcc
	v_add_u32_e32 v24, s23, v24
	s_cmp_lg_u32 s13, 0
	s_waitcnt vmcnt(0)
	v_fmac_f32_e32 v17, v19, v21
	s_cbranch_scc1 .LBB18_22
; %bb.23:                               ;   in Loop: Header=BB18_18 Depth=2
	s_cbranch_execz .LBB18_26
	s_branch .LBB18_29
.LBB18_24:                              ;   in Loop: Header=BB18_18 Depth=2
                                        ; implicit-def: $vgpr17
	s_branch .LBB18_26
.LBB18_25:                              ;   in Loop: Header=BB18_18 Depth=2
	v_mov_b32_e32 v17, 0
	s_cbranch_execnz .LBB18_29
.LBB18_26:                              ;   in Loop: Header=BB18_18 Depth=2
	v_mov_b32_e32 v17, 0
	s_and_b64 vcc, exec, s[8:9]
	s_cbranch_vccnz .LBB18_29
; %bb.27:                               ;   in Loop: Header=BB18_18 Depth=2
	v_pk_mov_b32 v[22:23], v[14:15], v[14:15] op_sel:[0,1]
	v_mov_b32_e32 v24, v20
	s_mov_b32 s13, s23
.LBB18_28:                              ;   Parent Loop BB18_15 Depth=1
                                        ;     Parent Loop BB18_18 Depth=2
                                        ; =>    This Inner Loop Header: Depth=3
	v_ashrrev_i32_e32 v25, 31, v24
	v_lshlrev_b64 v[30:31], 2, v[24:25]
	v_mov_b32_e32 v21, s31
	v_add_co_u32_e32 v30, vcc, s30, v30
	v_addc_co_u32_e32 v31, vcc, v21, v31, vcc
	global_load_dword v19, v[22:23], off
	global_load_dword v21, v[30:31], off
	s_add_i32 s13, s13, -1
	v_add_co_u32_e32 v22, vcc, 4, v22
	v_addc_co_u32_e32 v23, vcc, 0, v23, vcc
	v_add_u32_e32 v24, s23, v24
	s_cmp_eq_u32 s13, 0
	s_waitcnt vmcnt(0)
	v_fmac_f32_e32 v17, v19, v21
	s_cbranch_scc0 .LBB18_28
.LBB18_29:                              ;   in Loop: Header=BB18_18 Depth=2
	s_waitcnt vmcnt(0)
	v_subrev_u32_e32 v13, s25, v13
	v_mul_f32_e32 v17, v27, v17
	v_and_b32_e32 v19, 7, v13
	s_mov_b64 s[42:43], 0
	s_branch .LBB18_31
.LBB18_30:                              ;   in Loop: Header=BB18_31 Depth=3
	s_or_b64 exec, exec, s[44:45]
	s_xor_b64 s[44:45], s[46:47], -1
	s_and_b64 s[44:45], exec, s[44:45]
	s_or_b64 s[42:43], s[44:45], s[42:43]
	s_andn2_b64 exec, exec, s[42:43]
	s_cbranch_execz .LBB18_17
.LBB18_31:                              ;   Parent Loop BB18_15 Depth=1
                                        ;     Parent Loop BB18_18 Depth=2
                                        ; =>    This Inner Loop Header: Depth=3
	v_lshl_add_u32 v21, v19, 2, v1
	ds_read_b32 v22, v21
                                        ; implicit-def: $sgpr46_sgpr47
	s_waitcnt lgkmcnt(0)
	v_cmp_ne_u32_e32 vcc, v22, v13
	s_and_saveexec_b64 s[44:45], vcc
	s_xor_b64 s[44:45], exec, s[44:45]
	s_cbranch_execz .LBB18_39
; %bb.32:                               ;   in Loop: Header=BB18_31 Depth=3
	v_cmp_ne_u32_e32 vcc, s22, v22
                                        ; implicit-def: $sgpr46_sgpr47
	s_and_saveexec_b64 s[48:49], vcc
	s_xor_b64 s[48:49], exec, s[48:49]
; %bb.33:                               ;   in Loop: Header=BB18_31 Depth=3
	v_add_u32_e32 v19, 1, v19
	v_and_b32_e32 v19, 7, v19
	s_mov_b64 s[46:47], -1
                                        ; implicit-def: $vgpr21
; %bb.34:                               ;   in Loop: Header=BB18_31 Depth=3
	s_andn2_saveexec_b64 s[48:49], s[48:49]
	s_cbranch_execz .LBB18_38
; %bb.35:                               ;   in Loop: Header=BB18_31 Depth=3
	v_mov_b32_e32 v22, s22
	ds_cmpst_rtn_b32 v21, v21, v22, v13
	s_mov_b64 s[52:53], -1
	s_waitcnt lgkmcnt(0)
	v_cmp_eq_u32_e32 vcc, s22, v21
	s_and_saveexec_b64 s[50:51], vcc
	s_cbranch_execz .LBB18_37
; %bb.36:                               ;   in Loop: Header=BB18_31 Depth=3
	v_lshlrev_b32_e32 v21, 2, v26
	v_lshl_or_b32 v21, v19, 8, v21
	v_add_u32_e32 v21, v9, v21
	ds_add_f32 v21, v17
	s_xor_b64 s[52:53], exec, -1
.LBB18_37:                              ;   in Loop: Header=BB18_31 Depth=3
	s_or_b64 exec, exec, s[50:51]
	s_andn2_b64 s[46:47], s[46:47], exec
	s_and_b64 s[50:51], s[52:53], exec
	s_or_b64 s[46:47], s[46:47], s[50:51]
.LBB18_38:                              ;   in Loop: Header=BB18_31 Depth=3
	s_or_b64 exec, exec, s[48:49]
	s_and_b64 s[46:47], s[46:47], exec
.LBB18_39:                              ;   in Loop: Header=BB18_31 Depth=3
	s_andn2_saveexec_b64 s[44:45], s[44:45]
	s_cbranch_execz .LBB18_30
; %bb.40:                               ;   in Loop: Header=BB18_31 Depth=3
	v_lshlrev_b32_e32 v21, 2, v26
	v_lshl_or_b32 v21, v19, 8, v21
	v_add_u32_e32 v21, v9, v21
	ds_add_f32 v21, v17
	s_andn2_b64 s[46:47], s[46:47], exec
	s_branch .LBB18_30
.LBB18_41:
	s_or_b64 exec, exec, s[10:11]
.LBB18_42:
	s_load_dwordx4 s[8:11], s[4:5], 0x80
	s_andn2_b64 vcc, exec, s[0:1]
	s_waitcnt lgkmcnt(0)
	s_barrier
	s_cbranch_vccnz .LBB18_60
; %bb.43:
	s_load_dwordx2 s[0:1], s[4:5], 0x60
	s_waitcnt lgkmcnt(0)
	v_mov_b32_e32 v5, s1
	v_add_co_u32_e32 v4, vcc, s0, v2
	v_addc_co_u32_e32 v5, vcc, v5, v3, vcc
	global_load_dwordx2 v[4:5], v[4:5], off
	s_waitcnt vmcnt(0)
	v_cmp_lt_i32_e32 vcc, v4, v5
	s_and_saveexec_b64 s[2:3], vcc
	s_cbranch_execz .LBB18_59
; %bb.44:
	s_load_dwordx4 s[4:7], s[4:5], 0x68
	s_cmp_eq_u32 s20, 0
	v_subrev_u32_e32 v7, s27, v5
	v_max_i32_e32 v5, v8, v10
	s_cselect_b64 s[0:1], -1, 0
	v_subrev_u32_e32 v4, s27, v4
	v_cmp_gt_i32_e32 vcc, s23, v5
	v_cndmask_b32_e64 v6, v8, v10, s[0:1]
	v_cndmask_b32_e64 v12, v10, v8, s[0:1]
	s_mov_b64 s[12:13], 0
	v_lshlrev_b32_e32 v13, 2, v26
	s_branch .LBB18_46
.LBB18_45:                              ;   in Loop: Header=BB18_46 Depth=1
	s_or_b64 exec, exec, s[14:15]
	v_add_u32_e32 v4, 1, v4
	v_cmp_ge_i32_e64 s[0:1], v4, v7
	s_or_b64 s[12:13], s[0:1], s[12:13]
	s_andn2_b64 exec, exec, s[12:13]
	s_cbranch_execz .LBB18_59
.LBB18_46:                              ; =>This Loop Header: Depth=1
                                        ;     Child Loop BB18_49 Depth 2
	s_and_saveexec_b64 s[14:15], vcc
	s_cbranch_execz .LBB18_45
; %bb.47:                               ;   in Loop: Header=BB18_46 Depth=1
	v_ashrrev_i32_e32 v5, 31, v4
	v_lshlrev_b64 v[14:15], 2, v[4:5]
	s_waitcnt lgkmcnt(0)
	v_mov_b32_e32 v5, s5
	v_add_co_u32_e64 v14, s[0:1], s4, v14
	v_addc_co_u32_e64 v15, s[0:1], v5, v15, s[0:1]
	global_load_dword v5, v[14:15], off
	v_mad_u64_u32 v[14:15], s[0:1], v4, s23, v[6:7]
	v_mad_u64_u32 v[14:15], s[0:1], v14, s23, v[12:13]
	v_ashrrev_i32_e32 v15, 31, v14
	v_lshlrev_b64 v[14:15], 2, v[14:15]
	v_mov_b32_e32 v16, s7
	v_add_co_u32_e64 v14, s[0:1], s6, v14
	v_addc_co_u32_e64 v15, s[0:1], v16, v15, s[0:1]
	global_load_dword v14, v[14:15], off
	s_mov_b64 s[16:17], 0
	s_waitcnt vmcnt(1)
	v_subrev_u32_e32 v5, s27, v5
	v_and_b32_e32 v15, 7, v5
	s_waitcnt vmcnt(0)
	v_mul_f32_e32 v14, v11, v14
	s_branch .LBB18_49
.LBB18_48:                              ;   in Loop: Header=BB18_49 Depth=2
	s_or_b64 exec, exec, s[0:1]
	s_xor_b64 s[0:1], s[24:25], -1
	s_and_b64 s[0:1], exec, s[0:1]
	s_or_b64 s[16:17], s[0:1], s[16:17]
	s_andn2_b64 exec, exec, s[16:17]
	s_cbranch_execz .LBB18_45
.LBB18_49:                              ;   Parent Loop BB18_46 Depth=1
                                        ; =>  This Inner Loop Header: Depth=2
	v_lshl_add_u32 v16, v15, 2, v1
	ds_read_b32 v17, v16
                                        ; implicit-def: $sgpr24_sgpr25
	s_waitcnt lgkmcnt(0)
	v_cmp_ne_u32_e64 s[0:1], v17, v5
	s_and_saveexec_b64 s[18:19], s[0:1]
	s_xor_b64 s[18:19], exec, s[18:19]
	s_cbranch_execz .LBB18_57
; %bb.50:                               ;   in Loop: Header=BB18_49 Depth=2
	v_cmp_ne_u32_e64 s[0:1], s22, v17
                                        ; implicit-def: $sgpr24_sgpr25
	s_and_saveexec_b64 s[30:31], s[0:1]
	s_xor_b64 s[0:1], exec, s[30:31]
; %bb.51:                               ;   in Loop: Header=BB18_49 Depth=2
	v_add_u32_e32 v15, 1, v15
	v_and_b32_e32 v15, 7, v15
	s_mov_b64 s[24:25], -1
                                        ; implicit-def: $vgpr16
; %bb.52:                               ;   in Loop: Header=BB18_49 Depth=2
	s_andn2_saveexec_b64 s[30:31], s[0:1]
	s_cbranch_execz .LBB18_56
; %bb.53:                               ;   in Loop: Header=BB18_49 Depth=2
	v_mov_b32_e32 v17, s22
	ds_cmpst_rtn_b32 v16, v16, v17, v5
	s_mov_b64 s[34:35], -1
	s_waitcnt lgkmcnt(0)
	v_cmp_eq_u32_e64 s[0:1], s22, v16
	s_and_saveexec_b64 s[36:37], s[0:1]
	s_cbranch_execz .LBB18_55
; %bb.54:                               ;   in Loop: Header=BB18_49 Depth=2
	v_lshl_or_b32 v16, v15, 8, v13
	v_add_u32_e32 v16, v9, v16
	ds_add_f32 v16, v14
	s_xor_b64 s[34:35], exec, -1
.LBB18_55:                              ;   in Loop: Header=BB18_49 Depth=2
	s_or_b64 exec, exec, s[36:37]
	s_andn2_b64 s[0:1], s[24:25], exec
	s_and_b64 s[24:25], s[34:35], exec
	s_or_b64 s[24:25], s[0:1], s[24:25]
.LBB18_56:                              ;   in Loop: Header=BB18_49 Depth=2
	s_or_b64 exec, exec, s[30:31]
	s_and_b64 s[24:25], s[24:25], exec
.LBB18_57:                              ;   in Loop: Header=BB18_49 Depth=2
	s_andn2_saveexec_b64 s[0:1], s[18:19]
	s_cbranch_execz .LBB18_48
; %bb.58:                               ;   in Loop: Header=BB18_49 Depth=2
	v_lshl_or_b32 v16, v15, 8, v13
	v_add_u32_e32 v16, v9, v16
	ds_add_f32 v16, v14
	s_andn2_b64 s[24:25], s[24:25], exec
	s_branch .LBB18_48
.LBB18_59:
	s_or_b64 exec, exec, s[2:3]
.LBB18_60:
	v_mov_b32_e32 v4, s29
	v_add_co_u32_e32 v2, vcc, s28, v2
	v_addc_co_u32_e32 v3, vcc, v4, v3, vcc
	s_waitcnt lgkmcnt(0)
	s_barrier
	global_load_dword v12, v[2:3], off
	v_and_b32_e32 v14, 56, v0
	ds_read_b128 v[4:7], v1
	ds_read_b128 v[0:3], v1 offset:16
	s_cmp_eq_u32 s20, 0
	v_max_i32_e32 v11, v8, v10
	v_lshlrev_b32_e32 v13, 3, v8
	s_cselect_b64 s[0:1], -1, 0
	v_cmp_gt_i32_e32 vcc, s23, v11
	v_cndmask_b32_e64 v11, v13, v14, s[0:1]
	v_cndmask_b32_e64 v14, v10, v8, s[0:1]
	s_waitcnt lgkmcnt(1)
	v_cmp_gt_i32_e64 s[0:1], s22, v4
	s_waitcnt vmcnt(0)
	v_subrev_u32_e32 v15, s26, v12
	s_and_saveexec_b64 s[2:3], s[0:1]
	s_cbranch_execz .LBB18_63
; %bb.61:
	v_cmp_gt_i32_e64 s[0:1], v4, v5
	v_addc_co_u32_e64 v12, s[0:1], 0, v15, s[0:1]
	v_cmp_gt_i32_e64 s[0:1], v4, v6
	v_cndmask_b32_e64 v13, 0, 1, s[0:1]
	v_cmp_gt_i32_e64 s[0:1], v4, v7
	v_addc_co_u32_e64 v12, s[0:1], v12, v13, s[0:1]
	s_waitcnt lgkmcnt(0)
	v_cmp_gt_i32_e64 s[0:1], v4, v0
	v_cndmask_b32_e64 v13, 0, 1, s[0:1]
	v_cmp_gt_i32_e64 s[0:1], v4, v1
	v_addc_co_u32_e64 v12, s[0:1], v12, v13, s[0:1]
	v_cmp_gt_i32_e64 s[0:1], v4, v2
	v_cndmask_b32_e64 v13, 0, 1, s[0:1]
	v_cmp_gt_i32_e64 s[0:1], v4, v3
	v_addc_co_u32_e64 v12, s[0:1], v12, v13, s[0:1]
	v_ashrrev_i32_e32 v13, 31, v12
	v_lshlrev_b64 v[16:17], 2, v[12:13]
	v_mov_b32_e32 v13, s9
	v_add_co_u32_e64 v16, s[0:1], s8, v16
	v_add_u32_e32 v18, s26, v4
	v_addc_co_u32_e64 v17, s[0:1], v13, v17, s[0:1]
	global_store_dword v[16:17], v18, off
	s_and_b64 exec, exec, vcc
	s_cbranch_execz .LBB18_63
; %bb.62:
	v_or_b32_e32 v17, v11, v14
	v_mad_u64_u32 v[12:13], s[0:1], v12, s23, v[10:11]
	v_lshl_add_u32 v17, v17, 2, v9
	v_mad_u64_u32 v[12:13], s[0:1], v12, s23, v[8:9]
	ds_read_b32 v17, v17
	v_ashrrev_i32_e32 v13, 31, v12
	v_lshlrev_b64 v[12:13], 2, v[12:13]
	v_mov_b32_e32 v16, s11
	v_add_co_u32_e64 v12, s[0:1], s10, v12
	v_addc_co_u32_e64 v13, s[0:1], v16, v13, s[0:1]
	s_waitcnt lgkmcnt(0)
	global_store_dword v[12:13], v17, off
.LBB18_63:
	s_or_b64 exec, exec, s[2:3]
	v_cmp_gt_i32_e64 s[0:1], s22, v5
	s_and_saveexec_b64 s[2:3], s[0:1]
	s_cbranch_execz .LBB18_66
; %bb.64:
	v_cmp_gt_i32_e64 s[0:1], v5, v4
	v_addc_co_u32_e64 v12, s[0:1], 0, v15, s[0:1]
	v_cmp_gt_i32_e64 s[0:1], v5, v6
	v_cndmask_b32_e64 v13, 0, 1, s[0:1]
	v_cmp_gt_i32_e64 s[0:1], v5, v7
	v_addc_co_u32_e64 v12, s[0:1], v12, v13, s[0:1]
	s_waitcnt lgkmcnt(0)
	v_cmp_gt_i32_e64 s[0:1], v5, v0
	v_cndmask_b32_e64 v13, 0, 1, s[0:1]
	v_cmp_gt_i32_e64 s[0:1], v5, v1
	v_addc_co_u32_e64 v12, s[0:1], v12, v13, s[0:1]
	v_cmp_gt_i32_e64 s[0:1], v5, v2
	v_cndmask_b32_e64 v13, 0, 1, s[0:1]
	v_cmp_gt_i32_e64 s[0:1], v5, v3
	v_addc_co_u32_e64 v12, s[0:1], v12, v13, s[0:1]
	v_ashrrev_i32_e32 v13, 31, v12
	v_lshlrev_b64 v[16:17], 2, v[12:13]
	v_mov_b32_e32 v13, s9
	v_add_co_u32_e64 v16, s[0:1], s8, v16
	v_add_u32_e32 v18, s26, v5
	v_addc_co_u32_e64 v17, s[0:1], v13, v17, s[0:1]
	global_store_dword v[16:17], v18, off
	s_and_b64 exec, exec, vcc
	s_cbranch_execz .LBB18_66
; %bb.65:
	v_or_b32_e32 v17, v11, v14
	v_mad_u64_u32 v[12:13], s[0:1], v12, s23, v[10:11]
	v_lshl_add_u32 v17, v17, 2, v9
	v_mad_u64_u32 v[12:13], s[0:1], v12, s23, v[8:9]
	ds_read_b32 v17, v17 offset:256
	v_ashrrev_i32_e32 v13, 31, v12
	v_lshlrev_b64 v[12:13], 2, v[12:13]
	v_mov_b32_e32 v16, s11
	v_add_co_u32_e64 v12, s[0:1], s10, v12
	v_addc_co_u32_e64 v13, s[0:1], v16, v13, s[0:1]
	s_waitcnt lgkmcnt(0)
	global_store_dword v[12:13], v17, off
.LBB18_66:
	s_or_b64 exec, exec, s[2:3]
	v_cmp_gt_i32_e64 s[0:1], s22, v6
	s_and_saveexec_b64 s[2:3], s[0:1]
	s_cbranch_execz .LBB18_69
; %bb.67:
	v_cmp_gt_i32_e64 s[0:1], v6, v4
	v_addc_co_u32_e64 v12, s[0:1], 0, v15, s[0:1]
	v_cmp_gt_i32_e64 s[0:1], v6, v5
	v_cndmask_b32_e64 v13, 0, 1, s[0:1]
	v_cmp_gt_i32_e64 s[0:1], v6, v7
	v_addc_co_u32_e64 v12, s[0:1], v12, v13, s[0:1]
	s_waitcnt lgkmcnt(0)
	v_cmp_gt_i32_e64 s[0:1], v6, v0
	v_cndmask_b32_e64 v13, 0, 1, s[0:1]
	v_cmp_gt_i32_e64 s[0:1], v6, v1
	v_addc_co_u32_e64 v12, s[0:1], v12, v13, s[0:1]
	v_cmp_gt_i32_e64 s[0:1], v6, v2
	v_cndmask_b32_e64 v13, 0, 1, s[0:1]
	v_cmp_gt_i32_e64 s[0:1], v6, v3
	v_addc_co_u32_e64 v12, s[0:1], v12, v13, s[0:1]
	v_ashrrev_i32_e32 v13, 31, v12
	v_lshlrev_b64 v[16:17], 2, v[12:13]
	v_mov_b32_e32 v13, s9
	v_add_co_u32_e64 v16, s[0:1], s8, v16
	v_add_u32_e32 v18, s26, v6
	v_addc_co_u32_e64 v17, s[0:1], v13, v17, s[0:1]
	global_store_dword v[16:17], v18, off
	s_and_b64 exec, exec, vcc
	s_cbranch_execz .LBB18_69
; %bb.68:
	v_or_b32_e32 v17, v11, v14
	v_mad_u64_u32 v[12:13], s[0:1], v12, s23, v[10:11]
	v_lshl_add_u32 v17, v17, 2, v9
	v_mad_u64_u32 v[12:13], s[0:1], v12, s23, v[8:9]
	ds_read_b32 v17, v17 offset:512
	v_ashrrev_i32_e32 v13, 31, v12
	v_lshlrev_b64 v[12:13], 2, v[12:13]
	v_mov_b32_e32 v16, s11
	v_add_co_u32_e64 v12, s[0:1], s10, v12
	v_addc_co_u32_e64 v13, s[0:1], v16, v13, s[0:1]
	s_waitcnt lgkmcnt(0)
	global_store_dword v[12:13], v17, off
.LBB18_69:
	;; [unrolled: 43-line block ×3, first 2 shown]
	s_or_b64 exec, exec, s[2:3]
	s_waitcnt lgkmcnt(0)
	v_cmp_gt_i32_e64 s[0:1], s22, v0
	s_and_saveexec_b64 s[2:3], s[0:1]
	s_cbranch_execz .LBB18_75
; %bb.73:
	v_cmp_gt_i32_e64 s[0:1], v0, v4
	v_addc_co_u32_e64 v12, s[0:1], 0, v15, s[0:1]
	v_cmp_gt_i32_e64 s[0:1], v0, v5
	v_cndmask_b32_e64 v13, 0, 1, s[0:1]
	v_cmp_gt_i32_e64 s[0:1], v0, v6
	v_addc_co_u32_e64 v12, s[0:1], v12, v13, s[0:1]
	v_cmp_gt_i32_e64 s[0:1], v0, v7
	v_cndmask_b32_e64 v13, 0, 1, s[0:1]
	v_cmp_gt_i32_e64 s[0:1], v0, v1
	v_addc_co_u32_e64 v12, s[0:1], v12, v13, s[0:1]
	v_cmp_gt_i32_e64 s[0:1], v0, v2
	v_cndmask_b32_e64 v13, 0, 1, s[0:1]
	v_cmp_gt_i32_e64 s[0:1], v0, v3
	v_addc_co_u32_e64 v12, s[0:1], v12, v13, s[0:1]
	v_ashrrev_i32_e32 v13, 31, v12
	v_lshlrev_b64 v[16:17], 2, v[12:13]
	v_mov_b32_e32 v13, s9
	v_add_co_u32_e64 v16, s[0:1], s8, v16
	v_add_u32_e32 v18, s26, v0
	v_addc_co_u32_e64 v17, s[0:1], v13, v17, s[0:1]
	global_store_dword v[16:17], v18, off
	s_and_b64 exec, exec, vcc
	s_cbranch_execz .LBB18_75
; %bb.74:
	v_or_b32_e32 v17, v11, v14
	v_mad_u64_u32 v[12:13], s[0:1], v12, s23, v[10:11]
	v_lshl_add_u32 v17, v17, 2, v9
	v_mad_u64_u32 v[12:13], s[0:1], v12, s23, v[8:9]
	ds_read_b32 v17, v17 offset:1024
	v_ashrrev_i32_e32 v13, 31, v12
	v_lshlrev_b64 v[12:13], 2, v[12:13]
	v_mov_b32_e32 v16, s11
	v_add_co_u32_e64 v12, s[0:1], s10, v12
	v_addc_co_u32_e64 v13, s[0:1], v16, v13, s[0:1]
	s_waitcnt lgkmcnt(0)
	global_store_dword v[12:13], v17, off
.LBB18_75:
	s_or_b64 exec, exec, s[2:3]
	v_cmp_gt_i32_e64 s[0:1], s22, v1
	s_and_saveexec_b64 s[2:3], s[0:1]
	s_cbranch_execz .LBB18_78
; %bb.76:
	v_cmp_gt_i32_e64 s[0:1], v1, v4
	v_addc_co_u32_e64 v12, s[0:1], 0, v15, s[0:1]
	v_cmp_gt_i32_e64 s[0:1], v1, v5
	v_cndmask_b32_e64 v13, 0, 1, s[0:1]
	v_cmp_gt_i32_e64 s[0:1], v1, v6
	v_addc_co_u32_e64 v12, s[0:1], v12, v13, s[0:1]
	v_cmp_gt_i32_e64 s[0:1], v1, v7
	v_cndmask_b32_e64 v13, 0, 1, s[0:1]
	v_cmp_gt_i32_e64 s[0:1], v1, v0
	v_addc_co_u32_e64 v12, s[0:1], v12, v13, s[0:1]
	v_cmp_gt_i32_e64 s[0:1], v1, v2
	v_cndmask_b32_e64 v13, 0, 1, s[0:1]
	v_cmp_gt_i32_e64 s[0:1], v1, v3
	v_addc_co_u32_e64 v12, s[0:1], v12, v13, s[0:1]
	v_ashrrev_i32_e32 v13, 31, v12
	v_lshlrev_b64 v[16:17], 2, v[12:13]
	v_mov_b32_e32 v13, s9
	v_add_co_u32_e64 v16, s[0:1], s8, v16
	v_add_u32_e32 v18, s26, v1
	v_addc_co_u32_e64 v17, s[0:1], v13, v17, s[0:1]
	global_store_dword v[16:17], v18, off
	s_and_b64 exec, exec, vcc
	s_cbranch_execz .LBB18_78
; %bb.77:
	v_or_b32_e32 v17, v11, v14
	v_mad_u64_u32 v[12:13], s[0:1], v12, s23, v[10:11]
	v_lshl_add_u32 v17, v17, 2, v9
	v_mad_u64_u32 v[12:13], s[0:1], v12, s23, v[8:9]
	ds_read_b32 v17, v17 offset:1280
	v_ashrrev_i32_e32 v13, 31, v12
	v_lshlrev_b64 v[12:13], 2, v[12:13]
	v_mov_b32_e32 v16, s11
	v_add_co_u32_e64 v12, s[0:1], s10, v12
	v_addc_co_u32_e64 v13, s[0:1], v16, v13, s[0:1]
	s_waitcnt lgkmcnt(0)
	global_store_dword v[12:13], v17, off
.LBB18_78:
	s_or_b64 exec, exec, s[2:3]
	;; [unrolled: 42-line block ×3, first 2 shown]
	v_cmp_gt_i32_e64 s[0:1], s22, v3
	s_and_b64 exec, exec, s[0:1]
	s_cbranch_execz .LBB18_84
; %bb.82:
	v_cmp_gt_i32_e64 s[0:1], v3, v4
	v_addc_co_u32_e64 v4, s[0:1], 0, v15, s[0:1]
	v_cmp_gt_i32_e64 s[0:1], v3, v5
	v_cndmask_b32_e64 v5, 0, 1, s[0:1]
	v_cmp_gt_i32_e64 s[0:1], v3, v6
	v_addc_co_u32_e64 v4, s[0:1], v4, v5, s[0:1]
	v_cmp_gt_i32_e64 s[0:1], v3, v7
	v_cndmask_b32_e64 v5, 0, 1, s[0:1]
	;; [unrolled: 4-line block ×3, first 2 shown]
	v_cmp_gt_i32_e64 s[0:1], v3, v2
	v_addc_co_u32_e64 v0, s[0:1], v0, v1, s[0:1]
	v_ashrrev_i32_e32 v1, 31, v0
	v_add_u32_e32 v4, s26, v3
	v_lshlrev_b64 v[2:3], 2, v[0:1]
	v_mov_b32_e32 v1, s9
	v_add_co_u32_e64 v2, s[0:1], s8, v2
	v_addc_co_u32_e64 v3, s[0:1], v1, v3, s[0:1]
	global_store_dword v[2:3], v4, off
	s_and_b64 exec, exec, vcc
	s_cbranch_execz .LBB18_84
; %bb.83:
	v_or_b32_e32 v3, v11, v14
	v_mad_u64_u32 v[0:1], s[0:1], v0, s23, v[10:11]
	v_lshl_add_u32 v3, v3, 2, v9
	v_mad_u64_u32 v[0:1], s[0:1], v0, s23, v[8:9]
	ds_read_b32 v3, v3 offset:1792
	v_ashrrev_i32_e32 v1, 31, v0
	v_lshlrev_b64 v[0:1], 2, v[0:1]
	v_mov_b32_e32 v2, s11
	v_add_co_u32_e32 v0, vcc, s10, v0
	v_addc_co_u32_e32 v1, vcc, v2, v1, vcc
	s_waitcnt lgkmcnt(0)
	global_store_dword v[0:1], v3, off
.LBB18_84:
	s_endpgm
	.section	.rodata,"a",@progbits
	.p2align	6, 0x0
	.amdhsa_kernel _ZN9rocsparseL23bsrgemm_fill_wf_per_rowILj256ELj64ELj8ELj137ELj8EiifEEv20rocsparse_direction_T5_S2_S2_PKS2_S4_NS_24const_host_device_scalarIT6_EEPKT4_S4_PKS6_SA_S4_SC_S7_SA_S4_SC_SA_PS2_PS6_21rocsparse_index_base_SF_SF_SF_bbb
		.amdhsa_group_segment_fixed_size 8320
		.amdhsa_private_segment_fixed_size 0
		.amdhsa_kernarg_size 164
		.amdhsa_user_sgpr_count 6
		.amdhsa_user_sgpr_private_segment_buffer 1
		.amdhsa_user_sgpr_dispatch_ptr 0
		.amdhsa_user_sgpr_queue_ptr 0
		.amdhsa_user_sgpr_kernarg_segment_ptr 1
		.amdhsa_user_sgpr_dispatch_id 0
		.amdhsa_user_sgpr_flat_scratch_init 0
		.amdhsa_user_sgpr_kernarg_preload_length 0
		.amdhsa_user_sgpr_kernarg_preload_offset 0
		.amdhsa_user_sgpr_private_segment_size 0
		.amdhsa_uses_dynamic_stack 0
		.amdhsa_system_sgpr_private_segment_wavefront_offset 0
		.amdhsa_system_sgpr_workgroup_id_x 1
		.amdhsa_system_sgpr_workgroup_id_y 0
		.amdhsa_system_sgpr_workgroup_id_z 0
		.amdhsa_system_sgpr_workgroup_info 0
		.amdhsa_system_vgpr_workitem_id 0
		.amdhsa_next_free_vgpr 32
		.amdhsa_next_free_sgpr 54
		.amdhsa_accum_offset 32
		.amdhsa_reserve_vcc 1
		.amdhsa_reserve_flat_scratch 0
		.amdhsa_float_round_mode_32 0
		.amdhsa_float_round_mode_16_64 0
		.amdhsa_float_denorm_mode_32 3
		.amdhsa_float_denorm_mode_16_64 3
		.amdhsa_dx10_clamp 1
		.amdhsa_ieee_mode 1
		.amdhsa_fp16_overflow 0
		.amdhsa_tg_split 0
		.amdhsa_exception_fp_ieee_invalid_op 0
		.amdhsa_exception_fp_denorm_src 0
		.amdhsa_exception_fp_ieee_div_zero 0
		.amdhsa_exception_fp_ieee_overflow 0
		.amdhsa_exception_fp_ieee_underflow 0
		.amdhsa_exception_fp_ieee_inexact 0
		.amdhsa_exception_int_div_zero 0
	.end_amdhsa_kernel
	.section	.text._ZN9rocsparseL23bsrgemm_fill_wf_per_rowILj256ELj64ELj8ELj137ELj8EiifEEv20rocsparse_direction_T5_S2_S2_PKS2_S4_NS_24const_host_device_scalarIT6_EEPKT4_S4_PKS6_SA_S4_SC_S7_SA_S4_SC_SA_PS2_PS6_21rocsparse_index_base_SF_SF_SF_bbb,"axG",@progbits,_ZN9rocsparseL23bsrgemm_fill_wf_per_rowILj256ELj64ELj8ELj137ELj8EiifEEv20rocsparse_direction_T5_S2_S2_PKS2_S4_NS_24const_host_device_scalarIT6_EEPKT4_S4_PKS6_SA_S4_SC_S7_SA_S4_SC_SA_PS2_PS6_21rocsparse_index_base_SF_SF_SF_bbb,comdat
.Lfunc_end18:
	.size	_ZN9rocsparseL23bsrgemm_fill_wf_per_rowILj256ELj64ELj8ELj137ELj8EiifEEv20rocsparse_direction_T5_S2_S2_PKS2_S4_NS_24const_host_device_scalarIT6_EEPKT4_S4_PKS6_SA_S4_SC_S7_SA_S4_SC_SA_PS2_PS6_21rocsparse_index_base_SF_SF_SF_bbb, .Lfunc_end18-_ZN9rocsparseL23bsrgemm_fill_wf_per_rowILj256ELj64ELj8ELj137ELj8EiifEEv20rocsparse_direction_T5_S2_S2_PKS2_S4_NS_24const_host_device_scalarIT6_EEPKT4_S4_PKS6_SA_S4_SC_S7_SA_S4_SC_SA_PS2_PS6_21rocsparse_index_base_SF_SF_SF_bbb
                                        ; -- End function
	.section	.AMDGPU.csdata,"",@progbits
; Kernel info:
; codeLenInByte = 4092
; NumSgprs: 58
; NumVgprs: 32
; NumAgprs: 0
; TotalNumVgprs: 32
; ScratchSize: 0
; MemoryBound: 0
; FloatMode: 240
; IeeeMode: 1
; LDSByteSize: 8320 bytes/workgroup (compile time only)
; SGPRBlocks: 7
; VGPRBlocks: 3
; NumSGPRsForWavesPerEU: 58
; NumVGPRsForWavesPerEU: 32
; AccumOffset: 32
; Occupancy: 7
; WaveLimiterHint : 1
; COMPUTE_PGM_RSRC2:SCRATCH_EN: 0
; COMPUTE_PGM_RSRC2:USER_SGPR: 6
; COMPUTE_PGM_RSRC2:TRAP_HANDLER: 0
; COMPUTE_PGM_RSRC2:TGID_X_EN: 1
; COMPUTE_PGM_RSRC2:TGID_Y_EN: 0
; COMPUTE_PGM_RSRC2:TGID_Z_EN: 0
; COMPUTE_PGM_RSRC2:TIDIG_COMP_CNT: 0
; COMPUTE_PGM_RSRC3_GFX90A:ACCUM_OFFSET: 7
; COMPUTE_PGM_RSRC3_GFX90A:TG_SPLIT: 0
	.section	.text._ZN9rocsparseL38bsrgemm_block_per_row_atomic_multipassILj256ELj16ELj8EiifEEv20rocsparse_direction_T3_S2_PKS2_S4_NS_24const_host_device_scalarIT4_EEPKT2_S4_PKS6_SA_S4_SC_S7_SA_S4_SC_SA_PS2_PS6_PS8_21rocsparse_index_base_SG_SG_SG_bbb,"axG",@progbits,_ZN9rocsparseL38bsrgemm_block_per_row_atomic_multipassILj256ELj16ELj8EiifEEv20rocsparse_direction_T3_S2_PKS2_S4_NS_24const_host_device_scalarIT4_EEPKT2_S4_PKS6_SA_S4_SC_S7_SA_S4_SC_SA_PS2_PS6_PS8_21rocsparse_index_base_SG_SG_SG_bbb,comdat
	.globl	_ZN9rocsparseL38bsrgemm_block_per_row_atomic_multipassILj256ELj16ELj8EiifEEv20rocsparse_direction_T3_S2_PKS2_S4_NS_24const_host_device_scalarIT4_EEPKT2_S4_PKS6_SA_S4_SC_S7_SA_S4_SC_SA_PS2_PS6_PS8_21rocsparse_index_base_SG_SG_SG_bbb ; -- Begin function _ZN9rocsparseL38bsrgemm_block_per_row_atomic_multipassILj256ELj16ELj8EiifEEv20rocsparse_direction_T3_S2_PKS2_S4_NS_24const_host_device_scalarIT4_EEPKT2_S4_PKS6_SA_S4_SC_S7_SA_S4_SC_SA_PS2_PS6_PS8_21rocsparse_index_base_SG_SG_SG_bbb
	.p2align	8
	.type	_ZN9rocsparseL38bsrgemm_block_per_row_atomic_multipassILj256ELj16ELj8EiifEEv20rocsparse_direction_T3_S2_PKS2_S4_NS_24const_host_device_scalarIT4_EEPKT2_S4_PKS6_SA_S4_SC_S7_SA_S4_SC_SA_PS2_PS6_PS8_21rocsparse_index_base_SG_SG_SG_bbb,@function
_ZN9rocsparseL38bsrgemm_block_per_row_atomic_multipassILj256ELj16ELj8EiifEEv20rocsparse_direction_T3_S2_PKS2_S4_NS_24const_host_device_scalarIT4_EEPKT2_S4_PKS6_SA_S4_SC_S7_SA_S4_SC_SA_PS2_PS6_PS8_21rocsparse_index_base_SG_SG_SG_bbb: ; @_ZN9rocsparseL38bsrgemm_block_per_row_atomic_multipassILj256ELj16ELj8EiifEEv20rocsparse_direction_T3_S2_PKS2_S4_NS_24const_host_device_scalarIT4_EEPKT2_S4_PKS6_SA_S4_SC_S7_SA_S4_SC_SA_PS2_PS6_PS8_21rocsparse_index_base_SG_SG_SG_bbb
; %bb.0:
	s_load_dword s7, s[4:5], 0xa8
	s_load_dwordx4 s[44:47], s[4:5], 0x98
	s_load_dwordx2 s[0:1], s[4:5], 0x20
	s_load_dwordx2 s[8:9], s[4:5], 0x58
	s_waitcnt lgkmcnt(0)
	s_bitcmp1_b32 s7, 0
	s_cselect_b64 s[20:21], -1, 0
	s_bitcmp1_b32 s7, 16
	s_cselect_b64 s[10:11], -1, 0
	s_xor_b64 s[2:3], s[20:21], -1
	s_or_b64 s[2:3], s[2:3], s[10:11]
	s_and_b64 vcc, exec, s[2:3]
	s_cbranch_vccnz .LBB19_2
; %bb.1:
	s_load_dword s0, s[0:1], 0x0
	s_waitcnt lgkmcnt(0)
	v_mov_b32_e32 v1, s0
	s_branch .LBB19_3
.LBB19_2:
	v_mov_b32_e32 v1, s0
	v_cndmask_b32_e64 v1, 0, v1, s[20:21]
.LBB19_3:
	s_load_dwordx2 s[2:3], s[4:5], 0x18
	s_bitcmp1_b32 s7, 8
	s_cselect_b64 s[0:1], -1, 0
	s_xor_b64 s[12:13], s[0:1], -1
	s_or_b64 s[10:11], s[12:13], s[10:11]
	s_and_b64 vcc, exec, s[10:11]
	s_cbranch_vccnz .LBB19_5
; %bb.4:
	s_load_dword s7, s[8:9], 0x0
	s_waitcnt lgkmcnt(0)
	v_mov_b32_e32 v3, s7
	s_load_dwordx2 s[8:9], s[4:5], 0x28
	s_cmp_eq_u64 s[2:3], 0
	s_cbranch_scc0 .LBB19_6
	s_branch .LBB19_7
.LBB19_5:
	v_mov_b32_e32 v2, s8
	v_cndmask_b32_e64 v3, 0, v2, s[0:1]
	s_load_dwordx2 s[8:9], s[4:5], 0x28
	s_waitcnt lgkmcnt(0)
	s_cmp_eq_u64 s[2:3], 0
	s_cbranch_scc1 .LBB19_7
.LBB19_6:
	s_load_dwordx2 s[10:11], s[4:5], 0x10
	s_waitcnt lgkmcnt(0)
	s_load_dword s7, s[10:11], 0x0
	s_waitcnt lgkmcnt(0)
	s_add_i32 s6, s7, s6
	s_mov_b32 s7, 0
	s_lshl_b64 s[6:7], s[6:7], 2
	s_add_u32 s2, s2, s6
	s_addc_u32 s3, s3, s7
	s_load_dword s6, s[2:3], 0x0
.LBB19_7:
	v_cndmask_b32_e64 v2, 0, 1, s[20:21]
	s_mov_b32 s33, 0
	v_cmp_ne_u32_e64 s[2:3], 1, v2
	s_andn2_b64 vcc, exec, s[20:21]
	s_mov_b32 s78, 0
	s_cbranch_vccz .LBB19_10
; %bb.8:
	s_and_b64 vcc, exec, s[2:3]
	s_cbranch_vccz .LBB19_11
.LBB19_9:
	s_load_dwordx4 s[48:51], s[4:5], 0x0
	s_waitcnt lgkmcnt(0)
	s_cmp_lt_i32 s49, 1
	s_cbranch_scc0 .LBB19_12
	s_branch .LBB19_94
.LBB19_10:
	s_waitcnt lgkmcnt(0)
	s_ashr_i32 s7, s6, 31
	s_lshl_b64 s[10:11], s[6:7], 2
	s_add_u32 s10, s8, s10
	s_addc_u32 s11, s9, s11
	s_load_dword s7, s[10:11], 0x0
	s_waitcnt lgkmcnt(0)
	s_sub_i32 s78, s7, s44
	s_and_b64 vcc, exec, s[2:3]
	s_cbranch_vccnz .LBB19_9
.LBB19_11:
	s_waitcnt lgkmcnt(0)
	s_ashr_i32 s7, s6, 31
	s_lshl_b64 s[2:3], s[6:7], 2
	s_add_u32 s2, s8, s2
	s_addc_u32 s3, s9, s3
	s_load_dword s2, s[2:3], 0x4
	s_waitcnt lgkmcnt(0)
	s_sub_i32 s33, s2, s44
	s_load_dwordx4 s[48:51], s[4:5], 0x0
	s_waitcnt lgkmcnt(0)
	s_cmp_lt_i32 s49, 1
	s_cbranch_scc1 .LBB19_94
.LBB19_12:
	s_load_dwordx2 s[34:35], s[4:5], 0x90
	s_load_dwordx4 s[52:55], s[4:5], 0x80
	s_load_dwordx8 s[24:31], s[4:5], 0x60
	s_load_dwordx2 s[56:57], s[4:5], 0x50
	s_load_dwordx8 s[36:43], s[4:5], 0x30
	s_ashr_i32 s7, s6, 31
	s_lshl_b64 s[8:9], s[6:7], 2
	s_waitcnt lgkmcnt(0)
	s_add_u32 s2, s30, s8
	s_addc_u32 s3, s31, s9
	s_load_dword s2, s[2:3], 0x0
	v_and_b32_e32 v2, 7, v0
	v_bfe_u32 v4, v0, 3, 3
	v_max_i32_e32 v7, v2, v4
	v_and_b32_e32 v6, 63, v0
	s_waitcnt lgkmcnt(0)
	s_sub_i32 s62, s2, s46
	s_cmp_lt_i32 s78, s33
	s_cselect_b64 s[22:23], -1, 0
	s_cmp_eq_u32 s48, 0
	s_cselect_b64 vcc, -1, 0
	s_cmp_lg_u32 s48, 0
	v_lshrrev_b32_e32 v5, 6, v0
	v_cmp_gt_u32_e64 s[2:3], 16, v0
	v_cmp_eq_u32_e64 s[4:5], 0, v0
	v_cmp_gt_i32_e64 s[6:7], s50, v7
	v_lshlrev_b32_e32 v7, 2, v0
	s_cselect_b64 s[30:31], -1, 0
	s_cmp_gt_i32 s50, 0
	v_and_b32_e32 v17, 56, v0
	v_and_b32_e32 v0, 15, v0
	s_cselect_b64 s[58:59], -1, 0
	s_add_u32 s24, s24, s8
	v_add_co_u32_e64 v8, s[10:11], -1, v0
	v_mov_b32_e32 v9, 0x1400
	s_movk_i32 s63, 0x1000
	s_addc_u32 s25, s25, s9
	v_lshl_add_u32 v20, v8, 2, v9
	s_and_b64 s[60:61], s[20:21], s[22:23]
	v_lshlrev_b32_e32 v8, 8, v5
	v_lshlrev_b32_e32 v10, 2, v4
	v_cmp_eq_u32_e64 s[8:9], 63, v6
	v_lshlrev_b32_e32 v6, 2, v0
	s_add_u32 s48, s40, 4
	v_or3_b32 v25, v8, v10, s63
	s_mul_i32 s79, s50, s50
	v_and_b32_e32 v8, 0x3e0, v7
	s_mov_b32 s81, 0
	v_or_b32_e32 v16, 0x1000, v7
	v_subrev_u32_e32 v18, s47, v5
	v_or_b32_e32 v19, 0x1400, v6
	v_or_b32_e32 v21, 0x1400, v7
	v_cmp_ne_u32_e64 s[12:13], 0, v0
	v_cmp_lt_u32_e64 s[14:15], 1, v0
	v_add_u32_e32 v22, 0x13f8, v6
	v_cmp_lt_u32_e64 s[16:17], 3, v0
	v_add_u32_e32 v23, 0x13f0, v6
	;; [unrolled: 2-line block ×3, first 2 shown]
	v_cndmask_b32_e32 v0, v2, v4, vcc
	v_cndmask_b32_e32 v6, v4, v2, vcc
	s_addc_u32 s51, s41, 0
	v_or_b32_e32 v26, 0x1000, v8
	s_lshl_b32 s80, s79, 2
	v_lshl_or_b32 v27, v5, 2, v9
	v_mov_b32_e32 v31, 16
	v_mov_b32_e32 v28, s62
	;; [unrolled: 1-line block ×4, first 2 shown]
	s_branch .LBB19_14
.LBB19_13:                              ;   in Loop: Header=BB19_14 Depth=1
	s_or_b64 exec, exec, s[20:21]
	s_barrier
	ds_read_b32 v8, v29 offset:5184
	v_add_u32_e32 v28, v10, v28
	s_waitcnt lgkmcnt(0)
	s_barrier
	v_cmp_le_i32_e32 vcc, s49, v8
	v_readfirstlane_b32 s81, v8
	v_add_u32_e32 v31, 16, v8
	s_cbranch_vccnz .LBB19_94
.LBB19_14:                              ; =>This Loop Header: Depth=1
                                        ;     Child Loop BB19_18 Depth 2
                                        ;     Child Loop BB19_27 Depth 2
                                        ;       Child Loop BB19_40 Depth 3
                                        ;         Child Loop BB19_49 Depth 4
                                        ;         Child Loop BB19_54 Depth 4
                                        ;     Child Loop BB19_65 Depth 2
                                        ;     Child Loop BB19_74 Depth 2
	;; [unrolled: 1-line block ×3, first 2 shown]
	s_and_saveexec_b64 s[20:21], s[2:3]
	s_cbranch_execz .LBB19_16
; %bb.15:                               ;   in Loop: Header=BB19_14 Depth=1
	ds_write_b32 v21, v29
.LBB19_16:                              ;   in Loop: Header=BB19_14 Depth=1
	s_or_b64 exec, exec, s[20:21]
	s_mov_b32 s64, 0
	s_mov_b64 s[20:21], 0
	v_mov_b32_e32 v8, v7
	s_branch .LBB19_18
.LBB19_17:                              ;   in Loop: Header=BB19_18 Depth=2
	s_or_b64 exec, exec, s[62:63]
	s_add_i32 s64, s64, 2
	v_cmp_eq_u32_e64 s[22:23], 4, s64
	s_or_b64 s[20:21], s[22:23], s[20:21]
	v_add_u32_e32 v8, 0x800, v8
	s_andn2_b64 exec, exec, s[20:21]
	s_cbranch_execz .LBB19_22
.LBB19_18:                              ;   Parent Loop BB19_14 Depth=1
                                        ; =>  This Inner Loop Header: Depth=2
	s_or_b32 s22, s64, 1
	v_cmp_le_u32_e64 s[22:23], s22, 3
	v_cmp_le_u32_e64 s[66:67], s64, 3
	s_and_saveexec_b64 s[62:63], s[66:67]
	s_cbranch_execz .LBB19_20
; %bb.19:                               ;   in Loop: Header=BB19_18 Depth=2
	ds_write_b32 v8, v29
.LBB19_20:                              ;   in Loop: Header=BB19_18 Depth=2
	s_or_b64 exec, exec, s[62:63]
	s_and_saveexec_b64 s[62:63], s[22:23]
	s_cbranch_execz .LBB19_17
; %bb.21:                               ;   in Loop: Header=BB19_18 Depth=2
	ds_write_b32 v8, v29 offset:1024
	s_branch .LBB19_17
.LBB19_22:                              ;   in Loop: Header=BB19_14 Depth=1
	s_or_b64 exec, exec, s[20:21]
	s_and_saveexec_b64 s[20:21], s[4:5]
	s_cbranch_execz .LBB19_24
; %bb.23:                               ;   in Loop: Header=BB19_14 Depth=1
	v_mov_b32_e32 v8, s49
	ds_write_b32 v29, v8 offset:5184
.LBB19_24:                              ;   in Loop: Header=BB19_14 Depth=1
	s_or_b64 exec, exec, s[20:21]
	s_andn2_b64 vcc, exec, s[60:61]
	v_mov_b32_e32 v32, s49
	s_waitcnt lgkmcnt(0)
	s_barrier
	s_cbranch_vccnz .LBB19_60
; %bb.25:                               ;   in Loop: Header=BB19_14 Depth=1
	s_cmp_lg_u32 s81, 0
	s_cselect_b64 s[62:63], -1, 0
	v_mov_b32_e32 v32, s49
	s_mov_b32 s82, s78
	s_branch .LBB19_27
.LBB19_26:                              ;   in Loop: Header=BB19_27 Depth=2
	s_or_b64 exec, exec, s[22:23]
	s_add_i32 s82, s82, 4
	s_cmp_lt_i32 s82, s33
	s_cbranch_scc0 .LBB19_60
.LBB19_27:                              ;   Parent Loop BB19_14 Depth=1
                                        ; =>  This Loop Header: Depth=2
                                        ;       Child Loop BB19_40 Depth 3
                                        ;         Child Loop BB19_49 Depth 4
                                        ;         Child Loop BB19_54 Depth 4
	v_add_u32_e32 v8, s82, v5
	v_cmp_gt_i32_e64 s[20:21], s33, v8
	s_barrier
	s_and_saveexec_b64 s[22:23], s[20:21]
	s_cbranch_execz .LBB19_31
; %bb.28:                               ;   in Loop: Header=BB19_27 Depth=2
	v_mov_b32_e32 v9, 0
	s_and_saveexec_b64 s[64:65], s[6:7]
	s_cbranch_execz .LBB19_30
; %bb.29:                               ;   in Loop: Header=BB19_27 Depth=2
	v_mad_u64_u32 v[10:11], s[66:67], v8, s50, v[4:5]
	v_mad_u64_u32 v[10:11], s[66:67], v10, s50, v[2:3]
	v_ashrrev_i32_e32 v11, 31, v10
	v_lshlrev_b64 v[10:11], 2, v[10:11]
	v_mov_b32_e32 v9, s39
	v_add_co_u32_e32 v10, vcc, s38, v10
	v_addc_co_u32_e32 v11, vcc, v9, v11, vcc
	global_load_dword v9, v[10:11], off
.LBB19_30:                              ;   in Loop: Header=BB19_27 Depth=2
	s_or_b64 exec, exec, s[64:65]
	s_waitcnt vmcnt(0)
	ds_write_b32 v16, v9
.LBB19_31:                              ;   in Loop: Header=BB19_27 Depth=2
	s_or_b64 exec, exec, s[22:23]
	v_mov_b32_e32 v10, 0
	s_waitcnt lgkmcnt(0)
	s_barrier
	s_and_saveexec_b64 s[64:65], s[20:21]
	s_cbranch_execz .LBB19_57
; %bb.32:                               ;   in Loop: Header=BB19_27 Depth=2
	v_ashrrev_i32_e32 v9, 31, v8
	v_lshlrev_b64 v[10:11], 2, v[8:9]
	v_mov_b32_e32 v9, s37
	v_add_co_u32_e32 v12, vcc, s36, v10
	v_addc_co_u32_e32 v13, vcc, v9, v11, vcc
	global_load_dword v9, v[12:13], off
	s_and_b64 vcc, exec, s[62:63]
	s_waitcnt vmcnt(0)
	v_subrev_u32_e32 v12, s44, v9
	v_ashrrev_i32_e32 v13, 31, v12
	s_cbranch_vccz .LBB19_59
; %bb.33:                               ;   in Loop: Header=BB19_27 Depth=2
	v_mov_b32_e32 v9, s35
	v_add_co_u32_e32 v10, vcc, s34, v10
	v_addc_co_u32_e32 v11, vcc, v9, v11, vcc
	global_load_dword v10, v[10:11], off
	s_cbranch_execnz .LBB19_35
.LBB19_34:                              ;   in Loop: Header=BB19_27 Depth=2
	s_waitcnt vmcnt(0)
	v_lshlrev_b64 v[10:11], 2, v[12:13]
	v_mov_b32_e32 v9, s41
	v_add_co_u32_e32 v10, vcc, s40, v10
	v_addc_co_u32_e32 v11, vcc, v9, v11, vcc
	global_load_dword v9, v[10:11], off
	s_waitcnt vmcnt(0)
	v_subrev_u32_e32 v10, s45, v9
.LBB19_35:                              ;   in Loop: Header=BB19_27 Depth=2
	v_lshlrev_b64 v[12:13], 2, v[12:13]
	v_mov_b32_e32 v9, s51
	v_add_co_u32_e32 v12, vcc, s48, v12
	v_addc_co_u32_e32 v13, vcc, v9, v13, vcc
	global_load_dword v9, v[12:13], off
	s_waitcnt vmcnt(0)
	v_subrev_u32_e32 v9, s45, v9
	v_cmp_lt_i32_e32 vcc, v10, v9
	s_and_saveexec_b64 s[66:67], vcc
	s_cbranch_execz .LBB19_56
; %bb.36:                               ;   in Loop: Header=BB19_27 Depth=2
	v_mad_u64_u32 v[12:13], s[22:23], s50, v10, v[2:3]
	v_mul_lo_u32 v33, s50, v12
	v_mad_u64_u32 v[12:13], s[22:23], s79, v10, v[2:3]
	s_mov_b64 s[68:69], 0
	v_mov_b32_e32 v13, v10
	s_branch .LBB19_40
.LBB19_37:                              ;   in Loop: Header=BB19_40 Depth=3
	v_lshlrev_b32_e32 v11, 6, v11
	v_or3_b32 v11, v11, v17, v2
	v_lshlrev_b32_e32 v11, 2, v11
	v_mul_f32_e32 v14, v1, v34
	ds_add_f32 v11, v14
.LBB19_38:                              ;   in Loop: Header=BB19_40 Depth=3
	s_or_b64 exec, exec, s[74:75]
	s_or_b64 s[70:71], s[70:71], exec
.LBB19_39:                              ;   in Loop: Header=BB19_40 Depth=3
	s_or_b64 exec, exec, s[72:73]
	v_add_u32_e32 v10, 1, v10
	v_cmp_ge_i32_e32 vcc, v10, v9
	s_xor_b64 s[22:23], s[70:71], -1
	s_or_b64 s[22:23], s[22:23], vcc
	s_and_b64 s[22:23], exec, s[22:23]
	v_add_u32_e32 v33, s79, v33
	s_or_b64 s[68:69], s[22:23], s[68:69]
	v_add_u32_e32 v12, s79, v12
	s_andn2_b64 exec, exec, s[68:69]
	s_cbranch_execz .LBB19_55
.LBB19_40:                              ;   Parent Loop BB19_14 Depth=1
                                        ;     Parent Loop BB19_27 Depth=2
                                        ; =>    This Loop Header: Depth=3
                                        ;         Child Loop BB19_49 Depth 4
                                        ;         Child Loop BB19_54 Depth 4
	v_ashrrev_i32_e32 v11, 31, v10
	v_lshlrev_b64 v[14:15], 2, v[10:11]
	v_mov_b32_e32 v11, s43
	v_add_co_u32_e32 v14, vcc, s42, v14
	v_addc_co_u32_e32 v15, vcc, v11, v15, vcc
	global_load_dword v11, v[14:15], off
                                        ; implicit-def: $sgpr70_sgpr71
	s_waitcnt vmcnt(0)
	v_subrev_u32_e32 v11, s45, v11
	v_cmp_gt_i32_e64 s[22:23], s81, v11
	v_cmp_ge_i32_e32 vcc, v11, v31
	s_or_b64 s[22:23], s[22:23], vcc
	s_and_saveexec_b64 s[72:73], s[22:23]
	s_xor_b64 s[22:23], exec, s[72:73]
	s_cbranch_execz .LBB19_44
; %bb.41:                               ;   in Loop: Header=BB19_40 Depth=3
	s_mov_b64 s[70:71], -1
	s_and_saveexec_b64 s[72:73], vcc
; %bb.42:                               ;   in Loop: Header=BB19_40 Depth=3
	v_min_i32_e32 v32, v11, v32
	s_xor_b64 s[70:71], exec, -1
	v_mov_b32_e32 v13, v10
; %bb.43:                               ;   in Loop: Header=BB19_40 Depth=3
	s_or_b64 exec, exec, s[72:73]
	s_and_b64 s[70:71], s[70:71], exec
                                        ; implicit-def: $vgpr11
.LBB19_44:                              ;   in Loop: Header=BB19_40 Depth=3
	s_andn2_saveexec_b64 s[72:73], s[22:23]
	s_cbranch_execz .LBB19_39
; %bb.45:                               ;   in Loop: Header=BB19_40 Depth=3
	v_subrev_u32_e32 v11, s81, v11
	v_lshlrev_b32_e32 v14, 2, v11
	ds_write_b32 v14, v30 offset:5120
	s_and_saveexec_b64 s[74:75], s[6:7]
	s_cbranch_execz .LBB19_38
; %bb.46:                               ;   in Loop: Header=BB19_40 Depth=3
	v_cndmask_b32_e64 v14, 0, 1, s[58:59]
	s_andn2_b64 vcc, exec, s[30:31]
	v_cmp_ne_u32_e64 s[22:23], 1, v14
	s_cbranch_vccnz .LBB19_51
; %bb.47:                               ;   in Loop: Header=BB19_40 Depth=3
	v_mov_b32_e32 v34, 0
	s_and_b64 vcc, exec, s[22:23]
	s_cbranch_vccnz .LBB19_50
; %bb.48:                               ;   in Loop: Header=BB19_40 Depth=3
	v_mov_b32_e32 v14, v33
	s_mov_b32 s76, s50
	v_mov_b32_e32 v35, v25
.LBB19_49:                              ;   Parent Loop BB19_14 Depth=1
                                        ;     Parent Loop BB19_27 Depth=2
                                        ;       Parent Loop BB19_40 Depth=3
                                        ; =>      This Inner Loop Header: Depth=4
	v_ashrrev_i32_e32 v15, 31, v14
	v_lshlrev_b64 v[36:37], 2, v[14:15]
	v_mov_b32_e32 v38, s57
	v_add_co_u32_e32 v36, vcc, s56, v36
	v_addc_co_u32_e32 v37, vcc, v38, v37, vcc
	global_load_dword v15, v[36:37], off
	ds_read_b32 v36, v35
	s_add_i32 s76, s76, -1
	v_add_u32_e32 v35, 32, v35
	v_add_u32_e32 v14, 1, v14
	s_cmp_lg_u32 s76, 0
	s_waitcnt vmcnt(0) lgkmcnt(0)
	v_fmac_f32_e32 v34, v36, v15
	s_cbranch_scc1 .LBB19_49
.LBB19_50:                              ;   in Loop: Header=BB19_40 Depth=3
	s_cbranch_execnz .LBB19_37
	s_branch .LBB19_52
.LBB19_51:                              ;   in Loop: Header=BB19_40 Depth=3
                                        ; implicit-def: $vgpr34
.LBB19_52:                              ;   in Loop: Header=BB19_40 Depth=3
	v_mov_b32_e32 v34, 0
	s_and_b64 vcc, exec, s[22:23]
	s_cbranch_vccnz .LBB19_37
; %bb.53:                               ;   in Loop: Header=BB19_40 Depth=3
	v_mov_b32_e32 v35, v26
	v_mov_b32_e32 v14, v12
	s_mov_b32 s22, s50
.LBB19_54:                              ;   Parent Loop BB19_14 Depth=1
                                        ;     Parent Loop BB19_27 Depth=2
                                        ;       Parent Loop BB19_40 Depth=3
                                        ; =>      This Inner Loop Header: Depth=4
	v_ashrrev_i32_e32 v15, 31, v14
	v_lshlrev_b64 v[36:37], 2, v[14:15]
	v_mov_b32_e32 v38, s57
	v_add_co_u32_e32 v36, vcc, s56, v36
	v_addc_co_u32_e32 v37, vcc, v38, v37, vcc
	global_load_dword v15, v[36:37], off
	ds_read_b32 v36, v35
	s_add_i32 s22, s22, -1
	v_add_u32_e32 v35, 4, v35
	v_add_u32_e32 v14, s50, v14
	s_cmp_eq_u32 s22, 0
	s_waitcnt vmcnt(0) lgkmcnt(0)
	v_fmac_f32_e32 v34, v36, v15
	s_cbranch_scc0 .LBB19_54
	s_branch .LBB19_37
.LBB19_55:                              ;   in Loop: Header=BB19_27 Depth=2
	s_or_b64 exec, exec, s[68:69]
	v_mov_b32_e32 v10, v13
.LBB19_56:                              ;   in Loop: Header=BB19_27 Depth=2
	s_or_b64 exec, exec, s[66:67]
.LBB19_57:                              ;   in Loop: Header=BB19_27 Depth=2
	s_or_b64 exec, exec, s[64:65]
	s_waitcnt lgkmcnt(0)
	s_barrier
	s_and_saveexec_b64 s[22:23], s[20:21]
	s_cbranch_execz .LBB19_26
; %bb.58:                               ;   in Loop: Header=BB19_27 Depth=2
	v_ashrrev_i32_e32 v9, 31, v8
	v_lshlrev_b64 v[8:9], 2, v[8:9]
	v_mov_b32_e32 v11, s35
	v_add_co_u32_e32 v8, vcc, s34, v8
	v_addc_co_u32_e32 v9, vcc, v11, v9, vcc
	global_store_dword v[8:9], v10, off
	s_branch .LBB19_26
.LBB19_59:                              ;   in Loop: Header=BB19_27 Depth=2
                                        ; implicit-def: $vgpr10
	s_branch .LBB19_34
.LBB19_60:                              ;   in Loop: Header=BB19_14 Depth=1
	s_andn2_b64 vcc, exec, s[0:1]
	s_cbranch_vccnz .LBB19_72
; %bb.61:                               ;   in Loop: Header=BB19_14 Depth=1
	s_load_dwordx2 s[20:21], s[24:25], 0x0
	s_waitcnt lgkmcnt(0)
	s_sub_i32 s68, s21, s47
	v_add_u32_e32 v8, s20, v18
	v_cmp_gt_i32_e32 vcc, s68, v8
	s_and_saveexec_b64 s[62:63], vcc
	s_cbranch_execz .LBB19_71
; %bb.62:                               ;   in Loop: Header=BB19_14 Depth=1
	v_mad_u64_u32 v[10:11], s[20:21], s50, v8, v[0:1]
	v_mad_u64_u32 v[10:11], s[20:21], s50, v10, v[6:7]
	s_mov_b64 s[64:65], 0
	s_branch .LBB19_65
.LBB19_63:                              ;   in Loop: Header=BB19_65 Depth=2
	s_or_b64 exec, exec, s[66:67]
	s_or_b64 s[20:21], s[20:21], exec
.LBB19_64:                              ;   in Loop: Header=BB19_65 Depth=2
	s_or_b64 exec, exec, s[22:23]
	v_add_u32_e32 v8, 4, v8
	v_cmp_le_i32_e32 vcc, s68, v8
	s_xor_b64 s[20:21], s[20:21], -1
	s_or_b64 s[20:21], vcc, s[20:21]
	s_and_b64 s[20:21], exec, s[20:21]
	s_or_b64 s[64:65], s[20:21], s[64:65]
	v_add_u32_e32 v10, s80, v10
	s_andn2_b64 exec, exec, s[64:65]
	s_cbranch_execz .LBB19_70
.LBB19_65:                              ;   Parent Loop BB19_14 Depth=1
                                        ; =>  This Inner Loop Header: Depth=2
	v_ashrrev_i32_e32 v9, 31, v8
	v_lshlrev_b64 v[12:13], 2, v[8:9]
	v_mov_b32_e32 v9, s27
	v_add_co_u32_e32 v12, vcc, s26, v12
	v_addc_co_u32_e32 v13, vcc, v9, v13, vcc
	global_load_dword v9, v[12:13], off
	s_waitcnt vmcnt(0)
	v_subrev_u32_e32 v9, s47, v9
	v_cmp_gt_i32_e64 s[20:21], s81, v9
	v_cmp_ge_i32_e64 s[22:23], v9, v31
	v_cmp_lt_i32_e32 vcc, v9, v31
	s_or_b64 s[22:23], s[20:21], s[22:23]
                                        ; implicit-def: $sgpr20_sgpr21
	s_and_saveexec_b64 s[66:67], s[22:23]
	s_xor_b64 s[22:23], exec, s[66:67]
; %bb.66:                               ;   in Loop: Header=BB19_65 Depth=2
	v_min_i32_e32 v9, v9, v32
	v_cndmask_b32_e32 v32, v9, v32, vcc
	s_and_b64 s[20:21], vcc, exec
                                        ; implicit-def: $vgpr9
; %bb.67:                               ;   in Loop: Header=BB19_65 Depth=2
	s_andn2_saveexec_b64 s[22:23], s[22:23]
	s_cbranch_execz .LBB19_64
; %bb.68:                               ;   in Loop: Header=BB19_65 Depth=2
	v_subrev_u32_e32 v9, s81, v9
	v_lshlrev_b32_e32 v11, 2, v9
	ds_write_b32 v11, v30 offset:5120
	s_and_saveexec_b64 s[66:67], s[6:7]
	s_cbranch_execz .LBB19_63
; %bb.69:                               ;   in Loop: Header=BB19_65 Depth=2
	v_ashrrev_i32_e32 v11, 31, v10
	v_lshlrev_b64 v[12:13], 2, v[10:11]
	v_mov_b32_e32 v11, s29
	v_add_co_u32_e32 v12, vcc, s28, v12
	v_addc_co_u32_e32 v13, vcc, v11, v13, vcc
	global_load_dword v11, v[12:13], off
	v_lshlrev_b32_e32 v9, 6, v9
	v_or3_b32 v9, v9, v17, v2
	v_lshlrev_b32_e32 v9, 2, v9
	s_waitcnt vmcnt(0)
	v_mul_f32_e32 v11, v3, v11
	ds_add_f32 v9, v11
	s_branch .LBB19_63
.LBB19_70:                              ;   in Loop: Header=BB19_14 Depth=1
	s_or_b64 exec, exec, s[64:65]
.LBB19_71:                              ;   in Loop: Header=BB19_14 Depth=1
	s_or_b64 exec, exec, s[62:63]
.LBB19_72:                              ;   in Loop: Header=BB19_14 Depth=1
	s_and_saveexec_b64 s[20:21], s[8:9]
	s_cbranch_execz .LBB19_77
; %bb.73:                               ;   in Loop: Header=BB19_14 Depth=1
	s_mov_b64 s[22:23], exec
	s_brev_b32 s62, -2
.LBB19_74:                              ;   Parent Loop BB19_14 Depth=1
                                        ; =>  This Inner Loop Header: Depth=2
	s_ff1_i32_b64 s63, s[22:23]
	v_readlane_b32 s66, v32, s63
	s_lshl_b64 s[64:65], 1, s63
	s_min_i32 s62, s62, s66
	s_andn2_b64 s[22:23], s[22:23], s[64:65]
	s_cmp_lg_u64 s[22:23], 0
	s_cbranch_scc1 .LBB19_74
; %bb.75:                               ;   in Loop: Header=BB19_14 Depth=1
	v_mbcnt_lo_u32_b32 v8, exec_lo, 0
	v_mbcnt_hi_u32_b32 v8, exec_hi, v8
	v_cmp_eq_u32_e32 vcc, 0, v8
	s_and_saveexec_b64 s[22:23], vcc
	s_xor_b64 s[22:23], exec, s[22:23]
	s_cbranch_execz .LBB19_77
; %bb.76:                               ;   in Loop: Header=BB19_14 Depth=1
	v_mov_b32_e32 v8, s62
	ds_min_i32 v29, v8 offset:5184
.LBB19_77:                              ;   in Loop: Header=BB19_14 Depth=1
	s_or_b64 exec, exec, s[20:21]
	s_waitcnt lgkmcnt(0)
	s_barrier
	ds_read_b32 v8, v19
	s_waitcnt lgkmcnt(0)
	s_barrier
	s_and_saveexec_b64 s[20:21], s[12:13]
	s_cbranch_execz .LBB19_79
; %bb.78:                               ;   in Loop: Header=BB19_14 Depth=1
	ds_read_b32 v9, v20
	s_waitcnt lgkmcnt(0)
	v_add_u32_e32 v8, v9, v8
.LBB19_79:                              ;   in Loop: Header=BB19_14 Depth=1
	s_or_b64 exec, exec, s[20:21]
	s_barrier
	ds_write_b32 v19, v8
	s_waitcnt lgkmcnt(0)
	s_barrier
	s_and_saveexec_b64 s[20:21], s[14:15]
	s_cbranch_execz .LBB19_81
; %bb.80:                               ;   in Loop: Header=BB19_14 Depth=1
	ds_read_b32 v9, v22
	s_waitcnt lgkmcnt(0)
	v_add_u32_e32 v8, v9, v8
.LBB19_81:                              ;   in Loop: Header=BB19_14 Depth=1
	s_or_b64 exec, exec, s[20:21]
	s_barrier
	ds_write_b32 v19, v8
	;; [unrolled: 12-line block ×4, first 2 shown]
	s_waitcnt lgkmcnt(0)
	s_barrier
	ds_read_b32 v10, v29 offset:5180
	v_mov_b32_e32 v9, 0
	s_and_saveexec_b64 s[20:21], s[10:11]
	s_cbranch_execz .LBB19_87
; %bb.86:                               ;   in Loop: Header=BB19_14 Depth=1
	ds_read_b32 v9, v20
.LBB19_87:                              ;   in Loop: Header=BB19_14 Depth=1
	s_or_b64 exec, exec, s[20:21]
	s_waitcnt lgkmcnt(0)
	v_cmp_eq_u32_e32 vcc, v8, v9
	s_and_b64 s[22:23], s[10:11], vcc
	s_barrier
	s_and_saveexec_b64 s[20:21], s[22:23]
	s_cbranch_execz .LBB19_89
; %bb.88:                               ;   in Loop: Header=BB19_14 Depth=1
	ds_write_b32 v19, v29
.LBB19_89:                              ;   in Loop: Header=BB19_14 Depth=1
	s_or_b64 exec, exec, s[20:21]
	v_add_u32_e32 v11, -1, v28
	s_add_i32 s62, s46, s81
	s_mov_b64 s[20:21], 0
	v_mov_b32_e32 v12, v27
	v_mov_b32_e32 v13, v7
	;; [unrolled: 1-line block ×3, first 2 shown]
	s_waitcnt lgkmcnt(0)
	s_barrier
	s_branch .LBB19_91
.LBB19_90:                              ;   in Loop: Header=BB19_91 Depth=2
	s_or_b64 exec, exec, s[22:23]
	v_add_u32_e32 v8, 4, v14
	v_cmp_lt_u32_e32 vcc, 11, v14
	v_add_u32_e32 v13, 0x400, v13
	v_add_u32_e32 v12, 16, v12
	s_or_b64 s[20:21], vcc, s[20:21]
	v_mov_b32_e32 v14, v8
	s_andn2_b64 exec, exec, s[20:21]
	s_cbranch_execz .LBB19_13
.LBB19_91:                              ;   Parent Loop BB19_14 Depth=1
                                        ; =>  This Inner Loop Header: Depth=2
	ds_read_b32 v8, v12
	s_waitcnt lgkmcnt(0)
	v_cmp_ne_u32_e32 vcc, 0, v8
	s_and_saveexec_b64 s[22:23], vcc
	s_cbranch_execz .LBB19_90
; %bb.92:                               ;   in Loop: Header=BB19_91 Depth=2
	v_add_u32_e32 v8, v11, v8
	v_ashrrev_i32_e32 v9, 31, v8
	v_lshlrev_b64 v[32:33], 2, v[8:9]
	v_mov_b32_e32 v9, s53
	v_add_co_u32_e32 v32, vcc, s52, v32
	v_add_u32_e32 v15, s62, v14
	v_addc_co_u32_e32 v33, vcc, v9, v33, vcc
	global_store_dword v[32:33], v15, off
	s_and_b64 exec, exec, s[6:7]
	s_cbranch_execz .LBB19_90
; %bb.93:                               ;   in Loop: Header=BB19_91 Depth=2
	v_mad_u64_u32 v[8:9], s[64:65], v8, s50, v[0:1]
	ds_read_b32 v15, v13
	v_mad_u64_u32 v[8:9], s[64:65], v8, s50, v[6:7]
	v_ashrrev_i32_e32 v9, 31, v8
	v_lshlrev_b64 v[8:9], 2, v[8:9]
	v_mov_b32_e32 v31, s55
	v_add_co_u32_e32 v8, vcc, s54, v8
	v_addc_co_u32_e32 v9, vcc, v31, v9, vcc
	s_waitcnt lgkmcnt(0)
	global_store_dword v[8:9], v15, off
	s_branch .LBB19_90
.LBB19_94:
	s_endpgm
	.section	.rodata,"a",@progbits
	.p2align	6, 0x0
	.amdhsa_kernel _ZN9rocsparseL38bsrgemm_block_per_row_atomic_multipassILj256ELj16ELj8EiifEEv20rocsparse_direction_T3_S2_PKS2_S4_NS_24const_host_device_scalarIT4_EEPKT2_S4_PKS6_SA_S4_SC_S7_SA_S4_SC_SA_PS2_PS6_PS8_21rocsparse_index_base_SG_SG_SG_bbb
		.amdhsa_group_segment_fixed_size 5188
		.amdhsa_private_segment_fixed_size 0
		.amdhsa_kernarg_size 172
		.amdhsa_user_sgpr_count 6
		.amdhsa_user_sgpr_private_segment_buffer 1
		.amdhsa_user_sgpr_dispatch_ptr 0
		.amdhsa_user_sgpr_queue_ptr 0
		.amdhsa_user_sgpr_kernarg_segment_ptr 1
		.amdhsa_user_sgpr_dispatch_id 0
		.amdhsa_user_sgpr_flat_scratch_init 0
		.amdhsa_user_sgpr_kernarg_preload_length 0
		.amdhsa_user_sgpr_kernarg_preload_offset 0
		.amdhsa_user_sgpr_private_segment_size 0
		.amdhsa_uses_dynamic_stack 0
		.amdhsa_system_sgpr_private_segment_wavefront_offset 0
		.amdhsa_system_sgpr_workgroup_id_x 1
		.amdhsa_system_sgpr_workgroup_id_y 0
		.amdhsa_system_sgpr_workgroup_id_z 0
		.amdhsa_system_sgpr_workgroup_info 0
		.amdhsa_system_vgpr_workitem_id 0
		.amdhsa_next_free_vgpr 39
		.amdhsa_next_free_sgpr 83
		.amdhsa_accum_offset 40
		.amdhsa_reserve_vcc 1
		.amdhsa_reserve_flat_scratch 0
		.amdhsa_float_round_mode_32 0
		.amdhsa_float_round_mode_16_64 0
		.amdhsa_float_denorm_mode_32 3
		.amdhsa_float_denorm_mode_16_64 3
		.amdhsa_dx10_clamp 1
		.amdhsa_ieee_mode 1
		.amdhsa_fp16_overflow 0
		.amdhsa_tg_split 0
		.amdhsa_exception_fp_ieee_invalid_op 0
		.amdhsa_exception_fp_denorm_src 0
		.amdhsa_exception_fp_ieee_div_zero 0
		.amdhsa_exception_fp_ieee_overflow 0
		.amdhsa_exception_fp_ieee_underflow 0
		.amdhsa_exception_fp_ieee_inexact 0
		.amdhsa_exception_int_div_zero 0
	.end_amdhsa_kernel
	.section	.text._ZN9rocsparseL38bsrgemm_block_per_row_atomic_multipassILj256ELj16ELj8EiifEEv20rocsparse_direction_T3_S2_PKS2_S4_NS_24const_host_device_scalarIT4_EEPKT2_S4_PKS6_SA_S4_SC_S7_SA_S4_SC_SA_PS2_PS6_PS8_21rocsparse_index_base_SG_SG_SG_bbb,"axG",@progbits,_ZN9rocsparseL38bsrgemm_block_per_row_atomic_multipassILj256ELj16ELj8EiifEEv20rocsparse_direction_T3_S2_PKS2_S4_NS_24const_host_device_scalarIT4_EEPKT2_S4_PKS6_SA_S4_SC_S7_SA_S4_SC_SA_PS2_PS6_PS8_21rocsparse_index_base_SG_SG_SG_bbb,comdat
.Lfunc_end19:
	.size	_ZN9rocsparseL38bsrgemm_block_per_row_atomic_multipassILj256ELj16ELj8EiifEEv20rocsparse_direction_T3_S2_PKS2_S4_NS_24const_host_device_scalarIT4_EEPKT2_S4_PKS6_SA_S4_SC_S7_SA_S4_SC_SA_PS2_PS6_PS8_21rocsparse_index_base_SG_SG_SG_bbb, .Lfunc_end19-_ZN9rocsparseL38bsrgemm_block_per_row_atomic_multipassILj256ELj16ELj8EiifEEv20rocsparse_direction_T3_S2_PKS2_S4_NS_24const_host_device_scalarIT4_EEPKT2_S4_PKS6_SA_S4_SC_S7_SA_S4_SC_SA_PS2_PS6_PS8_21rocsparse_index_base_SG_SG_SG_bbb
                                        ; -- End function
	.section	.AMDGPU.csdata,"",@progbits
; Kernel info:
; codeLenInByte = 2792
; NumSgprs: 87
; NumVgprs: 39
; NumAgprs: 0
; TotalNumVgprs: 39
; ScratchSize: 0
; MemoryBound: 0
; FloatMode: 240
; IeeeMode: 1
; LDSByteSize: 5188 bytes/workgroup (compile time only)
; SGPRBlocks: 10
; VGPRBlocks: 4
; NumSGPRsForWavesPerEU: 87
; NumVGPRsForWavesPerEU: 39
; AccumOffset: 40
; Occupancy: 8
; WaveLimiterHint : 1
; COMPUTE_PGM_RSRC2:SCRATCH_EN: 0
; COMPUTE_PGM_RSRC2:USER_SGPR: 6
; COMPUTE_PGM_RSRC2:TRAP_HANDLER: 0
; COMPUTE_PGM_RSRC2:TGID_X_EN: 1
; COMPUTE_PGM_RSRC2:TGID_Y_EN: 0
; COMPUTE_PGM_RSRC2:TGID_Z_EN: 0
; COMPUTE_PGM_RSRC2:TIDIG_COMP_CNT: 0
; COMPUTE_PGM_RSRC3_GFX90A:ACCUM_OFFSET: 9
; COMPUTE_PGM_RSRC3_GFX90A:TG_SPLIT: 0
	.section	.text._ZN9rocsparseL38bsrgemm_block_per_row_atomic_multipassILj256ELj32ELj8EiifEEv20rocsparse_direction_T3_S2_PKS2_S4_NS_24const_host_device_scalarIT4_EEPKT2_S4_PKS6_SA_S4_SC_S7_SA_S4_SC_SA_PS2_PS6_PS8_21rocsparse_index_base_SG_SG_SG_bbb,"axG",@progbits,_ZN9rocsparseL38bsrgemm_block_per_row_atomic_multipassILj256ELj32ELj8EiifEEv20rocsparse_direction_T3_S2_PKS2_S4_NS_24const_host_device_scalarIT4_EEPKT2_S4_PKS6_SA_S4_SC_S7_SA_S4_SC_SA_PS2_PS6_PS8_21rocsparse_index_base_SG_SG_SG_bbb,comdat
	.globl	_ZN9rocsparseL38bsrgemm_block_per_row_atomic_multipassILj256ELj32ELj8EiifEEv20rocsparse_direction_T3_S2_PKS2_S4_NS_24const_host_device_scalarIT4_EEPKT2_S4_PKS6_SA_S4_SC_S7_SA_S4_SC_SA_PS2_PS6_PS8_21rocsparse_index_base_SG_SG_SG_bbb ; -- Begin function _ZN9rocsparseL38bsrgemm_block_per_row_atomic_multipassILj256ELj32ELj8EiifEEv20rocsparse_direction_T3_S2_PKS2_S4_NS_24const_host_device_scalarIT4_EEPKT2_S4_PKS6_SA_S4_SC_S7_SA_S4_SC_SA_PS2_PS6_PS8_21rocsparse_index_base_SG_SG_SG_bbb
	.p2align	8
	.type	_ZN9rocsparseL38bsrgemm_block_per_row_atomic_multipassILj256ELj32ELj8EiifEEv20rocsparse_direction_T3_S2_PKS2_S4_NS_24const_host_device_scalarIT4_EEPKT2_S4_PKS6_SA_S4_SC_S7_SA_S4_SC_SA_PS2_PS6_PS8_21rocsparse_index_base_SG_SG_SG_bbb,@function
_ZN9rocsparseL38bsrgemm_block_per_row_atomic_multipassILj256ELj32ELj8EiifEEv20rocsparse_direction_T3_S2_PKS2_S4_NS_24const_host_device_scalarIT4_EEPKT2_S4_PKS6_SA_S4_SC_S7_SA_S4_SC_SA_PS2_PS6_PS8_21rocsparse_index_base_SG_SG_SG_bbb: ; @_ZN9rocsparseL38bsrgemm_block_per_row_atomic_multipassILj256ELj32ELj8EiifEEv20rocsparse_direction_T3_S2_PKS2_S4_NS_24const_host_device_scalarIT4_EEPKT2_S4_PKS6_SA_S4_SC_S7_SA_S4_SC_SA_PS2_PS6_PS8_21rocsparse_index_base_SG_SG_SG_bbb
; %bb.0:
	s_load_dword s7, s[4:5], 0xa8
	s_load_dwordx4 s[28:31], s[4:5], 0x98
	s_load_dwordx2 s[0:1], s[4:5], 0x20
	s_load_dwordx2 s[8:9], s[4:5], 0x58
	s_waitcnt lgkmcnt(0)
	s_bitcmp1_b32 s7, 0
	s_cselect_b64 s[22:23], -1, 0
	s_bitcmp1_b32 s7, 16
	s_cselect_b64 s[10:11], -1, 0
	s_xor_b64 s[2:3], s[22:23], -1
	s_or_b64 s[2:3], s[2:3], s[10:11]
	s_and_b64 vcc, exec, s[2:3]
	s_cbranch_vccnz .LBB20_2
; %bb.1:
	s_load_dword s0, s[0:1], 0x0
	s_waitcnt lgkmcnt(0)
	v_mov_b32_e32 v1, s0
	s_branch .LBB20_3
.LBB20_2:
	v_mov_b32_e32 v1, s0
	v_cndmask_b32_e64 v1, 0, v1, s[22:23]
.LBB20_3:
	s_load_dwordx2 s[2:3], s[4:5], 0x18
	s_bitcmp1_b32 s7, 8
	s_cselect_b64 s[0:1], -1, 0
	s_xor_b64 s[12:13], s[0:1], -1
	s_or_b64 s[10:11], s[12:13], s[10:11]
	s_and_b64 vcc, exec, s[10:11]
	s_cbranch_vccnz .LBB20_5
; %bb.4:
	s_load_dword s7, s[8:9], 0x0
	s_waitcnt lgkmcnt(0)
	v_mov_b32_e32 v3, s7
	s_load_dwordx2 s[8:9], s[4:5], 0x28
	s_cmp_eq_u64 s[2:3], 0
	s_cbranch_scc0 .LBB20_6
	s_branch .LBB20_7
.LBB20_5:
	v_mov_b32_e32 v2, s8
	v_cndmask_b32_e64 v3, 0, v2, s[0:1]
	s_load_dwordx2 s[8:9], s[4:5], 0x28
	s_waitcnt lgkmcnt(0)
	s_cmp_eq_u64 s[2:3], 0
	s_cbranch_scc1 .LBB20_7
.LBB20_6:
	s_load_dwordx2 s[10:11], s[4:5], 0x10
	s_waitcnt lgkmcnt(0)
	s_load_dword s7, s[10:11], 0x0
	s_waitcnt lgkmcnt(0)
	s_add_i32 s6, s7, s6
	s_mov_b32 s7, 0
	s_lshl_b64 s[6:7], s[6:7], 2
	s_add_u32 s2, s2, s6
	s_addc_u32 s3, s3, s7
	s_load_dword s6, s[2:3], 0x0
.LBB20_7:
	v_cndmask_b32_e64 v2, 0, 1, s[22:23]
	s_mov_b32 s33, 0
	v_cmp_ne_u32_e64 s[2:3], 1, v2
	s_andn2_b64 vcc, exec, s[22:23]
	s_mov_b32 s80, 0
	s_cbranch_vccz .LBB20_10
; %bb.8:
	s_and_b64 vcc, exec, s[2:3]
	s_cbranch_vccz .LBB20_11
.LBB20_9:
	s_load_dwordx4 s[52:55], s[4:5], 0x0
	s_waitcnt lgkmcnt(0)
	s_cmp_lt_i32 s53, 1
	s_cbranch_scc0 .LBB20_12
	s_branch .LBB20_96
.LBB20_10:
	s_waitcnt lgkmcnt(0)
	s_ashr_i32 s7, s6, 31
	s_lshl_b64 s[10:11], s[6:7], 2
	s_add_u32 s10, s8, s10
	s_addc_u32 s11, s9, s11
	s_load_dword s7, s[10:11], 0x0
	s_waitcnt lgkmcnt(0)
	s_sub_i32 s80, s7, s28
	s_and_b64 vcc, exec, s[2:3]
	s_cbranch_vccnz .LBB20_9
.LBB20_11:
	s_waitcnt lgkmcnt(0)
	s_ashr_i32 s7, s6, 31
	s_lshl_b64 s[2:3], s[6:7], 2
	s_add_u32 s2, s8, s2
	s_addc_u32 s3, s9, s3
	s_load_dword s2, s[2:3], 0x4
	s_waitcnt lgkmcnt(0)
	s_sub_i32 s33, s2, s28
	s_load_dwordx4 s[52:55], s[4:5], 0x0
	s_waitcnt lgkmcnt(0)
	s_cmp_lt_i32 s53, 1
	s_cbranch_scc1 .LBB20_96
.LBB20_12:
	s_load_dwordx2 s[34:35], s[4:5], 0x90
	s_load_dwordx4 s[56:59], s[4:5], 0x80
	s_load_dwordx8 s[36:43], s[4:5], 0x60
	s_load_dwordx2 s[60:61], s[4:5], 0x50
	s_load_dwordx8 s[44:51], s[4:5], 0x30
	s_ashr_i32 s7, s6, 31
	s_lshl_b64 s[8:9], s[6:7], 2
	s_waitcnt lgkmcnt(0)
	s_add_u32 s2, s42, s8
	s_addc_u32 s3, s43, s9
	s_load_dword s2, s[2:3], 0x0
	v_and_b32_e32 v2, 7, v0
	v_bfe_u32 v4, v0, 3, 3
	v_max_i32_e32 v7, v2, v4
	v_and_b32_e32 v6, 63, v0
	s_waitcnt lgkmcnt(0)
	s_sub_i32 s26, s2, s30
	s_cmp_lt_i32 s80, s33
	s_cselect_b64 s[24:25], -1, 0
	s_cmp_eq_u32 s52, 0
	v_lshrrev_b32_e32 v5, 6, v0
	v_cmp_gt_u32_e64 s[2:3], 32, v0
	v_cmp_eq_u32_e64 s[4:5], 0, v0
	v_cmp_gt_i32_e64 s[6:7], s54, v7
	v_lshlrev_b32_e32 v7, 2, v0
	s_cselect_b64 vcc, -1, 0
	s_cmp_lg_u32 s52, 0
	v_and_b32_e32 v17, 56, v0
	v_and_b32_e32 v0, 31, v0
	s_cselect_b64 s[42:43], -1, 0
	s_cmp_gt_i32 s54, 0
	v_add_co_u32_e64 v8, s[10:11], -1, v0
	v_mov_b32_e32 v9, 0x2400
	s_movk_i32 s27, 0x2000
	s_cselect_b64 s[62:63], -1, 0
	s_add_u32 s36, s36, s8
	v_lshl_add_u32 v20, v8, 2, v9
	v_lshlrev_b32_e32 v8, 8, v5
	v_lshlrev_b32_e32 v10, 2, v4
	s_addc_u32 s37, s37, s9
	s_and_b64 s[22:23], s[22:23], s[24:25]
	v_or3_b32 v26, v8, v10, s27
	v_and_b32_e32 v8, 0x3e0, v7
	v_cmp_eq_u32_e64 s[8:9], 63, v6
	v_lshlrev_b32_e32 v6, 2, v0
	s_add_u32 s52, s48, 4
	s_mul_i32 s81, s54, s54
	v_or_b32_e32 v27, 0x2000, v8
	v_cndmask_b32_e64 v8, 0, 1, s[22:23]
	s_mov_b32 s83, 0
	v_or_b32_e32 v16, 0x2000, v7
	v_subrev_u32_e32 v18, s31, v5
	v_or_b32_e32 v19, 0x2400, v6
	v_or_b32_e32 v21, 0x2400, v7
	v_cmp_ne_u32_e64 s[12:13], 0, v0
	v_cmp_lt_u32_e64 s[14:15], 1, v0
	v_add_u32_e32 v22, 0x23f8, v6
	v_cmp_lt_u32_e64 s[16:17], 3, v0
	v_add_u32_e32 v23, 0x23f0, v6
	;; [unrolled: 2-line block ×4, first 2 shown]
	v_cndmask_b32_e32 v0, v2, v4, vcc
	v_cndmask_b32_e32 v6, v4, v2, vcc
	s_addc_u32 s55, s49, 0
	s_lshl_b32 s82, s81, 2
	v_lshl_or_b32 v28, v5, 2, v9
	v_mov_b32_e32 v32, 32
	v_mov_b32_e32 v29, s26
	;; [unrolled: 1-line block ×3, first 2 shown]
	v_cmp_ne_u32_e64 s[22:23], 1, v8
	v_mov_b32_e32 v31, 1
	s_branch .LBB20_14
.LBB20_13:                              ;   in Loop: Header=BB20_14 Depth=1
	s_or_b64 exec, exec, s[24:25]
	s_barrier
	ds_read_b32 v8, v30 offset:9344
	v_add_u32_e32 v29, v10, v29
	s_waitcnt lgkmcnt(0)
	s_barrier
	v_cmp_le_i32_e32 vcc, s53, v8
	v_readfirstlane_b32 s83, v8
	v_add_u32_e32 v32, 32, v8
	s_cbranch_vccnz .LBB20_96
.LBB20_14:                              ; =>This Loop Header: Depth=1
                                        ;     Child Loop BB20_18 Depth 2
                                        ;     Child Loop BB20_27 Depth 2
                                        ;       Child Loop BB20_40 Depth 3
                                        ;         Child Loop BB20_49 Depth 4
                                        ;         Child Loop BB20_54 Depth 4
                                        ;     Child Loop BB20_65 Depth 2
                                        ;     Child Loop BB20_74 Depth 2
                                        ;     Child Loop BB20_93 Depth 2
	s_and_saveexec_b64 s[24:25], s[2:3]
	s_cbranch_execz .LBB20_16
; %bb.15:                               ;   in Loop: Header=BB20_14 Depth=1
	ds_write_b32 v21, v30
.LBB20_16:                              ;   in Loop: Header=BB20_14 Depth=1
	s_or_b64 exec, exec, s[24:25]
	s_mov_b32 s66, 0
	s_mov_b64 s[24:25], 0
	v_mov_b32_e32 v8, v7
	s_branch .LBB20_18
.LBB20_17:                              ;   in Loop: Header=BB20_18 Depth=2
	s_or_b64 exec, exec, s[64:65]
	s_add_i32 s66, s66, 2
	v_cmp_eq_u32_e64 s[26:27], 8, s66
	s_or_b64 s[24:25], s[26:27], s[24:25]
	v_add_u32_e32 v8, 0x800, v8
	s_andn2_b64 exec, exec, s[24:25]
	s_cbranch_execz .LBB20_22
.LBB20_18:                              ;   Parent Loop BB20_14 Depth=1
                                        ; =>  This Inner Loop Header: Depth=2
	s_or_b32 s26, s66, 1
	v_cmp_le_u32_e64 s[26:27], s26, 7
	v_cmp_le_u32_e64 s[68:69], s66, 7
	s_and_saveexec_b64 s[64:65], s[68:69]
	s_cbranch_execz .LBB20_20
; %bb.19:                               ;   in Loop: Header=BB20_18 Depth=2
	ds_write_b32 v8, v30
.LBB20_20:                              ;   in Loop: Header=BB20_18 Depth=2
	s_or_b64 exec, exec, s[64:65]
	s_and_saveexec_b64 s[64:65], s[26:27]
	s_cbranch_execz .LBB20_17
; %bb.21:                               ;   in Loop: Header=BB20_18 Depth=2
	ds_write_b32 v8, v30 offset:1024
	s_branch .LBB20_17
.LBB20_22:                              ;   in Loop: Header=BB20_14 Depth=1
	s_or_b64 exec, exec, s[24:25]
	s_and_saveexec_b64 s[24:25], s[4:5]
	s_cbranch_execz .LBB20_24
; %bb.23:                               ;   in Loop: Header=BB20_14 Depth=1
	v_mov_b32_e32 v8, s53
	ds_write_b32 v30, v8 offset:9344
.LBB20_24:                              ;   in Loop: Header=BB20_14 Depth=1
	s_or_b64 exec, exec, s[24:25]
	s_and_b64 vcc, exec, s[22:23]
	v_mov_b32_e32 v33, s53
	s_waitcnt lgkmcnt(0)
	s_barrier
	s_cbranch_vccnz .LBB20_60
; %bb.25:                               ;   in Loop: Header=BB20_14 Depth=1
	s_cmp_lg_u32 s83, 0
	s_cselect_b64 s[64:65], -1, 0
	v_mov_b32_e32 v33, s53
	s_mov_b32 s84, s80
	s_branch .LBB20_27
.LBB20_26:                              ;   in Loop: Header=BB20_27 Depth=2
	s_or_b64 exec, exec, s[26:27]
	s_add_i32 s84, s84, 4
	s_cmp_lt_i32 s84, s33
	s_cbranch_scc0 .LBB20_60
.LBB20_27:                              ;   Parent Loop BB20_14 Depth=1
                                        ; =>  This Loop Header: Depth=2
                                        ;       Child Loop BB20_40 Depth 3
                                        ;         Child Loop BB20_49 Depth 4
                                        ;         Child Loop BB20_54 Depth 4
	v_add_u32_e32 v8, s84, v5
	v_cmp_gt_i32_e64 s[24:25], s33, v8
	s_barrier
	s_and_saveexec_b64 s[26:27], s[24:25]
	s_cbranch_execz .LBB20_31
; %bb.28:                               ;   in Loop: Header=BB20_27 Depth=2
	v_mov_b32_e32 v9, 0
	s_and_saveexec_b64 s[66:67], s[6:7]
	s_cbranch_execz .LBB20_30
; %bb.29:                               ;   in Loop: Header=BB20_27 Depth=2
	v_mad_u64_u32 v[10:11], s[68:69], v8, s54, v[4:5]
	v_mad_u64_u32 v[10:11], s[68:69], v10, s54, v[2:3]
	v_ashrrev_i32_e32 v11, 31, v10
	v_lshlrev_b64 v[10:11], 2, v[10:11]
	v_mov_b32_e32 v9, s47
	v_add_co_u32_e32 v10, vcc, s46, v10
	v_addc_co_u32_e32 v11, vcc, v9, v11, vcc
	global_load_dword v9, v[10:11], off
.LBB20_30:                              ;   in Loop: Header=BB20_27 Depth=2
	s_or_b64 exec, exec, s[66:67]
	s_waitcnt vmcnt(0)
	ds_write_b32 v16, v9
.LBB20_31:                              ;   in Loop: Header=BB20_27 Depth=2
	s_or_b64 exec, exec, s[26:27]
	v_mov_b32_e32 v10, 0
	s_waitcnt lgkmcnt(0)
	s_barrier
	s_and_saveexec_b64 s[66:67], s[24:25]
	s_cbranch_execz .LBB20_57
; %bb.32:                               ;   in Loop: Header=BB20_27 Depth=2
	v_ashrrev_i32_e32 v9, 31, v8
	v_lshlrev_b64 v[10:11], 2, v[8:9]
	v_mov_b32_e32 v9, s45
	v_add_co_u32_e32 v12, vcc, s44, v10
	v_addc_co_u32_e32 v13, vcc, v9, v11, vcc
	global_load_dword v9, v[12:13], off
	s_and_b64 vcc, exec, s[64:65]
	s_waitcnt vmcnt(0)
	v_subrev_u32_e32 v12, s28, v9
	v_ashrrev_i32_e32 v13, 31, v12
	s_cbranch_vccz .LBB20_59
; %bb.33:                               ;   in Loop: Header=BB20_27 Depth=2
	v_mov_b32_e32 v9, s35
	v_add_co_u32_e32 v10, vcc, s34, v10
	v_addc_co_u32_e32 v11, vcc, v9, v11, vcc
	global_load_dword v10, v[10:11], off
	s_cbranch_execnz .LBB20_35
.LBB20_34:                              ;   in Loop: Header=BB20_27 Depth=2
	s_waitcnt vmcnt(0)
	v_lshlrev_b64 v[10:11], 2, v[12:13]
	v_mov_b32_e32 v9, s49
	v_add_co_u32_e32 v10, vcc, s48, v10
	v_addc_co_u32_e32 v11, vcc, v9, v11, vcc
	global_load_dword v9, v[10:11], off
	s_waitcnt vmcnt(0)
	v_subrev_u32_e32 v10, s29, v9
.LBB20_35:                              ;   in Loop: Header=BB20_27 Depth=2
	v_lshlrev_b64 v[12:13], 2, v[12:13]
	v_mov_b32_e32 v9, s55
	v_add_co_u32_e32 v12, vcc, s52, v12
	v_addc_co_u32_e32 v13, vcc, v9, v13, vcc
	global_load_dword v9, v[12:13], off
	s_waitcnt vmcnt(0)
	v_subrev_u32_e32 v9, s29, v9
	v_cmp_lt_i32_e32 vcc, v10, v9
	s_and_saveexec_b64 s[68:69], vcc
	s_cbranch_execz .LBB20_56
; %bb.36:                               ;   in Loop: Header=BB20_27 Depth=2
	v_mad_u64_u32 v[12:13], s[26:27], s54, v10, v[2:3]
	v_mul_lo_u32 v34, s54, v12
	v_mad_u64_u32 v[12:13], s[26:27], s81, v10, v[2:3]
	s_mov_b64 s[70:71], 0
	v_mov_b32_e32 v13, v10
	s_branch .LBB20_40
.LBB20_37:                              ;   in Loop: Header=BB20_40 Depth=3
	v_lshlrev_b32_e32 v11, 6, v11
	v_or3_b32 v11, v11, v17, v2
	v_lshlrev_b32_e32 v11, 2, v11
	v_mul_f32_e32 v14, v1, v35
	ds_add_f32 v11, v14
.LBB20_38:                              ;   in Loop: Header=BB20_40 Depth=3
	s_or_b64 exec, exec, s[76:77]
	s_or_b64 s[72:73], s[72:73], exec
.LBB20_39:                              ;   in Loop: Header=BB20_40 Depth=3
	s_or_b64 exec, exec, s[74:75]
	v_add_u32_e32 v10, 1, v10
	v_cmp_ge_i32_e32 vcc, v10, v9
	s_xor_b64 s[26:27], s[72:73], -1
	s_or_b64 s[26:27], s[26:27], vcc
	s_and_b64 s[26:27], exec, s[26:27]
	v_add_u32_e32 v34, s81, v34
	s_or_b64 s[70:71], s[26:27], s[70:71]
	v_add_u32_e32 v12, s81, v12
	s_andn2_b64 exec, exec, s[70:71]
	s_cbranch_execz .LBB20_55
.LBB20_40:                              ;   Parent Loop BB20_14 Depth=1
                                        ;     Parent Loop BB20_27 Depth=2
                                        ; =>    This Loop Header: Depth=3
                                        ;         Child Loop BB20_49 Depth 4
                                        ;         Child Loop BB20_54 Depth 4
	v_ashrrev_i32_e32 v11, 31, v10
	v_lshlrev_b64 v[14:15], 2, v[10:11]
	v_mov_b32_e32 v11, s51
	v_add_co_u32_e32 v14, vcc, s50, v14
	v_addc_co_u32_e32 v15, vcc, v11, v15, vcc
	global_load_dword v11, v[14:15], off
                                        ; implicit-def: $sgpr72_sgpr73
	s_waitcnt vmcnt(0)
	v_subrev_u32_e32 v11, s29, v11
	v_cmp_gt_i32_e64 s[26:27], s83, v11
	v_cmp_ge_i32_e32 vcc, v11, v32
	s_or_b64 s[26:27], s[26:27], vcc
	s_and_saveexec_b64 s[74:75], s[26:27]
	s_xor_b64 s[26:27], exec, s[74:75]
	s_cbranch_execz .LBB20_44
; %bb.41:                               ;   in Loop: Header=BB20_40 Depth=3
	s_mov_b64 s[72:73], -1
	s_and_saveexec_b64 s[74:75], vcc
; %bb.42:                               ;   in Loop: Header=BB20_40 Depth=3
	v_min_i32_e32 v33, v11, v33
	s_xor_b64 s[72:73], exec, -1
	v_mov_b32_e32 v13, v10
; %bb.43:                               ;   in Loop: Header=BB20_40 Depth=3
	s_or_b64 exec, exec, s[74:75]
	s_and_b64 s[72:73], s[72:73], exec
                                        ; implicit-def: $vgpr11
.LBB20_44:                              ;   in Loop: Header=BB20_40 Depth=3
	s_andn2_saveexec_b64 s[74:75], s[26:27]
	s_cbranch_execz .LBB20_39
; %bb.45:                               ;   in Loop: Header=BB20_40 Depth=3
	v_subrev_u32_e32 v11, s83, v11
	v_lshlrev_b32_e32 v14, 2, v11
	ds_write_b32 v14, v31 offset:9216
	s_and_saveexec_b64 s[76:77], s[6:7]
	s_cbranch_execz .LBB20_38
; %bb.46:                               ;   in Loop: Header=BB20_40 Depth=3
	v_cndmask_b32_e64 v14, 0, 1, s[62:63]
	s_andn2_b64 vcc, exec, s[42:43]
	v_cmp_ne_u32_e64 s[26:27], 1, v14
	s_cbranch_vccnz .LBB20_51
; %bb.47:                               ;   in Loop: Header=BB20_40 Depth=3
	v_mov_b32_e32 v35, 0
	s_and_b64 vcc, exec, s[26:27]
	s_cbranch_vccnz .LBB20_50
; %bb.48:                               ;   in Loop: Header=BB20_40 Depth=3
	v_mov_b32_e32 v14, v34
	s_mov_b32 s78, s54
	v_mov_b32_e32 v36, v26
.LBB20_49:                              ;   Parent Loop BB20_14 Depth=1
                                        ;     Parent Loop BB20_27 Depth=2
                                        ;       Parent Loop BB20_40 Depth=3
                                        ; =>      This Inner Loop Header: Depth=4
	v_ashrrev_i32_e32 v15, 31, v14
	v_lshlrev_b64 v[38:39], 2, v[14:15]
	v_mov_b32_e32 v37, s61
	v_add_co_u32_e32 v38, vcc, s60, v38
	v_addc_co_u32_e32 v39, vcc, v37, v39, vcc
	global_load_dword v15, v[38:39], off
	ds_read_b32 v37, v36
	s_add_i32 s78, s78, -1
	v_add_u32_e32 v36, 32, v36
	v_add_u32_e32 v14, 1, v14
	s_cmp_lg_u32 s78, 0
	s_waitcnt vmcnt(0) lgkmcnt(0)
	v_fmac_f32_e32 v35, v37, v15
	s_cbranch_scc1 .LBB20_49
.LBB20_50:                              ;   in Loop: Header=BB20_40 Depth=3
	s_cbranch_execnz .LBB20_37
	s_branch .LBB20_52
.LBB20_51:                              ;   in Loop: Header=BB20_40 Depth=3
                                        ; implicit-def: $vgpr35
.LBB20_52:                              ;   in Loop: Header=BB20_40 Depth=3
	v_mov_b32_e32 v35, 0
	s_and_b64 vcc, exec, s[26:27]
	s_cbranch_vccnz .LBB20_37
; %bb.53:                               ;   in Loop: Header=BB20_40 Depth=3
	v_mov_b32_e32 v36, v27
	v_mov_b32_e32 v14, v12
	s_mov_b32 s26, s54
.LBB20_54:                              ;   Parent Loop BB20_14 Depth=1
                                        ;     Parent Loop BB20_27 Depth=2
                                        ;       Parent Loop BB20_40 Depth=3
                                        ; =>      This Inner Loop Header: Depth=4
	v_ashrrev_i32_e32 v15, 31, v14
	v_lshlrev_b64 v[38:39], 2, v[14:15]
	v_mov_b32_e32 v37, s61
	v_add_co_u32_e32 v38, vcc, s60, v38
	v_addc_co_u32_e32 v39, vcc, v37, v39, vcc
	global_load_dword v15, v[38:39], off
	ds_read_b32 v37, v36
	s_add_i32 s26, s26, -1
	v_add_u32_e32 v36, 4, v36
	v_add_u32_e32 v14, s54, v14
	s_cmp_eq_u32 s26, 0
	s_waitcnt vmcnt(0) lgkmcnt(0)
	v_fmac_f32_e32 v35, v37, v15
	s_cbranch_scc0 .LBB20_54
	s_branch .LBB20_37
.LBB20_55:                              ;   in Loop: Header=BB20_27 Depth=2
	s_or_b64 exec, exec, s[70:71]
	v_mov_b32_e32 v10, v13
.LBB20_56:                              ;   in Loop: Header=BB20_27 Depth=2
	s_or_b64 exec, exec, s[68:69]
.LBB20_57:                              ;   in Loop: Header=BB20_27 Depth=2
	s_or_b64 exec, exec, s[66:67]
	s_waitcnt lgkmcnt(0)
	s_barrier
	s_and_saveexec_b64 s[26:27], s[24:25]
	s_cbranch_execz .LBB20_26
; %bb.58:                               ;   in Loop: Header=BB20_27 Depth=2
	v_ashrrev_i32_e32 v9, 31, v8
	v_lshlrev_b64 v[8:9], 2, v[8:9]
	v_mov_b32_e32 v11, s35
	v_add_co_u32_e32 v8, vcc, s34, v8
	v_addc_co_u32_e32 v9, vcc, v11, v9, vcc
	global_store_dword v[8:9], v10, off
	s_branch .LBB20_26
.LBB20_59:                              ;   in Loop: Header=BB20_27 Depth=2
                                        ; implicit-def: $vgpr10
	s_branch .LBB20_34
.LBB20_60:                              ;   in Loop: Header=BB20_14 Depth=1
	s_andn2_b64 vcc, exec, s[0:1]
	s_cbranch_vccnz .LBB20_72
; %bb.61:                               ;   in Loop: Header=BB20_14 Depth=1
	s_load_dwordx2 s[24:25], s[36:37], 0x0
	s_waitcnt lgkmcnt(0)
	s_sub_i32 s70, s25, s31
	v_add_u32_e32 v8, s24, v18
	v_cmp_gt_i32_e32 vcc, s70, v8
	s_and_saveexec_b64 s[64:65], vcc
	s_cbranch_execz .LBB20_71
; %bb.62:                               ;   in Loop: Header=BB20_14 Depth=1
	v_mad_u64_u32 v[10:11], s[24:25], s54, v8, v[0:1]
	v_mad_u64_u32 v[10:11], s[24:25], s54, v10, v[6:7]
	s_mov_b64 s[66:67], 0
	s_branch .LBB20_65
.LBB20_63:                              ;   in Loop: Header=BB20_65 Depth=2
	s_or_b64 exec, exec, s[68:69]
	s_or_b64 s[24:25], s[24:25], exec
.LBB20_64:                              ;   in Loop: Header=BB20_65 Depth=2
	s_or_b64 exec, exec, s[26:27]
	v_add_u32_e32 v8, 4, v8
	v_cmp_le_i32_e32 vcc, s70, v8
	s_xor_b64 s[24:25], s[24:25], -1
	s_or_b64 s[24:25], vcc, s[24:25]
	s_and_b64 s[24:25], exec, s[24:25]
	s_or_b64 s[66:67], s[24:25], s[66:67]
	v_add_u32_e32 v10, s82, v10
	s_andn2_b64 exec, exec, s[66:67]
	s_cbranch_execz .LBB20_70
.LBB20_65:                              ;   Parent Loop BB20_14 Depth=1
                                        ; =>  This Inner Loop Header: Depth=2
	v_ashrrev_i32_e32 v9, 31, v8
	v_lshlrev_b64 v[12:13], 2, v[8:9]
	v_mov_b32_e32 v9, s39
	v_add_co_u32_e32 v12, vcc, s38, v12
	v_addc_co_u32_e32 v13, vcc, v9, v13, vcc
	global_load_dword v9, v[12:13], off
	s_waitcnt vmcnt(0)
	v_subrev_u32_e32 v9, s31, v9
	v_cmp_gt_i32_e64 s[24:25], s83, v9
	v_cmp_ge_i32_e64 s[26:27], v9, v32
	v_cmp_lt_i32_e32 vcc, v9, v32
	s_or_b64 s[26:27], s[24:25], s[26:27]
                                        ; implicit-def: $sgpr24_sgpr25
	s_and_saveexec_b64 s[68:69], s[26:27]
	s_xor_b64 s[26:27], exec, s[68:69]
; %bb.66:                               ;   in Loop: Header=BB20_65 Depth=2
	v_min_i32_e32 v9, v9, v33
	v_cndmask_b32_e32 v33, v9, v33, vcc
	s_and_b64 s[24:25], vcc, exec
                                        ; implicit-def: $vgpr9
; %bb.67:                               ;   in Loop: Header=BB20_65 Depth=2
	s_andn2_saveexec_b64 s[26:27], s[26:27]
	s_cbranch_execz .LBB20_64
; %bb.68:                               ;   in Loop: Header=BB20_65 Depth=2
	v_subrev_u32_e32 v9, s83, v9
	v_lshlrev_b32_e32 v11, 2, v9
	ds_write_b32 v11, v31 offset:9216
	s_and_saveexec_b64 s[68:69], s[6:7]
	s_cbranch_execz .LBB20_63
; %bb.69:                               ;   in Loop: Header=BB20_65 Depth=2
	v_ashrrev_i32_e32 v11, 31, v10
	v_lshlrev_b64 v[12:13], 2, v[10:11]
	v_mov_b32_e32 v11, s41
	v_add_co_u32_e32 v12, vcc, s40, v12
	v_addc_co_u32_e32 v13, vcc, v11, v13, vcc
	global_load_dword v11, v[12:13], off
	v_lshlrev_b32_e32 v9, 6, v9
	v_or3_b32 v9, v9, v17, v2
	v_lshlrev_b32_e32 v9, 2, v9
	s_waitcnt vmcnt(0)
	v_mul_f32_e32 v11, v3, v11
	ds_add_f32 v9, v11
	s_branch .LBB20_63
.LBB20_70:                              ;   in Loop: Header=BB20_14 Depth=1
	s_or_b64 exec, exec, s[66:67]
.LBB20_71:                              ;   in Loop: Header=BB20_14 Depth=1
	s_or_b64 exec, exec, s[64:65]
.LBB20_72:                              ;   in Loop: Header=BB20_14 Depth=1
	s_and_saveexec_b64 s[24:25], s[8:9]
	s_cbranch_execz .LBB20_77
; %bb.73:                               ;   in Loop: Header=BB20_14 Depth=1
	s_mov_b64 s[26:27], exec
	s_brev_b32 s64, -2
.LBB20_74:                              ;   Parent Loop BB20_14 Depth=1
                                        ; =>  This Inner Loop Header: Depth=2
	s_ff1_i32_b64 s65, s[26:27]
	v_readlane_b32 s68, v33, s65
	s_lshl_b64 s[66:67], 1, s65
	s_min_i32 s64, s64, s68
	s_andn2_b64 s[26:27], s[26:27], s[66:67]
	s_cmp_lg_u64 s[26:27], 0
	s_cbranch_scc1 .LBB20_74
; %bb.75:                               ;   in Loop: Header=BB20_14 Depth=1
	v_mbcnt_lo_u32_b32 v8, exec_lo, 0
	v_mbcnt_hi_u32_b32 v8, exec_hi, v8
	v_cmp_eq_u32_e32 vcc, 0, v8
	s_and_saveexec_b64 s[26:27], vcc
	s_xor_b64 s[26:27], exec, s[26:27]
	s_cbranch_execz .LBB20_77
; %bb.76:                               ;   in Loop: Header=BB20_14 Depth=1
	v_mov_b32_e32 v8, s64
	ds_min_i32 v30, v8 offset:9344
.LBB20_77:                              ;   in Loop: Header=BB20_14 Depth=1
	s_or_b64 exec, exec, s[24:25]
	s_waitcnt lgkmcnt(0)
	s_barrier
	ds_read_b32 v8, v19
	s_waitcnt lgkmcnt(0)
	s_barrier
	s_and_saveexec_b64 s[24:25], s[12:13]
	s_cbranch_execz .LBB20_79
; %bb.78:                               ;   in Loop: Header=BB20_14 Depth=1
	ds_read_b32 v9, v20
	s_waitcnt lgkmcnt(0)
	v_add_u32_e32 v8, v9, v8
.LBB20_79:                              ;   in Loop: Header=BB20_14 Depth=1
	s_or_b64 exec, exec, s[24:25]
	s_barrier
	ds_write_b32 v19, v8
	s_waitcnt lgkmcnt(0)
	s_barrier
	s_and_saveexec_b64 s[24:25], s[14:15]
	s_cbranch_execz .LBB20_81
; %bb.80:                               ;   in Loop: Header=BB20_14 Depth=1
	ds_read_b32 v9, v22
	s_waitcnt lgkmcnt(0)
	v_add_u32_e32 v8, v9, v8
.LBB20_81:                              ;   in Loop: Header=BB20_14 Depth=1
	s_or_b64 exec, exec, s[24:25]
	s_barrier
	ds_write_b32 v19, v8
	;; [unrolled: 12-line block ×5, first 2 shown]
	s_waitcnt lgkmcnt(0)
	s_barrier
	ds_read_b32 v10, v30 offset:9340
	v_mov_b32_e32 v9, 0
	s_and_saveexec_b64 s[24:25], s[10:11]
	s_cbranch_execz .LBB20_89
; %bb.88:                               ;   in Loop: Header=BB20_14 Depth=1
	ds_read_b32 v9, v20
.LBB20_89:                              ;   in Loop: Header=BB20_14 Depth=1
	s_or_b64 exec, exec, s[24:25]
	s_waitcnt lgkmcnt(0)
	v_cmp_eq_u32_e32 vcc, v8, v9
	s_and_b64 s[26:27], s[10:11], vcc
	s_barrier
	s_and_saveexec_b64 s[24:25], s[26:27]
	s_cbranch_execz .LBB20_91
; %bb.90:                               ;   in Loop: Header=BB20_14 Depth=1
	ds_write_b32 v19, v30
.LBB20_91:                              ;   in Loop: Header=BB20_14 Depth=1
	s_or_b64 exec, exec, s[24:25]
	v_add_u32_e32 v11, -1, v29
	s_add_i32 s64, s30, s83
	s_mov_b64 s[24:25], 0
	v_mov_b32_e32 v12, v28
	v_mov_b32_e32 v13, v7
	v_mov_b32_e32 v14, v5
	s_waitcnt lgkmcnt(0)
	s_barrier
	s_branch .LBB20_93
.LBB20_92:                              ;   in Loop: Header=BB20_93 Depth=2
	s_or_b64 exec, exec, s[26:27]
	v_add_u32_e32 v8, 4, v14
	v_cmp_lt_u32_e32 vcc, 27, v14
	v_add_u32_e32 v13, 0x400, v13
	v_add_u32_e32 v12, 16, v12
	s_or_b64 s[24:25], vcc, s[24:25]
	v_mov_b32_e32 v14, v8
	s_andn2_b64 exec, exec, s[24:25]
	s_cbranch_execz .LBB20_13
.LBB20_93:                              ;   Parent Loop BB20_14 Depth=1
                                        ; =>  This Inner Loop Header: Depth=2
	ds_read_b32 v8, v12
	s_waitcnt lgkmcnt(0)
	v_cmp_ne_u32_e32 vcc, 0, v8
	s_and_saveexec_b64 s[26:27], vcc
	s_cbranch_execz .LBB20_92
; %bb.94:                               ;   in Loop: Header=BB20_93 Depth=2
	v_add_u32_e32 v8, v11, v8
	v_ashrrev_i32_e32 v9, 31, v8
	v_lshlrev_b64 v[32:33], 2, v[8:9]
	v_mov_b32_e32 v9, s57
	v_add_co_u32_e32 v32, vcc, s56, v32
	v_add_u32_e32 v15, s64, v14
	v_addc_co_u32_e32 v33, vcc, v9, v33, vcc
	global_store_dword v[32:33], v15, off
	s_and_b64 exec, exec, s[6:7]
	s_cbranch_execz .LBB20_92
; %bb.95:                               ;   in Loop: Header=BB20_93 Depth=2
	v_mad_u64_u32 v[8:9], s[66:67], v8, s54, v[0:1]
	ds_read_b32 v15, v13
	v_mad_u64_u32 v[8:9], s[66:67], v8, s54, v[6:7]
	v_ashrrev_i32_e32 v9, 31, v8
	v_lshlrev_b64 v[8:9], 2, v[8:9]
	v_mov_b32_e32 v32, s59
	v_add_co_u32_e32 v8, vcc, s58, v8
	v_addc_co_u32_e32 v9, vcc, v32, v9, vcc
	s_waitcnt lgkmcnt(0)
	global_store_dword v[8:9], v15, off
	s_branch .LBB20_92
.LBB20_96:
	s_endpgm
	.section	.rodata,"a",@progbits
	.p2align	6, 0x0
	.amdhsa_kernel _ZN9rocsparseL38bsrgemm_block_per_row_atomic_multipassILj256ELj32ELj8EiifEEv20rocsparse_direction_T3_S2_PKS2_S4_NS_24const_host_device_scalarIT4_EEPKT2_S4_PKS6_SA_S4_SC_S7_SA_S4_SC_SA_PS2_PS6_PS8_21rocsparse_index_base_SG_SG_SG_bbb
		.amdhsa_group_segment_fixed_size 9348
		.amdhsa_private_segment_fixed_size 0
		.amdhsa_kernarg_size 172
		.amdhsa_user_sgpr_count 6
		.amdhsa_user_sgpr_private_segment_buffer 1
		.amdhsa_user_sgpr_dispatch_ptr 0
		.amdhsa_user_sgpr_queue_ptr 0
		.amdhsa_user_sgpr_kernarg_segment_ptr 1
		.amdhsa_user_sgpr_dispatch_id 0
		.amdhsa_user_sgpr_flat_scratch_init 0
		.amdhsa_user_sgpr_kernarg_preload_length 0
		.amdhsa_user_sgpr_kernarg_preload_offset 0
		.amdhsa_user_sgpr_private_segment_size 0
		.amdhsa_uses_dynamic_stack 0
		.amdhsa_system_sgpr_private_segment_wavefront_offset 0
		.amdhsa_system_sgpr_workgroup_id_x 1
		.amdhsa_system_sgpr_workgroup_id_y 0
		.amdhsa_system_sgpr_workgroup_id_z 0
		.amdhsa_system_sgpr_workgroup_info 0
		.amdhsa_system_vgpr_workitem_id 0
		.amdhsa_next_free_vgpr 40
		.amdhsa_next_free_sgpr 85
		.amdhsa_accum_offset 40
		.amdhsa_reserve_vcc 1
		.amdhsa_reserve_flat_scratch 0
		.amdhsa_float_round_mode_32 0
		.amdhsa_float_round_mode_16_64 0
		.amdhsa_float_denorm_mode_32 3
		.amdhsa_float_denorm_mode_16_64 3
		.amdhsa_dx10_clamp 1
		.amdhsa_ieee_mode 1
		.amdhsa_fp16_overflow 0
		.amdhsa_tg_split 0
		.amdhsa_exception_fp_ieee_invalid_op 0
		.amdhsa_exception_fp_denorm_src 0
		.amdhsa_exception_fp_ieee_div_zero 0
		.amdhsa_exception_fp_ieee_overflow 0
		.amdhsa_exception_fp_ieee_underflow 0
		.amdhsa_exception_fp_ieee_inexact 0
		.amdhsa_exception_int_div_zero 0
	.end_amdhsa_kernel
	.section	.text._ZN9rocsparseL38bsrgemm_block_per_row_atomic_multipassILj256ELj32ELj8EiifEEv20rocsparse_direction_T3_S2_PKS2_S4_NS_24const_host_device_scalarIT4_EEPKT2_S4_PKS6_SA_S4_SC_S7_SA_S4_SC_SA_PS2_PS6_PS8_21rocsparse_index_base_SG_SG_SG_bbb,"axG",@progbits,_ZN9rocsparseL38bsrgemm_block_per_row_atomic_multipassILj256ELj32ELj8EiifEEv20rocsparse_direction_T3_S2_PKS2_S4_NS_24const_host_device_scalarIT4_EEPKT2_S4_PKS6_SA_S4_SC_S7_SA_S4_SC_SA_PS2_PS6_PS8_21rocsparse_index_base_SG_SG_SG_bbb,comdat
.Lfunc_end20:
	.size	_ZN9rocsparseL38bsrgemm_block_per_row_atomic_multipassILj256ELj32ELj8EiifEEv20rocsparse_direction_T3_S2_PKS2_S4_NS_24const_host_device_scalarIT4_EEPKT2_S4_PKS6_SA_S4_SC_S7_SA_S4_SC_SA_PS2_PS6_PS8_21rocsparse_index_base_SG_SG_SG_bbb, .Lfunc_end20-_ZN9rocsparseL38bsrgemm_block_per_row_atomic_multipassILj256ELj32ELj8EiifEEv20rocsparse_direction_T3_S2_PKS2_S4_NS_24const_host_device_scalarIT4_EEPKT2_S4_PKS6_SA_S4_SC_S7_SA_S4_SC_SA_PS2_PS6_PS8_21rocsparse_index_base_SG_SG_SG_bbb
                                        ; -- End function
	.section	.AMDGPU.csdata,"",@progbits
; Kernel info:
; codeLenInByte = 2872
; NumSgprs: 89
; NumVgprs: 40
; NumAgprs: 0
; TotalNumVgprs: 40
; ScratchSize: 0
; MemoryBound: 0
; FloatMode: 240
; IeeeMode: 1
; LDSByteSize: 9348 bytes/workgroup (compile time only)
; SGPRBlocks: 11
; VGPRBlocks: 4
; NumSGPRsForWavesPerEU: 89
; NumVGPRsForWavesPerEU: 40
; AccumOffset: 40
; Occupancy: 7
; WaveLimiterHint : 1
; COMPUTE_PGM_RSRC2:SCRATCH_EN: 0
; COMPUTE_PGM_RSRC2:USER_SGPR: 6
; COMPUTE_PGM_RSRC2:TRAP_HANDLER: 0
; COMPUTE_PGM_RSRC2:TGID_X_EN: 1
; COMPUTE_PGM_RSRC2:TGID_Y_EN: 0
; COMPUTE_PGM_RSRC2:TGID_Z_EN: 0
; COMPUTE_PGM_RSRC2:TIDIG_COMP_CNT: 0
; COMPUTE_PGM_RSRC3_GFX90A:ACCUM_OFFSET: 9
; COMPUTE_PGM_RSRC3_GFX90A:TG_SPLIT: 0
	.section	.text._ZN9rocsparseL31bsrgemm_block_per_row_multipassILj256ELj8ELj16EiifEEv20rocsparse_direction_T3_S2_PKS2_S4_NS_24const_host_device_scalarIT4_EEPKT2_S4_PKS6_SA_S4_SC_S7_SA_S4_SC_SA_PS2_PS6_PS8_21rocsparse_index_base_SG_SG_SG_bbb,"axG",@progbits,_ZN9rocsparseL31bsrgemm_block_per_row_multipassILj256ELj8ELj16EiifEEv20rocsparse_direction_T3_S2_PKS2_S4_NS_24const_host_device_scalarIT4_EEPKT2_S4_PKS6_SA_S4_SC_S7_SA_S4_SC_SA_PS2_PS6_PS8_21rocsparse_index_base_SG_SG_SG_bbb,comdat
	.globl	_ZN9rocsparseL31bsrgemm_block_per_row_multipassILj256ELj8ELj16EiifEEv20rocsparse_direction_T3_S2_PKS2_S4_NS_24const_host_device_scalarIT4_EEPKT2_S4_PKS6_SA_S4_SC_S7_SA_S4_SC_SA_PS2_PS6_PS8_21rocsparse_index_base_SG_SG_SG_bbb ; -- Begin function _ZN9rocsparseL31bsrgemm_block_per_row_multipassILj256ELj8ELj16EiifEEv20rocsparse_direction_T3_S2_PKS2_S4_NS_24const_host_device_scalarIT4_EEPKT2_S4_PKS6_SA_S4_SC_S7_SA_S4_SC_SA_PS2_PS6_PS8_21rocsparse_index_base_SG_SG_SG_bbb
	.p2align	8
	.type	_ZN9rocsparseL31bsrgemm_block_per_row_multipassILj256ELj8ELj16EiifEEv20rocsparse_direction_T3_S2_PKS2_S4_NS_24const_host_device_scalarIT4_EEPKT2_S4_PKS6_SA_S4_SC_S7_SA_S4_SC_SA_PS2_PS6_PS8_21rocsparse_index_base_SG_SG_SG_bbb,@function
_ZN9rocsparseL31bsrgemm_block_per_row_multipassILj256ELj8ELj16EiifEEv20rocsparse_direction_T3_S2_PKS2_S4_NS_24const_host_device_scalarIT4_EEPKT2_S4_PKS6_SA_S4_SC_S7_SA_S4_SC_SA_PS2_PS6_PS8_21rocsparse_index_base_SG_SG_SG_bbb: ; @_ZN9rocsparseL31bsrgemm_block_per_row_multipassILj256ELj8ELj16EiifEEv20rocsparse_direction_T3_S2_PKS2_S4_NS_24const_host_device_scalarIT4_EEPKT2_S4_PKS6_SA_S4_SC_S7_SA_S4_SC_SA_PS2_PS6_PS8_21rocsparse_index_base_SG_SG_SG_bbb
; %bb.0:
	s_load_dword s7, s[4:5], 0xa8
	s_load_dwordx4 s[28:31], s[4:5], 0x98
	s_load_dwordx2 s[0:1], s[4:5], 0x20
	s_load_dwordx2 s[10:11], s[4:5], 0x58
	s_waitcnt lgkmcnt(0)
	s_bitcmp1_b32 s7, 0
	s_cselect_b64 s[8:9], -1, 0
	s_bitcmp1_b32 s7, 16
	s_cselect_b64 s[12:13], -1, 0
	s_xor_b64 s[2:3], s[8:9], -1
	s_or_b64 s[2:3], s[2:3], s[12:13]
	s_and_b64 vcc, exec, s[2:3]
	s_cbranch_vccnz .LBB21_2
; %bb.1:
	s_load_dword s0, s[0:1], 0x0
	s_waitcnt lgkmcnt(0)
	v_mov_b32_e32 v1, s0
	s_branch .LBB21_3
.LBB21_2:
	v_mov_b32_e32 v1, s0
	v_cndmask_b32_e64 v1, 0, v1, s[8:9]
.LBB21_3:
	s_load_dwordx2 s[2:3], s[4:5], 0x18
	s_bitcmp1_b32 s7, 8
	s_cselect_b64 s[0:1], -1, 0
	s_xor_b64 s[14:15], s[0:1], -1
	s_or_b64 s[12:13], s[14:15], s[12:13]
	s_and_b64 vcc, exec, s[12:13]
	s_cbranch_vccnz .LBB21_5
; %bb.4:
	s_load_dword s7, s[10:11], 0x0
	s_waitcnt lgkmcnt(0)
	v_mov_b32_e32 v3, s7
	s_load_dwordx2 s[10:11], s[4:5], 0x28
	s_cmp_eq_u64 s[2:3], 0
	s_cbranch_scc0 .LBB21_6
	s_branch .LBB21_7
.LBB21_5:
	v_mov_b32_e32 v2, s10
	v_cndmask_b32_e64 v3, 0, v2, s[0:1]
	s_load_dwordx2 s[10:11], s[4:5], 0x28
	s_waitcnt lgkmcnt(0)
	s_cmp_eq_u64 s[2:3], 0
	s_cbranch_scc1 .LBB21_7
.LBB21_6:
	s_load_dwordx2 s[12:13], s[4:5], 0x10
	s_waitcnt lgkmcnt(0)
	s_load_dword s7, s[12:13], 0x0
	s_waitcnt lgkmcnt(0)
	s_add_i32 s6, s7, s6
	s_mov_b32 s7, 0
	s_lshl_b64 s[6:7], s[6:7], 2
	s_add_u32 s2, s2, s6
	s_addc_u32 s3, s3, s7
	s_load_dword s6, s[2:3], 0x0
.LBB21_7:
	v_cndmask_b32_e64 v2, 0, 1, s[8:9]
	s_mov_b32 s33, 0
	v_cmp_ne_u32_e64 s[2:3], 1, v2
	s_andn2_b64 vcc, exec, s[8:9]
	s_mov_b32 s58, 0
	s_cbranch_vccz .LBB21_10
; %bb.8:
	s_and_b64 vcc, exec, s[2:3]
	s_cbranch_vccz .LBB21_11
.LBB21_9:
	s_load_dwordx4 s[36:39], s[4:5], 0x0
	s_waitcnt lgkmcnt(0)
	s_cmp_lt_i32 s37, 1
	s_cbranch_scc0 .LBB21_12
	s_branch .LBB21_95
.LBB21_10:
	s_waitcnt lgkmcnt(0)
	s_ashr_i32 s7, s6, 31
	s_lshl_b64 s[12:13], s[6:7], 2
	s_add_u32 s12, s10, s12
	s_addc_u32 s13, s11, s13
	s_load_dword s7, s[12:13], 0x0
	s_waitcnt lgkmcnt(0)
	s_sub_i32 s58, s7, s28
	s_and_b64 vcc, exec, s[2:3]
	s_cbranch_vccnz .LBB21_9
.LBB21_11:
	s_waitcnt lgkmcnt(0)
	s_ashr_i32 s7, s6, 31
	s_lshl_b64 s[2:3], s[6:7], 2
	s_add_u32 s2, s10, s2
	s_addc_u32 s3, s11, s3
	s_load_dword s2, s[2:3], 0x4
	s_waitcnt lgkmcnt(0)
	s_sub_i32 s33, s2, s28
	s_load_dwordx4 s[36:39], s[4:5], 0x0
	s_waitcnt lgkmcnt(0)
	s_cmp_lt_i32 s37, 1
	s_cbranch_scc1 .LBB21_95
.LBB21_12:
	s_load_dwordx8 s[12:19], s[4:5], 0x60
	s_load_dwordx2 s[10:11], s[4:5], 0x90
	s_load_dwordx4 s[40:43], s[4:5], 0x80
	s_ashr_i32 s7, s6, 31
	s_lshl_b64 s[6:7], s[6:7], 2
	s_waitcnt lgkmcnt(0)
	s_add_u32 s2, s18, s6
	s_addc_u32 s3, s19, s7
	s_load_dword s34, s[2:3], 0x0
	s_load_dwordx2 s[18:19], s[4:5], 0x50
	s_load_dwordx8 s[20:27], s[4:5], 0x30
	v_and_b32_e32 v12, 15, v0
	v_lshrrev_b32_e32 v4, 4, v0
	s_waitcnt lgkmcnt(0)
	s_sub_i32 s34, s34, s30
	s_cmp_lt_i32 s58, s33
	v_cmp_gt_u32_e32 vcc, s38, v12
	v_cmp_gt_i32_e64 s[4:5], s38, v4
	s_cselect_b64 s[48:49], -1, 0
	s_and_b64 s[44:45], vcc, s[4:5]
	s_cmp_eq_u32 s36, 0
	s_cselect_b64 vcc, -1, 0
	s_cmp_lg_u32 s36, 0
	s_cselect_b64 s[46:47], -1, 0
	s_cmp_gt_i32 s38, 0
	s_mul_i32 s36, s38, s38
	s_cselect_b64 s[50:51], -1, 0
	v_and_b32_e32 v13, 0xf0, v0
	s_add_u32 s12, s12, s6
	s_mul_i32 s6, s58, s36
	v_or_b32_e32 v2, v13, v12
	v_add_u32_e32 v17, s6, v4
	s_mul_i32 s6, s58, s38
	s_addc_u32 s13, s13, s7
	v_lshlrev_b32_e32 v15, 2, v2
	v_cndmask_b32_e32 v16, v12, v4, vcc
	v_cndmask_b32_e32 v2, v4, v12, vcc
	s_and_b64 s[4:5], s[8:9], s[48:49]
	v_add_u32_e32 v4, s6, v4
	s_add_u32 s39, s24, 4
	v_mul_lo_u32 v18, s38, v4
	v_cndmask_b32_e64 v4, 0, 1, s[4:5]
	v_cmp_gt_u32_e64 s[2:3], 8, v0
	s_mov_b32 s35, 0
	v_lshlrev_b32_e32 v14, 2, v0
	s_addc_u32 s59, s25, 0
	s_sub_i32 s60, 1, s31
	s_mov_b32 s61, 8
	v_mov_b32_e32 v5, 0
	v_cmp_ne_u32_e64 s[4:5], 1, v4
	v_cndmask_b32_e64 v19, 0, 1, s[50:51]
	v_mov_b32_e32 v20, s19
	v_mov_b32_e32 v21, 1
	s_branch .LBB21_15
.LBB21_13:                              ;   in Loop: Header=BB21_15 Depth=1
	s_or_b64 exec, exec, s[6:7]
	s_add_i32 s48, s48, 1
.LBB21_14:                              ;   in Loop: Header=BB21_15 Depth=1
	s_min_i32 s35, s19, s37
	s_add_i32 s34, s48, s34
	s_add_i32 s61, s35, 8
	s_cmp_lt_i32 s19, s37
	s_barrier
	s_barrier
	s_cbranch_scc0 .LBB21_95
.LBB21_15:                              ; =>This Loop Header: Depth=1
                                        ;     Child Loop BB21_19 Depth 2
                                        ;     Child Loop BB21_25 Depth 2
                                        ;       Child Loop BB21_30 Depth 3
                                        ;         Child Loop BB21_39 Depth 4
                                        ;         Child Loop BB21_45 Depth 4
                                        ;     Child Loop BB21_59 Depth 2
	s_and_saveexec_b64 s[6:7], s[2:3]
	s_cbranch_execz .LBB21_17
; %bb.16:                               ;   in Loop: Header=BB21_15 Depth=1
	ds_write_b8 v0, v5 offset:8192
.LBB21_17:                              ;   in Loop: Header=BB21_15 Depth=1
	s_or_b64 exec, exec, s[6:7]
	s_mov_b32 s19, 0
	s_mov_b64 s[6:7], 0
	v_mov_b32_e32 v4, v14
	s_branch .LBB21_19
.LBB21_18:                              ;   in Loop: Header=BB21_19 Depth=2
	s_or_b64 exec, exec, s[48:49]
	s_add_i32 s19, s19, 2
	v_cmp_eq_u32_e64 s[8:9], 8, s19
	s_or_b64 s[6:7], s[8:9], s[6:7]
	v_add_u32_e32 v4, 0x800, v4
	s_andn2_b64 exec, exec, s[6:7]
	s_cbranch_execz .LBB21_23
.LBB21_19:                              ;   Parent Loop BB21_15 Depth=1
                                        ; =>  This Inner Loop Header: Depth=2
	s_or_b32 s8, s19, 1
	v_cmp_le_u32_e64 s[8:9], s8, 7
	v_cmp_le_u32_e64 s[50:51], s19, 7
	s_and_saveexec_b64 s[48:49], s[50:51]
	s_cbranch_execz .LBB21_21
; %bb.20:                               ;   in Loop: Header=BB21_19 Depth=2
	ds_write_b32 v4, v5
.LBB21_21:                              ;   in Loop: Header=BB21_19 Depth=2
	s_or_b64 exec, exec, s[48:49]
	s_and_saveexec_b64 s[48:49], s[8:9]
	s_cbranch_execz .LBB21_18
; %bb.22:                               ;   in Loop: Header=BB21_19 Depth=2
	ds_write_b32 v4, v5 offset:1024
	s_branch .LBB21_18
.LBB21_23:                              ;   in Loop: Header=BB21_15 Depth=1
	s_or_b64 exec, exec, s[6:7]
	s_and_b64 vcc, exec, s[4:5]
	s_mov_b32 s19, s37
	s_waitcnt lgkmcnt(0)
	s_barrier
	s_cbranch_vccnz .LBB21_54
; %bb.24:                               ;   in Loop: Header=BB21_15 Depth=1
	s_cmp_lg_u32 s35, 0
	s_cselect_b64 s[8:9], -1, 0
	v_mov_b32_e32 v6, v18
	v_mov_b32_e32 v22, v17
	s_mov_b32 s62, s37
	s_mov_b32 s48, s58
.LBB21_25:                              ;   Parent Loop BB21_15 Depth=1
                                        ; =>  This Loop Header: Depth=2
                                        ;       Child Loop BB21_30 Depth 3
                                        ;         Child Loop BB21_39 Depth 4
                                        ;         Child Loop BB21_45 Depth 4
	s_ashr_i32 s49, s48, 31
	s_lshl_b64 s[50:51], s[48:49], 2
	s_add_u32 s6, s20, s50
	s_addc_u32 s7, s21, s51
	s_load_dword s6, s[6:7], 0x0
	s_and_b64 vcc, exec, s[8:9]
	s_waitcnt lgkmcnt(0)
	s_sub_i32 s6, s6, s28
	s_cbranch_vccz .LBB21_53
; %bb.26:                               ;   in Loop: Header=BB21_25 Depth=2
	s_add_u32 s52, s10, s50
	s_addc_u32 s53, s11, s51
	global_load_dword v4, v5, s[52:53]
	s_ashr_i32 s7, s6, 31
	s_waitcnt vmcnt(0)
	v_readfirstlane_b32 s52, v4
	s_cbranch_execnz .LBB21_28
.LBB21_27:                              ;   in Loop: Header=BB21_25 Depth=2
	s_ashr_i32 s7, s6, 31
	s_lshl_b64 s[52:53], s[6:7], 2
	s_add_u32 s52, s24, s52
	s_addc_u32 s53, s25, s53
	s_load_dword s19, s[52:53], 0x0
	s_waitcnt lgkmcnt(0)
	s_sub_i32 s52, s19, s29
.LBB21_28:                              ;   in Loop: Header=BB21_25 Depth=2
	s_lshl_b64 s[6:7], s[6:7], 2
	s_add_u32 s6, s39, s6
	s_addc_u32 s7, s59, s7
	s_load_dword s6, s[6:7], 0x0
	s_waitcnt lgkmcnt(0)
	s_sub_i32 s49, s6, s29
	s_cmp_ge_i32 s52, s49
	s_cbranch_scc1 .LBB21_50
; %bb.29:                               ;   in Loop: Header=BB21_25 Depth=2
	v_ashrrev_i32_e32 v7, 31, v6
	v_lshlrev_b64 v[8:9], 2, v[6:7]
	v_mov_b32_e32 v4, s23
	v_add_co_u32_e32 v8, vcc, s22, v8
	s_mul_i32 s6, s38, s52
	v_addc_co_u32_e32 v9, vcc, v4, v9, vcc
	v_add_u32_e32 v4, s6, v12
	s_mul_i32 s6, s36, s52
	v_mul_lo_u32 v7, s38, v4
	v_add_u32_e32 v23, s6, v12
	s_mov_b32 s63, s52
.LBB21_30:                              ;   Parent Loop BB21_15 Depth=1
                                        ;     Parent Loop BB21_25 Depth=2
                                        ; =>    This Loop Header: Depth=3
                                        ;         Child Loop BB21_39 Depth 4
                                        ;         Child Loop BB21_45 Depth 4
	s_ashr_i32 s53, s52, 31
	s_lshl_b64 s[6:7], s[52:53], 2
	s_add_u32 s6, s26, s6
	s_addc_u32 s7, s27, s7
	s_load_dword s6, s[6:7], 0x0
	s_mov_b64 s[54:55], -1
                                        ; implicit-def: $sgpr53
                                        ; implicit-def: $sgpr19
	s_waitcnt lgkmcnt(0)
	s_sub_i32 s64, s6, s29
	s_cmp_lt_i32 s64, s35
	s_cselect_b64 s[6:7], -1, 0
	s_cmp_ge_i32 s64, s61
	s_cselect_b64 s[56:57], -1, 0
	s_or_b64 s[6:7], s[6:7], s[56:57]
	s_and_b64 vcc, exec, s[6:7]
                                        ; implicit-def: $sgpr6_sgpr7
	s_cbranch_vccz .LBB21_34
; %bb.31:                               ;   in Loop: Header=BB21_30 Depth=3
	s_mov_b64 s[6:7], -1
	s_andn2_b64 vcc, exec, s[56:57]
	s_mov_b32 s53, s63
	s_mov_b32 s19, s62
	s_cbranch_vccnz .LBB21_33
; %bb.32:                               ;   in Loop: Header=BB21_30 Depth=3
	s_min_i32 s19, s64, s62
	s_mov_b64 s[6:7], 0
	s_mov_b32 s53, s52
.LBB21_33:                              ;   in Loop: Header=BB21_30 Depth=3
	s_mov_b64 s[54:55], 0
.LBB21_34:                              ;   in Loop: Header=BB21_30 Depth=3
	s_andn2_b64 vcc, exec, s[54:55]
	s_cbranch_vccnz .LBB21_48
; %bb.35:                               ;   in Loop: Header=BB21_30 Depth=3
	s_sub_i32 s19, s64, s35
	v_mov_b32_e32 v4, s19
	ds_write_b8 v4, v21 offset:8192
	s_and_saveexec_b64 s[54:55], s[44:45]
	s_cbranch_execz .LBB21_47
; %bb.36:                               ;   in Loop: Header=BB21_30 Depth=3
	s_andn2_b64 vcc, exec, s[46:47]
	v_cmp_ne_u32_e64 s[6:7], 1, v19
	s_cbranch_vccnz .LBB21_41
; %bb.37:                               ;   in Loop: Header=BB21_30 Depth=3
	s_and_b64 vcc, exec, s[6:7]
	s_cbranch_vccnz .LBB21_42
; %bb.38:                               ;   in Loop: Header=BB21_30 Depth=3
	s_mov_b32 s53, 0
	v_mov_b32_e32 v24, 0
	v_mov_b32_e32 v10, v22
.LBB21_39:                              ;   Parent Loop BB21_15 Depth=1
                                        ;     Parent Loop BB21_25 Depth=2
                                        ;       Parent Loop BB21_30 Depth=3
                                        ; =>      This Inner Loop Header: Depth=4
	v_ashrrev_i32_e32 v11, 31, v10
	v_lshlrev_b64 v[26:27], 2, v[10:11]
	v_mov_b32_e32 v25, s23
	v_add_u32_e32 v4, s53, v7
	v_add_co_u32_e32 v26, vcc, s22, v26
	v_lshlrev_b64 v[28:29], 2, v[4:5]
	v_addc_co_u32_e32 v27, vcc, v25, v27, vcc
	v_add_co_u32_e32 v28, vcc, s18, v28
	v_addc_co_u32_e32 v29, vcc, v20, v29, vcc
	global_load_dword v4, v[26:27], off
	global_load_dword v11, v[28:29], off
	s_add_i32 s53, s53, 1
	v_add_u32_e32 v10, s38, v10
	s_cmp_lg_u32 s38, s53
	s_waitcnt vmcnt(0)
	v_fmac_f32_e32 v24, v4, v11
	s_cbranch_scc1 .LBB21_39
; %bb.40:                               ;   in Loop: Header=BB21_30 Depth=3
	s_cbranch_execz .LBB21_43
	s_branch .LBB21_46
.LBB21_41:                              ;   in Loop: Header=BB21_30 Depth=3
                                        ; implicit-def: $vgpr24
	s_branch .LBB21_43
.LBB21_42:                              ;   in Loop: Header=BB21_30 Depth=3
	v_mov_b32_e32 v24, 0
	s_cbranch_execnz .LBB21_46
.LBB21_43:                              ;   in Loop: Header=BB21_30 Depth=3
	v_mov_b32_e32 v24, 0
	s_and_b64 vcc, exec, s[6:7]
	s_cbranch_vccnz .LBB21_46
; %bb.44:                               ;   in Loop: Header=BB21_30 Depth=3
	v_pk_mov_b32 v[10:11], v[8:9], v[8:9] op_sel:[0,1]
	v_mov_b32_e32 v4, v23
	s_mov_b32 s6, s38
.LBB21_45:                              ;   Parent Loop BB21_15 Depth=1
                                        ;     Parent Loop BB21_25 Depth=2
                                        ;       Parent Loop BB21_30 Depth=3
                                        ; =>      This Inner Loop Header: Depth=4
	v_lshlrev_b64 v[26:27], 2, v[4:5]
	v_add_co_u32_e32 v26, vcc, s18, v26
	v_addc_co_u32_e32 v27, vcc, v20, v27, vcc
	global_load_dword v25, v[10:11], off
	s_add_i32 s6, s6, -1
	global_load_dword v26, v[26:27], off
	v_add_co_u32_e32 v10, vcc, 4, v10
	v_add_u32_e32 v4, s38, v4
	v_addc_co_u32_e32 v11, vcc, 0, v11, vcc
	s_cmp_eq_u32 s6, 0
	s_waitcnt vmcnt(0)
	v_fmac_f32_e32 v24, v25, v26
	s_cbranch_scc0 .LBB21_45
.LBB21_46:                              ;   in Loop: Header=BB21_30 Depth=3
	s_lshl_b32 s6, s19, 8
	v_or3_b32 v4, s6, v13, v12
	v_lshlrev_b32_e32 v4, 2, v4
	ds_read_b32 v10, v4
	s_waitcnt lgkmcnt(0)
	v_fmac_f32_e32 v10, v1, v24
	ds_write_b32 v4, v10
.LBB21_47:                              ;   in Loop: Header=BB21_30 Depth=3
	s_or_b64 exec, exec, s[54:55]
	s_mov_b64 s[6:7], -1
	s_mov_b32 s53, s63
	s_mov_b32 s19, s62
	s_waitcnt lgkmcnt(0)
	s_barrier
.LBB21_48:                              ;   in Loop: Header=BB21_30 Depth=3
	s_add_i32 s52, s52, 1
	s_cmp_lt_i32 s52, s49
	s_cselect_b64 s[54:55], -1, 0
	s_and_b64 s[6:7], s[6:7], s[54:55]
	v_add_u32_e32 v7, s36, v7
	v_add_u32_e32 v23, s36, v23
	s_and_b64 vcc, exec, s[6:7]
	s_cbranch_vccz .LBB21_51
; %bb.49:                               ;   in Loop: Header=BB21_30 Depth=3
	s_mov_b32 s63, s53
	s_mov_b32 s62, s19
	s_branch .LBB21_30
.LBB21_50:                              ;   in Loop: Header=BB21_25 Depth=2
	s_mov_b32 s53, s52
	s_mov_b32 s19, s62
.LBB21_51:                              ;   in Loop: Header=BB21_25 Depth=2
	s_add_u32 s6, s10, s50
	s_addc_u32 s7, s11, s51
	s_add_i32 s48, s48, 1
	v_mov_b32_e32 v4, s53
	v_add_u32_e32 v22, s36, v22
	s_cmp_lt_i32 s48, s33
	v_add_u32_e32 v6, s36, v6
	global_store_dword v5, v4, s[6:7]
	s_cbranch_scc0 .LBB21_54
; %bb.52:                               ;   in Loop: Header=BB21_25 Depth=2
	s_mov_b32 s62, s19
	s_branch .LBB21_25
.LBB21_53:                              ;   in Loop: Header=BB21_25 Depth=2
                                        ; implicit-def: $sgpr52
	s_branch .LBB21_27
.LBB21_54:                              ;   in Loop: Header=BB21_15 Depth=1
	s_andn2_b64 vcc, exec, s[0:1]
	s_cbranch_vccnz .LBB21_64
; %bb.55:                               ;   in Loop: Header=BB21_15 Depth=1
	s_load_dwordx2 s[6:7], s[12:13], 0x0
	s_waitcnt lgkmcnt(0)
	s_cmp_ge_i32 s6, s7
	s_cbranch_scc1 .LBB21_64
; %bb.56:                               ;   in Loop: Header=BB21_15 Depth=1
	s_sub_i32 s8, s6, s31
	s_sub_i32 s50, s7, s31
	s_mul_i32 s7, s38, s8
	s_ashr_i32 s9, s8, 31
	v_add_u32_e32 v4, s7, v16
	s_add_i32 s51, s60, s6
	s_lshl_b64 s[6:7], s[8:9], 2
	v_mad_u64_u32 v[6:7], s[48:49], s38, v4, v[2:3]
	s_add_u32 s6, s14, s6
	s_addc_u32 s7, s15, s7
	v_mov_b32_e32 v4, v6
	s_branch .LBB21_59
.LBB21_57:                              ;   in Loop: Header=BB21_59 Depth=2
	s_or_b64 exec, exec, s[8:9]
	s_mov_b64 s[8:9], -1
	s_mov_b32 s52, s19
	s_waitcnt lgkmcnt(0)
	s_barrier
.LBB21_58:                              ;   in Loop: Header=BB21_59 Depth=2
	s_cmp_lt_i32 s51, s50
	s_cselect_b64 s[48:49], -1, 0
	s_and_b64 s[8:9], s[8:9], s[48:49]
	s_add_i32 s51, s51, 1
	s_add_u32 s6, s6, 4
	v_add_u32_e32 v4, s36, v4
	s_addc_u32 s7, s7, 0
	s_mov_b32 s19, s52
	s_and_b64 vcc, exec, s[8:9]
	s_cbranch_vccz .LBB21_64
.LBB21_59:                              ;   Parent Loop BB21_15 Depth=1
                                        ; =>  This Inner Loop Header: Depth=2
	s_load_dword s8, s[6:7], 0x0
                                        ; implicit-def: $sgpr52
	s_waitcnt lgkmcnt(0)
	s_sub_i32 s53, s8, s31
	s_cmp_lt_i32 s53, s35
	s_cselect_b64 s[48:49], -1, 0
	s_cmp_lt_i32 s53, s61
	s_cselect_b64 s[8:9], -1, 0
	s_cmp_ge_i32 s53, s61
	s_cselect_b64 s[54:55], -1, 0
	s_or_b64 s[54:55], s[48:49], s[54:55]
	s_mov_b64 s[48:49], -1
	s_and_b64 vcc, exec, s[54:55]
	s_cbranch_vccz .LBB21_61
; %bb.60:                               ;   in Loop: Header=BB21_59 Depth=2
	s_min_i32 s52, s53, s19
	s_and_b64 s[48:49], s[8:9], exec
	s_cselect_b32 s52, s19, s52
	s_mov_b64 s[48:49], 0
.LBB21_61:                              ;   in Loop: Header=BB21_59 Depth=2
	s_andn2_b64 vcc, exec, s[48:49]
	s_cbranch_vccnz .LBB21_58
; %bb.62:                               ;   in Loop: Header=BB21_59 Depth=2
	s_sub_i32 s48, s53, s35
	v_mov_b32_e32 v6, s48
	ds_write_b8 v6, v21 offset:8192
	s_and_saveexec_b64 s[8:9], s[44:45]
	s_cbranch_execz .LBB21_57
; %bb.63:                               ;   in Loop: Header=BB21_59 Depth=2
	v_lshlrev_b64 v[6:7], 2, v[4:5]
	v_mov_b32_e32 v8, s17
	v_add_co_u32_e32 v6, vcc, s16, v6
	v_addc_co_u32_e32 v7, vcc, v8, v7, vcc
	global_load_dword v6, v[6:7], off
	s_lshl_b32 s48, s48, 8
	v_or3_b32 v7, s48, v13, v12
	v_lshlrev_b32_e32 v7, 2, v7
	ds_read_b32 v8, v7
	s_waitcnt vmcnt(0) lgkmcnt(0)
	v_fmac_f32_e32 v8, v3, v6
	ds_write_b32 v7, v8
	s_branch .LBB21_57
.LBB21_64:                              ;   in Loop: Header=BB21_15 Depth=1
	s_barrier
	ds_read_u8 v4, v5 offset:8192
	s_add_i32 s49, s35, s30
	s_mov_b32 s48, 0
	s_waitcnt lgkmcnt(0)
	v_cmp_eq_u32_e32 vcc, 0, v4
	s_cbranch_vccz .LBB21_72
; %bb.65:                               ;   in Loop: Header=BB21_15 Depth=1
	ds_read_u8 v4, v5 offset:8193
	s_waitcnt lgkmcnt(0)
	v_cmp_eq_u32_e32 vcc, 0, v4
	s_cbranch_vccz .LBB21_75
.LBB21_66:                              ;   in Loop: Header=BB21_15 Depth=1
	ds_read_u8 v4, v5 offset:8194
	s_waitcnt lgkmcnt(0)
	v_cmp_eq_u32_e32 vcc, 0, v4
	s_cbranch_vccz .LBB21_78
.LBB21_67:                              ;   in Loop: Header=BB21_15 Depth=1
	ds_read_u8 v4, v5 offset:8195
	s_waitcnt lgkmcnt(0)
	v_cmp_eq_u32_e32 vcc, 0, v4
	s_cbranch_vccz .LBB21_81
.LBB21_68:                              ;   in Loop: Header=BB21_15 Depth=1
	ds_read_u8 v4, v5 offset:8196
	s_waitcnt lgkmcnt(0)
	v_cmp_eq_u32_e32 vcc, 0, v4
	s_cbranch_vccz .LBB21_84
.LBB21_69:                              ;   in Loop: Header=BB21_15 Depth=1
	ds_read_u8 v4, v5 offset:8197
	s_waitcnt lgkmcnt(0)
	v_cmp_eq_u32_e32 vcc, 0, v4
	s_cbranch_vccz .LBB21_87
.LBB21_70:                              ;   in Loop: Header=BB21_15 Depth=1
	ds_read_u8 v4, v5 offset:8198
	s_waitcnt lgkmcnt(0)
	v_cmp_eq_u32_e32 vcc, 0, v4
	s_cbranch_vccz .LBB21_90
.LBB21_71:                              ;   in Loop: Header=BB21_15 Depth=1
	ds_read_u8 v4, v5 offset:8199
	s_waitcnt lgkmcnt(0)
	v_cmp_eq_u32_e32 vcc, 0, v4
	s_cbranch_vccnz .LBB21_14
	s_branch .LBB21_93
.LBB21_72:                              ;   in Loop: Header=BB21_15 Depth=1
	s_ashr_i32 s35, s34, 31
	s_lshl_b64 s[6:7], s[34:35], 2
	s_add_u32 s6, s40, s6
	s_addc_u32 s7, s41, s7
	v_mov_b32_e32 v4, s49
	global_store_dword v5, v4, s[6:7]
	s_and_saveexec_b64 s[6:7], s[44:45]
	s_cbranch_execz .LBB21_74
; %bb.73:                               ;   in Loop: Header=BB21_15 Depth=1
	s_mul_i32 s8, s34, s38
	v_add_u32_e32 v6, s8, v16
	ds_read_b32 v4, v14
	v_mad_u64_u32 v[6:7], s[8:9], v6, s38, v[2:3]
	v_mov_b32_e32 v7, v5
	v_lshlrev_b64 v[6:7], 2, v[6:7]
	v_mov_b32_e32 v8, s43
	v_add_co_u32_e32 v6, vcc, s42, v6
	v_addc_co_u32_e32 v7, vcc, v8, v7, vcc
	s_waitcnt lgkmcnt(0)
	global_store_dword v[6:7], v4, off
.LBB21_74:                              ;   in Loop: Header=BB21_15 Depth=1
	s_or_b64 exec, exec, s[6:7]
	s_mov_b32 s48, 1
	ds_read_u8 v4, v5 offset:8193
	s_waitcnt lgkmcnt(0)
	v_cmp_eq_u32_e32 vcc, 0, v4
	s_cbranch_vccnz .LBB21_66
.LBB21_75:                              ;   in Loop: Header=BB21_15 Depth=1
	s_add_i32 s8, s48, s34
	s_ashr_i32 s9, s8, 31
	s_add_i32 s35, s49, 1
	s_lshl_b64 s[6:7], s[8:9], 2
	s_add_u32 s6, s40, s6
	s_addc_u32 s7, s41, s7
	v_mov_b32_e32 v4, s35
	global_store_dword v5, v4, s[6:7]
	s_and_saveexec_b64 s[6:7], s[44:45]
	s_cbranch_execz .LBB21_77
; %bb.76:                               ;   in Loop: Header=BB21_15 Depth=1
	s_mul_i32 s8, s8, s38
	v_add_u32_e32 v6, s8, v16
	ds_read_b32 v4, v15 offset:1024
	v_mad_u64_u32 v[6:7], s[8:9], v6, s38, v[2:3]
	v_mov_b32_e32 v7, v5
	v_lshlrev_b64 v[6:7], 2, v[6:7]
	v_mov_b32_e32 v8, s43
	v_add_co_u32_e32 v6, vcc, s42, v6
	v_addc_co_u32_e32 v7, vcc, v8, v7, vcc
	s_waitcnt lgkmcnt(0)
	global_store_dword v[6:7], v4, off
.LBB21_77:                              ;   in Loop: Header=BB21_15 Depth=1
	s_or_b64 exec, exec, s[6:7]
	s_add_i32 s48, s48, 1
	ds_read_u8 v4, v5 offset:8194
	s_waitcnt lgkmcnt(0)
	v_cmp_eq_u32_e32 vcc, 0, v4
	s_cbranch_vccnz .LBB21_67
.LBB21_78:                              ;   in Loop: Header=BB21_15 Depth=1
	s_add_i32 s8, s48, s34
	s_ashr_i32 s9, s8, 31
	s_add_i32 s35, s49, 2
	s_lshl_b64 s[6:7], s[8:9], 2
	s_add_u32 s6, s40, s6
	s_addc_u32 s7, s41, s7
	v_mov_b32_e32 v4, s35
	global_store_dword v5, v4, s[6:7]
	s_and_saveexec_b64 s[6:7], s[44:45]
	s_cbranch_execz .LBB21_80
; %bb.79:                               ;   in Loop: Header=BB21_15 Depth=1
	s_mul_i32 s8, s8, s38
	v_add_u32_e32 v6, s8, v16
	ds_read_b32 v4, v15 offset:2048
	v_mad_u64_u32 v[6:7], s[8:9], v6, s38, v[2:3]
	v_mov_b32_e32 v7, v5
	v_lshlrev_b64 v[6:7], 2, v[6:7]
	v_mov_b32_e32 v8, s43
	v_add_co_u32_e32 v6, vcc, s42, v6
	v_addc_co_u32_e32 v7, vcc, v8, v7, vcc
	s_waitcnt lgkmcnt(0)
	global_store_dword v[6:7], v4, off
.LBB21_80:                              ;   in Loop: Header=BB21_15 Depth=1
	s_or_b64 exec, exec, s[6:7]
	s_add_i32 s48, s48, 1
	ds_read_u8 v4, v5 offset:8195
	s_waitcnt lgkmcnt(0)
	v_cmp_eq_u32_e32 vcc, 0, v4
	s_cbranch_vccnz .LBB21_68
.LBB21_81:                              ;   in Loop: Header=BB21_15 Depth=1
	s_add_i32 s8, s48, s34
	s_ashr_i32 s9, s8, 31
	s_add_i32 s35, s49, 3
	s_lshl_b64 s[6:7], s[8:9], 2
	s_add_u32 s6, s40, s6
	s_addc_u32 s7, s41, s7
	v_mov_b32_e32 v4, s35
	global_store_dword v5, v4, s[6:7]
	s_and_saveexec_b64 s[6:7], s[44:45]
	s_cbranch_execz .LBB21_83
; %bb.82:                               ;   in Loop: Header=BB21_15 Depth=1
	s_mul_i32 s8, s8, s38
	v_add_u32_e32 v6, s8, v16
	ds_read_b32 v4, v15 offset:3072
	v_mad_u64_u32 v[6:7], s[8:9], v6, s38, v[2:3]
	v_mov_b32_e32 v7, v5
	v_lshlrev_b64 v[6:7], 2, v[6:7]
	v_mov_b32_e32 v8, s43
	v_add_co_u32_e32 v6, vcc, s42, v6
	v_addc_co_u32_e32 v7, vcc, v8, v7, vcc
	s_waitcnt lgkmcnt(0)
	global_store_dword v[6:7], v4, off
.LBB21_83:                              ;   in Loop: Header=BB21_15 Depth=1
	s_or_b64 exec, exec, s[6:7]
	s_add_i32 s48, s48, 1
	ds_read_u8 v4, v5 offset:8196
	s_waitcnt lgkmcnt(0)
	v_cmp_eq_u32_e32 vcc, 0, v4
	s_cbranch_vccnz .LBB21_69
.LBB21_84:                              ;   in Loop: Header=BB21_15 Depth=1
	s_add_i32 s8, s48, s34
	s_ashr_i32 s9, s8, 31
	s_add_i32 s35, s49, 4
	s_lshl_b64 s[6:7], s[8:9], 2
	s_add_u32 s6, s40, s6
	s_addc_u32 s7, s41, s7
	v_mov_b32_e32 v4, s35
	global_store_dword v5, v4, s[6:7]
	s_and_saveexec_b64 s[6:7], s[44:45]
	s_cbranch_execz .LBB21_86
; %bb.85:                               ;   in Loop: Header=BB21_15 Depth=1
	s_mul_i32 s8, s8, s38
	v_add_u32_e32 v6, s8, v16
	ds_read_b32 v4, v14 offset:4096
	v_mad_u64_u32 v[6:7], s[8:9], v6, s38, v[2:3]
	v_mov_b32_e32 v7, v5
	v_lshlrev_b64 v[6:7], 2, v[6:7]
	v_mov_b32_e32 v8, s43
	v_add_co_u32_e32 v6, vcc, s42, v6
	v_addc_co_u32_e32 v7, vcc, v8, v7, vcc
	s_waitcnt lgkmcnt(0)
	global_store_dword v[6:7], v4, off
.LBB21_86:                              ;   in Loop: Header=BB21_15 Depth=1
	s_or_b64 exec, exec, s[6:7]
	s_add_i32 s48, s48, 1
	ds_read_u8 v4, v5 offset:8197
	s_waitcnt lgkmcnt(0)
	v_cmp_eq_u32_e32 vcc, 0, v4
	s_cbranch_vccnz .LBB21_70
.LBB21_87:                              ;   in Loop: Header=BB21_15 Depth=1
	s_add_i32 s8, s48, s34
	s_ashr_i32 s9, s8, 31
	s_add_i32 s35, s49, 5
	s_lshl_b64 s[6:7], s[8:9], 2
	s_add_u32 s6, s40, s6
	s_addc_u32 s7, s41, s7
	v_mov_b32_e32 v4, s35
	global_store_dword v5, v4, s[6:7]
	s_and_saveexec_b64 s[6:7], s[44:45]
	s_cbranch_execz .LBB21_89
; %bb.88:                               ;   in Loop: Header=BB21_15 Depth=1
	s_mul_i32 s8, s8, s38
	v_add_u32_e32 v6, s8, v16
	ds_read_b32 v4, v15 offset:5120
	v_mad_u64_u32 v[6:7], s[8:9], v6, s38, v[2:3]
	v_mov_b32_e32 v7, v5
	v_lshlrev_b64 v[6:7], 2, v[6:7]
	v_mov_b32_e32 v8, s43
	v_add_co_u32_e32 v6, vcc, s42, v6
	v_addc_co_u32_e32 v7, vcc, v8, v7, vcc
	s_waitcnt lgkmcnt(0)
	global_store_dword v[6:7], v4, off
.LBB21_89:                              ;   in Loop: Header=BB21_15 Depth=1
	s_or_b64 exec, exec, s[6:7]
	s_add_i32 s48, s48, 1
	ds_read_u8 v4, v5 offset:8198
	s_waitcnt lgkmcnt(0)
	v_cmp_eq_u32_e32 vcc, 0, v4
	s_cbranch_vccnz .LBB21_71
.LBB21_90:                              ;   in Loop: Header=BB21_15 Depth=1
	s_add_i32 s8, s48, s34
	s_ashr_i32 s9, s8, 31
	s_add_i32 s35, s49, 6
	s_lshl_b64 s[6:7], s[8:9], 2
	s_add_u32 s6, s40, s6
	s_addc_u32 s7, s41, s7
	v_mov_b32_e32 v4, s35
	global_store_dword v5, v4, s[6:7]
	s_and_saveexec_b64 s[6:7], s[44:45]
	s_cbranch_execz .LBB21_92
; %bb.91:                               ;   in Loop: Header=BB21_15 Depth=1
	s_mul_i32 s8, s8, s38
	v_add_u32_e32 v6, s8, v16
	ds_read_b32 v4, v15 offset:6144
	v_mad_u64_u32 v[6:7], s[8:9], v6, s38, v[2:3]
	v_mov_b32_e32 v7, v5
	v_lshlrev_b64 v[6:7], 2, v[6:7]
	v_mov_b32_e32 v8, s43
	v_add_co_u32_e32 v6, vcc, s42, v6
	v_addc_co_u32_e32 v7, vcc, v8, v7, vcc
	s_waitcnt lgkmcnt(0)
	global_store_dword v[6:7], v4, off
.LBB21_92:                              ;   in Loop: Header=BB21_15 Depth=1
	s_or_b64 exec, exec, s[6:7]
	s_add_i32 s48, s48, 1
	ds_read_u8 v4, v5 offset:8199
	s_waitcnt lgkmcnt(0)
	v_cmp_eq_u32_e32 vcc, 0, v4
	s_cbranch_vccnz .LBB21_14
.LBB21_93:                              ;   in Loop: Header=BB21_15 Depth=1
	s_add_i32 s8, s48, s34
	s_ashr_i32 s9, s8, 31
	s_add_i32 s35, s49, 7
	s_lshl_b64 s[6:7], s[8:9], 2
	s_add_u32 s6, s40, s6
	s_addc_u32 s7, s41, s7
	v_mov_b32_e32 v4, s35
	global_store_dword v5, v4, s[6:7]
	s_and_saveexec_b64 s[6:7], s[44:45]
	s_cbranch_execz .LBB21_13
; %bb.94:                               ;   in Loop: Header=BB21_15 Depth=1
	s_mul_i32 s8, s8, s38
	v_add_u32_e32 v6, s8, v16
	ds_read_b32 v4, v15 offset:7168
	v_mad_u64_u32 v[6:7], s[8:9], v6, s38, v[2:3]
	v_mov_b32_e32 v7, v5
	v_lshlrev_b64 v[6:7], 2, v[6:7]
	v_mov_b32_e32 v8, s43
	v_add_co_u32_e32 v6, vcc, s42, v6
	v_addc_co_u32_e32 v7, vcc, v8, v7, vcc
	s_waitcnt lgkmcnt(0)
	global_store_dword v[6:7], v4, off
	s_branch .LBB21_13
.LBB21_95:
	s_endpgm
	.section	.rodata,"a",@progbits
	.p2align	6, 0x0
	.amdhsa_kernel _ZN9rocsparseL31bsrgemm_block_per_row_multipassILj256ELj8ELj16EiifEEv20rocsparse_direction_T3_S2_PKS2_S4_NS_24const_host_device_scalarIT4_EEPKT2_S4_PKS6_SA_S4_SC_S7_SA_S4_SC_SA_PS2_PS6_PS8_21rocsparse_index_base_SG_SG_SG_bbb
		.amdhsa_group_segment_fixed_size 8200
		.amdhsa_private_segment_fixed_size 0
		.amdhsa_kernarg_size 172
		.amdhsa_user_sgpr_count 6
		.amdhsa_user_sgpr_private_segment_buffer 1
		.amdhsa_user_sgpr_dispatch_ptr 0
		.amdhsa_user_sgpr_queue_ptr 0
		.amdhsa_user_sgpr_kernarg_segment_ptr 1
		.amdhsa_user_sgpr_dispatch_id 0
		.amdhsa_user_sgpr_flat_scratch_init 0
		.amdhsa_user_sgpr_kernarg_preload_length 0
		.amdhsa_user_sgpr_kernarg_preload_offset 0
		.amdhsa_user_sgpr_private_segment_size 0
		.amdhsa_uses_dynamic_stack 0
		.amdhsa_system_sgpr_private_segment_wavefront_offset 0
		.amdhsa_system_sgpr_workgroup_id_x 1
		.amdhsa_system_sgpr_workgroup_id_y 0
		.amdhsa_system_sgpr_workgroup_id_z 0
		.amdhsa_system_sgpr_workgroup_info 0
		.amdhsa_system_vgpr_workitem_id 0
		.amdhsa_next_free_vgpr 30
		.amdhsa_next_free_sgpr 65
		.amdhsa_accum_offset 32
		.amdhsa_reserve_vcc 1
		.amdhsa_reserve_flat_scratch 0
		.amdhsa_float_round_mode_32 0
		.amdhsa_float_round_mode_16_64 0
		.amdhsa_float_denorm_mode_32 3
		.amdhsa_float_denorm_mode_16_64 3
		.amdhsa_dx10_clamp 1
		.amdhsa_ieee_mode 1
		.amdhsa_fp16_overflow 0
		.amdhsa_tg_split 0
		.amdhsa_exception_fp_ieee_invalid_op 0
		.amdhsa_exception_fp_denorm_src 0
		.amdhsa_exception_fp_ieee_div_zero 0
		.amdhsa_exception_fp_ieee_overflow 0
		.amdhsa_exception_fp_ieee_underflow 0
		.amdhsa_exception_fp_ieee_inexact 0
		.amdhsa_exception_int_div_zero 0
	.end_amdhsa_kernel
	.section	.text._ZN9rocsparseL31bsrgemm_block_per_row_multipassILj256ELj8ELj16EiifEEv20rocsparse_direction_T3_S2_PKS2_S4_NS_24const_host_device_scalarIT4_EEPKT2_S4_PKS6_SA_S4_SC_S7_SA_S4_SC_SA_PS2_PS6_PS8_21rocsparse_index_base_SG_SG_SG_bbb,"axG",@progbits,_ZN9rocsparseL31bsrgemm_block_per_row_multipassILj256ELj8ELj16EiifEEv20rocsparse_direction_T3_S2_PKS2_S4_NS_24const_host_device_scalarIT4_EEPKT2_S4_PKS6_SA_S4_SC_S7_SA_S4_SC_SA_PS2_PS6_PS8_21rocsparse_index_base_SG_SG_SG_bbb,comdat
.Lfunc_end21:
	.size	_ZN9rocsparseL31bsrgemm_block_per_row_multipassILj256ELj8ELj16EiifEEv20rocsparse_direction_T3_S2_PKS2_S4_NS_24const_host_device_scalarIT4_EEPKT2_S4_PKS6_SA_S4_SC_S7_SA_S4_SC_SA_PS2_PS6_PS8_21rocsparse_index_base_SG_SG_SG_bbb, .Lfunc_end21-_ZN9rocsparseL31bsrgemm_block_per_row_multipassILj256ELj8ELj16EiifEEv20rocsparse_direction_T3_S2_PKS2_S4_NS_24const_host_device_scalarIT4_EEPKT2_S4_PKS6_SA_S4_SC_S7_SA_S4_SC_SA_PS2_PS6_PS8_21rocsparse_index_base_SG_SG_SG_bbb
                                        ; -- End function
	.section	.AMDGPU.csdata,"",@progbits
; Kernel info:
; codeLenInByte = 3144
; NumSgprs: 69
; NumVgprs: 30
; NumAgprs: 0
; TotalNumVgprs: 30
; ScratchSize: 0
; MemoryBound: 0
; FloatMode: 240
; IeeeMode: 1
; LDSByteSize: 8200 bytes/workgroup (compile time only)
; SGPRBlocks: 8
; VGPRBlocks: 3
; NumSGPRsForWavesPerEU: 69
; NumVGPRsForWavesPerEU: 30
; AccumOffset: 32
; Occupancy: 7
; WaveLimiterHint : 1
; COMPUTE_PGM_RSRC2:SCRATCH_EN: 0
; COMPUTE_PGM_RSRC2:USER_SGPR: 6
; COMPUTE_PGM_RSRC2:TRAP_HANDLER: 0
; COMPUTE_PGM_RSRC2:TGID_X_EN: 1
; COMPUTE_PGM_RSRC2:TGID_Y_EN: 0
; COMPUTE_PGM_RSRC2:TGID_Z_EN: 0
; COMPUTE_PGM_RSRC2:TIDIG_COMP_CNT: 0
; COMPUTE_PGM_RSRC3_GFX90A:ACCUM_OFFSET: 7
; COMPUTE_PGM_RSRC3_GFX90A:TG_SPLIT: 0
	.section	.text._ZN9rocsparseL31bsrgemm_block_per_row_multipassILj256ELj2ELj32EiifEEv20rocsparse_direction_T3_S2_PKS2_S4_NS_24const_host_device_scalarIT4_EEPKT2_S4_PKS6_SA_S4_SC_S7_SA_S4_SC_SA_PS2_PS6_PS8_21rocsparse_index_base_SG_SG_SG_bbb,"axG",@progbits,_ZN9rocsparseL31bsrgemm_block_per_row_multipassILj256ELj2ELj32EiifEEv20rocsparse_direction_T3_S2_PKS2_S4_NS_24const_host_device_scalarIT4_EEPKT2_S4_PKS6_SA_S4_SC_S7_SA_S4_SC_SA_PS2_PS6_PS8_21rocsparse_index_base_SG_SG_SG_bbb,comdat
	.globl	_ZN9rocsparseL31bsrgemm_block_per_row_multipassILj256ELj2ELj32EiifEEv20rocsparse_direction_T3_S2_PKS2_S4_NS_24const_host_device_scalarIT4_EEPKT2_S4_PKS6_SA_S4_SC_S7_SA_S4_SC_SA_PS2_PS6_PS8_21rocsparse_index_base_SG_SG_SG_bbb ; -- Begin function _ZN9rocsparseL31bsrgemm_block_per_row_multipassILj256ELj2ELj32EiifEEv20rocsparse_direction_T3_S2_PKS2_S4_NS_24const_host_device_scalarIT4_EEPKT2_S4_PKS6_SA_S4_SC_S7_SA_S4_SC_SA_PS2_PS6_PS8_21rocsparse_index_base_SG_SG_SG_bbb
	.p2align	8
	.type	_ZN9rocsparseL31bsrgemm_block_per_row_multipassILj256ELj2ELj32EiifEEv20rocsparse_direction_T3_S2_PKS2_S4_NS_24const_host_device_scalarIT4_EEPKT2_S4_PKS6_SA_S4_SC_S7_SA_S4_SC_SA_PS2_PS6_PS8_21rocsparse_index_base_SG_SG_SG_bbb,@function
_ZN9rocsparseL31bsrgemm_block_per_row_multipassILj256ELj2ELj32EiifEEv20rocsparse_direction_T3_S2_PKS2_S4_NS_24const_host_device_scalarIT4_EEPKT2_S4_PKS6_SA_S4_SC_S7_SA_S4_SC_SA_PS2_PS6_PS8_21rocsparse_index_base_SG_SG_SG_bbb: ; @_ZN9rocsparseL31bsrgemm_block_per_row_multipassILj256ELj2ELj32EiifEEv20rocsparse_direction_T3_S2_PKS2_S4_NS_24const_host_device_scalarIT4_EEPKT2_S4_PKS6_SA_S4_SC_S7_SA_S4_SC_SA_PS2_PS6_PS8_21rocsparse_index_base_SG_SG_SG_bbb
; %bb.0:
	s_load_dword s7, s[4:5], 0xa8
	s_load_dwordx4 s[28:31], s[4:5], 0x98
	s_load_dwordx2 s[0:1], s[4:5], 0x20
	s_load_dwordx2 s[10:11], s[4:5], 0x58
	s_waitcnt lgkmcnt(0)
	s_bitcmp1_b32 s7, 0
	s_cselect_b64 s[8:9], -1, 0
	s_bitcmp1_b32 s7, 16
	s_cselect_b64 s[12:13], -1, 0
	s_xor_b64 s[2:3], s[8:9], -1
	s_or_b64 s[2:3], s[2:3], s[12:13]
	s_and_b64 vcc, exec, s[2:3]
	s_cbranch_vccnz .LBB22_2
; %bb.1:
	s_load_dword s0, s[0:1], 0x0
	s_waitcnt lgkmcnt(0)
	v_mov_b32_e32 v1, s0
	s_branch .LBB22_3
.LBB22_2:
	v_mov_b32_e32 v1, s0
	v_cndmask_b32_e64 v1, 0, v1, s[8:9]
.LBB22_3:
	s_load_dwordx2 s[2:3], s[4:5], 0x18
	s_bitcmp1_b32 s7, 8
	s_cselect_b64 s[0:1], -1, 0
	s_xor_b64 s[14:15], s[0:1], -1
	s_or_b64 s[12:13], s[14:15], s[12:13]
	s_and_b64 vcc, exec, s[12:13]
	s_cbranch_vccnz .LBB22_5
; %bb.4:
	s_load_dword s7, s[10:11], 0x0
	s_waitcnt lgkmcnt(0)
	v_mov_b32_e32 v3, s7
	s_load_dwordx2 s[10:11], s[4:5], 0x28
	s_cmp_eq_u64 s[2:3], 0
	s_cbranch_scc0 .LBB22_6
	s_branch .LBB22_7
.LBB22_5:
	v_mov_b32_e32 v2, s10
	v_cndmask_b32_e64 v3, 0, v2, s[0:1]
	s_load_dwordx2 s[10:11], s[4:5], 0x28
	s_waitcnt lgkmcnt(0)
	s_cmp_eq_u64 s[2:3], 0
	s_cbranch_scc1 .LBB22_7
.LBB22_6:
	s_load_dwordx2 s[12:13], s[4:5], 0x10
	s_waitcnt lgkmcnt(0)
	s_load_dword s7, s[12:13], 0x0
	s_waitcnt lgkmcnt(0)
	s_add_i32 s6, s7, s6
	s_mov_b32 s7, 0
	s_lshl_b64 s[6:7], s[6:7], 2
	s_add_u32 s2, s2, s6
	s_addc_u32 s3, s3, s7
	s_load_dword s6, s[2:3], 0x0
.LBB22_7:
	v_cndmask_b32_e64 v2, 0, 1, s[8:9]
	s_mov_b32 s33, 0
	v_cmp_ne_u32_e64 s[2:3], 1, v2
	s_andn2_b64 vcc, exec, s[8:9]
	s_mov_b32 s66, 0
	s_cbranch_vccz .LBB22_10
; %bb.8:
	s_and_b64 vcc, exec, s[2:3]
	s_cbranch_vccz .LBB22_11
.LBB22_9:
	s_load_dwordx4 s[36:39], s[4:5], 0x0
	s_waitcnt lgkmcnt(0)
	s_cmp_lt_i32 s37, 1
	s_cbranch_scc0 .LBB22_12
	s_branch .LBB22_173
.LBB22_10:
	s_waitcnt lgkmcnt(0)
	s_ashr_i32 s7, s6, 31
	s_lshl_b64 s[12:13], s[6:7], 2
	s_add_u32 s12, s10, s12
	s_addc_u32 s13, s11, s13
	s_load_dword s7, s[12:13], 0x0
	s_waitcnt lgkmcnt(0)
	s_sub_i32 s66, s7, s28
	s_and_b64 vcc, exec, s[2:3]
	s_cbranch_vccnz .LBB22_9
.LBB22_11:
	s_waitcnt lgkmcnt(0)
	s_ashr_i32 s7, s6, 31
	s_lshl_b64 s[2:3], s[6:7], 2
	s_add_u32 s2, s10, s2
	s_addc_u32 s3, s11, s3
	s_load_dword s2, s[2:3], 0x4
	s_waitcnt lgkmcnt(0)
	s_sub_i32 s33, s2, s28
	s_load_dwordx4 s[36:39], s[4:5], 0x0
	s_waitcnt lgkmcnt(0)
	s_cmp_lt_i32 s37, 1
	s_cbranch_scc1 .LBB22_173
.LBB22_12:
	s_load_dwordx8 s[12:19], s[4:5], 0x60
	s_load_dwordx2 s[10:11], s[4:5], 0x90
	s_load_dwordx4 s[40:43], s[4:5], 0x80
	s_load_dwordx2 s[34:35], s[4:5], 0x50
	s_ashr_i32 s7, s6, 31
	s_lshl_b64 s[6:7], s[6:7], 2
	s_waitcnt lgkmcnt(0)
	s_add_u32 s2, s18, s6
	s_addc_u32 s3, s19, s7
	s_load_dword s18, s[2:3], 0x0
	s_load_dwordx8 s[20:27], s[4:5], 0x30
	v_lshrrev_b32_e32 v2, 3, v0
	v_and_b32_e32 v12, 7, v0
	v_lshlrev_b32_e32 v13, 5, v2
	s_waitcnt lgkmcnt(0)
	s_sub_i32 s18, s18, s30
	s_cmp_lt_i32 s66, s33
	s_cselect_b64 s[56:57], -1, 0
	s_cmp_lg_u32 s36, 0
	s_cselect_b64 s[44:45], -1, 0
	s_cmp_gt_i32 s38, 0
	v_cmp_gt_i32_e32 vcc, s38, v2
	s_cselect_b64 s[46:47], -1, 0
	s_add_u32 s12, s12, s6
	v_cmp_gt_u32_e64 s[4:5], s38, v12
	v_or_b32_e32 v14, 8, v12
	v_or_b32_e32 v4, v13, v12
	s_mul_i32 s36, s38, s38
	s_addc_u32 s13, s13, s7
	s_and_b64 s[48:49], vcc, s[4:5]
	v_cmp_gt_u32_e64 s[4:5], s38, v14
	v_or_b32_e32 v15, 16, v12
	v_lshlrev_b32_e32 v17, 2, v4
	v_or_b32_e32 v4, v13, v14
	s_and_b64 s[50:51], vcc, s[4:5]
	v_cmp_gt_u32_e64 s[4:5], s38, v15
	v_or_b32_e32 v16, 24, v12
	v_lshlrev_b32_e32 v18, 2, v4
	v_or_b32_e32 v4, v13, v15
	s_mul_i32 s6, s66, s36
	s_and_b64 s[52:53], vcc, s[4:5]
	v_cmp_gt_u32_e64 s[4:5], s38, v16
	v_lshlrev_b32_e32 v19, 2, v4
	v_or_b32_e32 v4, v13, v16
	v_add_u32_e32 v22, s6, v2
	s_mul_i32 s6, s66, s38
	s_and_b64 s[54:55], vcc, s[4:5]
	v_lshlrev_b32_e32 v20, 2, v4
	s_and_b64 s[4:5], s[8:9], s[56:57]
	v_add_u32_e32 v4, s6, v2
	s_add_u32 s39, s24, 4
	v_mul_lo_u32 v23, s38, v4
	v_cndmask_b32_e64 v4, 0, 1, s[4:5]
	s_mov_b32 s69, 2
	v_cmp_gt_u32_e64 s[2:3], 2, v0
	s_mov_b32 s19, 0
	s_addc_u32 s67, s25, 0
	v_lshlrev_b32_e32 v21, 2, v0
	s_sub_i32 s68, 1, s31
	v_mov_b32_e32 v5, 0
	v_cmp_ne_u32_e64 s[4:5], 1, v4
	v_cndmask_b32_e64 v24, 0, 1, s[44:45]
	v_cndmask_b32_e64 v25, 0, 1, s[46:47]
	v_mov_b32_e32 v26, s35
	v_mov_b32_e32 v27, 1
	s_branch .LBB22_16
.LBB22_13:                              ;   in Loop: Header=BB22_16 Depth=1
	ds_read_b32 v8, v20 offset:4096
	v_lshlrev_b64 v[6:7], 2, v[4:5]
	v_mov_b32_e32 v4, s43
	v_add_co_u32_e32 v6, vcc, s42, v6
	v_addc_co_u32_e32 v7, vcc, v4, v7, vcc
	s_waitcnt lgkmcnt(0)
	global_store_dword v[6:7], v8, off
.LBB22_14:                              ;   in Loop: Header=BB22_16 Depth=1
	s_or_b64 exec, exec, s[8:9]
	s_add_i32 s58, s58, 1
.LBB22_15:                              ;   in Loop: Header=BB22_16 Depth=1
	s_min_i32 s19, s61, s37
	s_add_i32 s18, s58, s18
	s_add_i32 s69, s19, 2
	s_cmp_lt_i32 s61, s37
	s_barrier
	s_barrier
	s_cbranch_scc0 .LBB22_173
.LBB22_16:                              ; =>This Loop Header: Depth=1
                                        ;     Child Loop BB22_20 Depth 2
                                        ;     Child Loop BB22_26 Depth 2
                                        ;       Child Loop BB22_31 Depth 3
                                        ;         Child Loop BB22_43 Depth 4
                                        ;         Child Loop BB22_49 Depth 4
	;; [unrolled: 1-line block ×8, first 2 shown]
                                        ;     Child Loop BB22_97 Depth 2
	s_and_saveexec_b64 s[6:7], s[2:3]
	s_cbranch_execz .LBB22_18
; %bb.17:                               ;   in Loop: Header=BB22_16 Depth=1
	ds_write_b8 v0, v5 offset:8192
.LBB22_18:                              ;   in Loop: Header=BB22_16 Depth=1
	s_or_b64 exec, exec, s[6:7]
	s_mov_b32 s58, 0
	s_mov_b64 s[6:7], 0
	v_mov_b32_e32 v4, v21
	s_branch .LBB22_20
.LBB22_19:                              ;   in Loop: Header=BB22_20 Depth=2
	s_or_b64 exec, exec, s[56:57]
	s_add_i32 s58, s58, 2
	v_cmp_eq_u32_e64 s[8:9], 8, s58
	s_or_b64 s[6:7], s[8:9], s[6:7]
	v_add_u32_e32 v4, 0x800, v4
	s_andn2_b64 exec, exec, s[6:7]
	s_cbranch_execz .LBB22_24
.LBB22_20:                              ;   Parent Loop BB22_16 Depth=1
                                        ; =>  This Inner Loop Header: Depth=2
	s_or_b32 s8, s58, 1
	v_cmp_le_u32_e64 s[8:9], s8, 7
	v_cmp_le_u32_e64 s[60:61], s58, 7
	s_and_saveexec_b64 s[56:57], s[60:61]
	s_cbranch_execz .LBB22_22
; %bb.21:                               ;   in Loop: Header=BB22_20 Depth=2
	ds_write_b32 v4, v5
.LBB22_22:                              ;   in Loop: Header=BB22_20 Depth=2
	s_or_b64 exec, exec, s[56:57]
	s_and_saveexec_b64 s[56:57], s[8:9]
	s_cbranch_execz .LBB22_19
; %bb.23:                               ;   in Loop: Header=BB22_20 Depth=2
	ds_write_b32 v4, v5 offset:1024
	s_branch .LBB22_19
.LBB22_24:                              ;   in Loop: Header=BB22_16 Depth=1
	s_or_b64 exec, exec, s[6:7]
	s_and_b64 vcc, exec, s[4:5]
	s_mov_b32 s61, s37
	s_waitcnt lgkmcnt(0)
	s_barrier
	s_cbranch_vccnz .LBB22_91
; %bb.25:                               ;   in Loop: Header=BB22_16 Depth=1
	s_cmp_lg_u32 s19, 0
	s_cselect_b64 s[8:9], -1, 0
	v_mov_b32_e32 v6, v23
	v_mov_b32_e32 v28, v22
	s_mov_b32 s70, s37
	s_mov_b32 s56, s66
.LBB22_26:                              ;   Parent Loop BB22_16 Depth=1
                                        ; =>  This Loop Header: Depth=2
                                        ;       Child Loop BB22_31 Depth 3
                                        ;         Child Loop BB22_43 Depth 4
                                        ;         Child Loop BB22_49 Depth 4
	;; [unrolled: 1-line block ×8, first 2 shown]
	s_ashr_i32 s57, s56, 31
	s_lshl_b64 s[58:59], s[56:57], 2
	s_add_u32 s6, s20, s58
	s_addc_u32 s7, s21, s59
	s_load_dword s6, s[6:7], 0x0
	s_and_b64 vcc, exec, s[8:9]
	s_waitcnt lgkmcnt(0)
	s_sub_i32 s6, s6, s28
	s_cbranch_vccz .LBB22_90
; %bb.27:                               ;   in Loop: Header=BB22_26 Depth=2
	s_add_u32 s60, s10, s58
	s_addc_u32 s61, s11, s59
	global_load_dword v4, v5, s[60:61]
	s_ashr_i32 s7, s6, 31
	s_waitcnt vmcnt(0)
	v_readfirstlane_b32 s60, v4
	s_cbranch_execnz .LBB22_29
.LBB22_28:                              ;   in Loop: Header=BB22_26 Depth=2
	s_ashr_i32 s7, s6, 31
	s_lshl_b64 s[60:61], s[6:7], 2
	s_add_u32 s60, s24, s60
	s_addc_u32 s61, s25, s61
	s_load_dword s57, s[60:61], 0x0
	s_waitcnt lgkmcnt(0)
	s_sub_i32 s60, s57, s29
.LBB22_29:                              ;   in Loop: Header=BB22_26 Depth=2
	s_lshl_b64 s[6:7], s[6:7], 2
	s_add_u32 s6, s39, s6
	s_addc_u32 s7, s67, s7
	s_load_dword s6, s[6:7], 0x0
	s_waitcnt lgkmcnt(0)
	s_sub_i32 s57, s6, s29
	s_cmp_ge_i32 s60, s57
	s_cbranch_scc1 .LBB22_87
; %bb.30:                               ;   in Loop: Header=BB22_26 Depth=2
	v_ashrrev_i32_e32 v7, 31, v6
	v_lshlrev_b64 v[8:9], 2, v[6:7]
	v_mov_b32_e32 v4, s23
	v_add_co_u32_e32 v8, vcc, s22, v8
	s_mul_i32 s6, s38, s60
	v_addc_co_u32_e32 v9, vcc, v4, v9, vcc
	v_add_u32_e32 v4, s6, v12
	v_mul_lo_u32 v7, s38, v4
	v_add_u32_e32 v4, s6, v14
	v_mul_lo_u32 v30, s38, v4
	v_add_u32_e32 v4, s6, v15
	s_mul_i32 s7, s36, s60
	v_mul_lo_u32 v32, s38, v4
	v_add_u32_e32 v4, s6, v16
	v_add_u32_e32 v29, s7, v12
	;; [unrolled: 1-line block ×4, first 2 shown]
	v_mul_lo_u32 v34, s38, v4
	v_add_u32_e32 v35, s7, v16
	s_mov_b32 s71, s60
.LBB22_31:                              ;   Parent Loop BB22_16 Depth=1
                                        ;     Parent Loop BB22_26 Depth=2
                                        ; =>    This Loop Header: Depth=3
                                        ;         Child Loop BB22_43 Depth 4
                                        ;         Child Loop BB22_49 Depth 4
	;; [unrolled: 1-line block ×8, first 2 shown]
	s_ashr_i32 s61, s60, 31
	s_lshl_b64 s[6:7], s[60:61], 2
	s_add_u32 s6, s26, s6
	s_addc_u32 s7, s27, s7
	s_load_dword s6, s[6:7], 0x0
	s_mov_b64 s[62:63], -1
                                        ; implicit-def: $sgpr72
                                        ; implicit-def: $sgpr61
	s_waitcnt lgkmcnt(0)
	s_sub_i32 s73, s6, s29
	s_cmp_lt_i32 s73, s19
	s_cselect_b64 s[6:7], -1, 0
	s_cmp_ge_i32 s73, s69
	s_cselect_b64 s[64:65], -1, 0
	s_or_b64 s[6:7], s[6:7], s[64:65]
	s_and_b64 vcc, exec, s[6:7]
                                        ; implicit-def: $sgpr6_sgpr7
	s_cbranch_vccz .LBB22_35
; %bb.32:                               ;   in Loop: Header=BB22_31 Depth=3
	s_mov_b64 s[6:7], -1
	s_andn2_b64 vcc, exec, s[64:65]
	s_mov_b32 s72, s71
	s_mov_b32 s61, s70
	s_cbranch_vccnz .LBB22_34
; %bb.33:                               ;   in Loop: Header=BB22_31 Depth=3
	s_min_i32 s61, s73, s70
	s_mov_b64 s[6:7], 0
	s_mov_b32 s72, s60
.LBB22_34:                              ;   in Loop: Header=BB22_31 Depth=3
	s_mov_b64 s[62:63], 0
.LBB22_35:                              ;   in Loop: Header=BB22_31 Depth=3
	s_andn2_b64 vcc, exec, s[62:63]
	s_cbranch_vccnz .LBB22_85
; %bb.36:                               ;   in Loop: Header=BB22_31 Depth=3
	s_sub_i32 s6, s73, s19
	v_mov_b32_e32 v4, s6
	v_lshl_or_b32 v36, s6, 10, v13
	ds_write_b8 v4, v27 offset:8192
	s_and_saveexec_b64 s[62:63], s[48:49]
	s_cbranch_execnz .LBB22_40
; %bb.37:                               ;   in Loop: Header=BB22_31 Depth=3
	s_or_b64 exec, exec, s[62:63]
	s_and_saveexec_b64 s[6:7], s[50:51]
	s_cbranch_execnz .LBB22_51
.LBB22_38:                              ;   in Loop: Header=BB22_31 Depth=3
	s_or_b64 exec, exec, s[6:7]
	s_and_saveexec_b64 s[6:7], s[52:53]
	s_cbranch_execnz .LBB22_62
.LBB22_39:                              ;   in Loop: Header=BB22_31 Depth=3
	s_or_b64 exec, exec, s[6:7]
	s_and_saveexec_b64 s[62:63], s[54:55]
	s_cbranch_execnz .LBB22_73
	s_branch .LBB22_84
.LBB22_40:                              ;   in Loop: Header=BB22_31 Depth=3
	s_andn2_b64 vcc, exec, s[44:45]
	v_cmp_ne_u32_e64 s[6:7], 1, v25
	s_cbranch_vccnz .LBB22_45
; %bb.41:                               ;   in Loop: Header=BB22_31 Depth=3
	s_and_b64 vcc, exec, s[6:7]
	s_cbranch_vccnz .LBB22_46
; %bb.42:                               ;   in Loop: Header=BB22_31 Depth=3
	s_mov_b32 s61, 0
	v_mov_b32_e32 v37, 0
	v_mov_b32_e32 v10, v28
.LBB22_43:                              ;   Parent Loop BB22_16 Depth=1
                                        ;     Parent Loop BB22_26 Depth=2
                                        ;       Parent Loop BB22_31 Depth=3
                                        ; =>      This Inner Loop Header: Depth=4
	v_ashrrev_i32_e32 v11, 31, v10
	v_lshlrev_b64 v[38:39], 2, v[10:11]
	v_mov_b32_e32 v42, s23
	v_add_u32_e32 v4, s61, v7
	v_add_co_u32_e32 v38, vcc, s22, v38
	v_lshlrev_b64 v[40:41], 2, v[4:5]
	v_addc_co_u32_e32 v39, vcc, v42, v39, vcc
	v_add_co_u32_e32 v40, vcc, s34, v40
	v_addc_co_u32_e32 v41, vcc, v26, v41, vcc
	global_load_dword v4, v[38:39], off
	global_load_dword v11, v[40:41], off
	s_add_i32 s61, s61, 1
	v_add_u32_e32 v10, s38, v10
	s_cmp_lg_u32 s38, s61
	s_waitcnt vmcnt(0)
	v_fmac_f32_e32 v37, v4, v11
	s_cbranch_scc1 .LBB22_43
; %bb.44:                               ;   in Loop: Header=BB22_31 Depth=3
	s_cbranch_execz .LBB22_47
	s_branch .LBB22_50
.LBB22_45:                              ;   in Loop: Header=BB22_31 Depth=3
                                        ; implicit-def: $vgpr37
	s_branch .LBB22_47
.LBB22_46:                              ;   in Loop: Header=BB22_31 Depth=3
	v_mov_b32_e32 v37, 0
	s_cbranch_execnz .LBB22_50
.LBB22_47:                              ;   in Loop: Header=BB22_31 Depth=3
	v_mov_b32_e32 v37, 0
	s_and_b64 vcc, exec, s[6:7]
	s_cbranch_vccnz .LBB22_50
; %bb.48:                               ;   in Loop: Header=BB22_31 Depth=3
	v_pk_mov_b32 v[10:11], v[8:9], v[8:9] op_sel:[0,1]
	v_mov_b32_e32 v4, v29
	s_mov_b32 s6, s38
.LBB22_49:                              ;   Parent Loop BB22_16 Depth=1
                                        ;     Parent Loop BB22_26 Depth=2
                                        ;       Parent Loop BB22_31 Depth=3
                                        ; =>      This Inner Loop Header: Depth=4
	v_lshlrev_b64 v[38:39], 2, v[4:5]
	v_add_co_u32_e32 v38, vcc, s34, v38
	v_addc_co_u32_e32 v39, vcc, v26, v39, vcc
	global_load_dword v40, v[10:11], off
	s_add_i32 s6, s6, -1
	global_load_dword v38, v[38:39], off
	v_add_co_u32_e32 v10, vcc, 4, v10
	v_add_u32_e32 v4, s38, v4
	v_addc_co_u32_e32 v11, vcc, 0, v11, vcc
	s_cmp_eq_u32 s6, 0
	s_waitcnt vmcnt(0)
	v_fmac_f32_e32 v37, v40, v38
	s_cbranch_scc0 .LBB22_49
.LBB22_50:                              ;   in Loop: Header=BB22_31 Depth=3
	v_or_b32_e32 v4, v36, v12
	v_lshlrev_b32_e32 v4, 2, v4
	ds_read_b32 v10, v4
	s_waitcnt lgkmcnt(0)
	v_fmac_f32_e32 v10, v1, v37
	ds_write_b32 v4, v10
	s_or_b64 exec, exec, s[62:63]
	s_and_saveexec_b64 s[6:7], s[50:51]
	s_cbranch_execz .LBB22_38
.LBB22_51:                              ;   in Loop: Header=BB22_31 Depth=3
	s_andn2_b64 vcc, exec, s[44:45]
	s_cbranch_vccnz .LBB22_55
; %bb.52:                               ;   in Loop: Header=BB22_31 Depth=3
	s_andn2_b64 vcc, exec, s[46:47]
	s_cbranch_vccnz .LBB22_56
; %bb.53:                               ;   in Loop: Header=BB22_31 Depth=3
	s_mov_b32 s61, 0
	v_mov_b32_e32 v37, 0
	v_mov_b32_e32 v10, v28
.LBB22_54:                              ;   Parent Loop BB22_16 Depth=1
                                        ;     Parent Loop BB22_26 Depth=2
                                        ;       Parent Loop BB22_31 Depth=3
                                        ; =>      This Inner Loop Header: Depth=4
	v_ashrrev_i32_e32 v11, 31, v10
	v_lshlrev_b64 v[38:39], 2, v[10:11]
	v_mov_b32_e32 v42, s23
	v_add_u32_e32 v4, s61, v30
	v_add_co_u32_e32 v38, vcc, s22, v38
	v_lshlrev_b64 v[40:41], 2, v[4:5]
	v_addc_co_u32_e32 v39, vcc, v42, v39, vcc
	v_mov_b32_e32 v43, s35
	v_add_co_u32_e32 v40, vcc, s34, v40
	v_addc_co_u32_e32 v41, vcc, v43, v41, vcc
	global_load_dword v4, v[38:39], off
	global_load_dword v11, v[40:41], off
	s_add_i32 s61, s61, 1
	v_add_u32_e32 v10, s38, v10
	s_cmp_eq_u32 s38, s61
	s_waitcnt vmcnt(0)
	v_fmac_f32_e32 v37, v4, v11
	s_cbranch_scc0 .LBB22_54
	s_branch .LBB22_57
.LBB22_55:                              ;   in Loop: Header=BB22_31 Depth=3
                                        ; implicit-def: $vgpr37
	s_branch .LBB22_58
.LBB22_56:                              ;   in Loop: Header=BB22_31 Depth=3
	v_mov_b32_e32 v37, 0
.LBB22_57:                              ;   in Loop: Header=BB22_31 Depth=3
	s_cbranch_execnz .LBB22_61
.LBB22_58:                              ;   in Loop: Header=BB22_31 Depth=3
	v_mov_b32_e32 v37, 0
	s_andn2_b64 vcc, exec, s[46:47]
	s_cbranch_vccnz .LBB22_61
; %bb.59:                               ;   in Loop: Header=BB22_31 Depth=3
	v_pk_mov_b32 v[10:11], v[8:9], v[8:9] op_sel:[0,1]
	v_mov_b32_e32 v4, v31
	s_mov_b32 s61, s38
.LBB22_60:                              ;   Parent Loop BB22_16 Depth=1
                                        ;     Parent Loop BB22_26 Depth=2
                                        ;       Parent Loop BB22_31 Depth=3
                                        ; =>      This Inner Loop Header: Depth=4
	v_lshlrev_b64 v[38:39], 2, v[4:5]
	v_mov_b32_e32 v41, s35
	v_add_co_u32_e32 v38, vcc, s34, v38
	v_addc_co_u32_e32 v39, vcc, v41, v39, vcc
	global_load_dword v40, v[10:11], off
	s_add_i32 s61, s61, -1
	global_load_dword v38, v[38:39], off
	v_add_co_u32_e32 v10, vcc, 4, v10
	v_add_u32_e32 v4, s38, v4
	v_addc_co_u32_e32 v11, vcc, 0, v11, vcc
	s_cmp_eq_u32 s61, 0
	s_waitcnt vmcnt(0)
	v_fmac_f32_e32 v37, v40, v38
	s_cbranch_scc0 .LBB22_60
.LBB22_61:                              ;   in Loop: Header=BB22_31 Depth=3
	v_add_lshl_u32 v4, v36, v12, 2
	ds_read_b32 v10, v4 offset:32
	s_waitcnt lgkmcnt(0)
	v_fmac_f32_e32 v10, v1, v37
	ds_write_b32 v4, v10 offset:32
	s_or_b64 exec, exec, s[6:7]
	s_and_saveexec_b64 s[6:7], s[52:53]
	s_cbranch_execz .LBB22_39
.LBB22_62:                              ;   in Loop: Header=BB22_31 Depth=3
	s_andn2_b64 vcc, exec, s[44:45]
	s_cbranch_vccnz .LBB22_66
; %bb.63:                               ;   in Loop: Header=BB22_31 Depth=3
	s_andn2_b64 vcc, exec, s[46:47]
	s_cbranch_vccnz .LBB22_67
; %bb.64:                               ;   in Loop: Header=BB22_31 Depth=3
	s_mov_b32 s61, 0
	v_mov_b32_e32 v37, 0
	v_mov_b32_e32 v10, v28
.LBB22_65:                              ;   Parent Loop BB22_16 Depth=1
                                        ;     Parent Loop BB22_26 Depth=2
                                        ;       Parent Loop BB22_31 Depth=3
                                        ; =>      This Inner Loop Header: Depth=4
	v_ashrrev_i32_e32 v11, 31, v10
	v_lshlrev_b64 v[38:39], 2, v[10:11]
	v_mov_b32_e32 v42, s23
	v_add_u32_e32 v4, s61, v32
	v_add_co_u32_e32 v38, vcc, s22, v38
	v_lshlrev_b64 v[40:41], 2, v[4:5]
	v_addc_co_u32_e32 v39, vcc, v42, v39, vcc
	v_mov_b32_e32 v43, s35
	v_add_co_u32_e32 v40, vcc, s34, v40
	v_addc_co_u32_e32 v41, vcc, v43, v41, vcc
	global_load_dword v4, v[38:39], off
	global_load_dword v11, v[40:41], off
	s_add_i32 s61, s61, 1
	v_add_u32_e32 v10, s38, v10
	s_cmp_eq_u32 s38, s61
	s_waitcnt vmcnt(0)
	v_fmac_f32_e32 v37, v4, v11
	s_cbranch_scc0 .LBB22_65
	s_branch .LBB22_68
.LBB22_66:                              ;   in Loop: Header=BB22_31 Depth=3
                                        ; implicit-def: $vgpr37
	s_branch .LBB22_69
.LBB22_67:                              ;   in Loop: Header=BB22_31 Depth=3
	v_mov_b32_e32 v37, 0
.LBB22_68:                              ;   in Loop: Header=BB22_31 Depth=3
	s_cbranch_execnz .LBB22_72
.LBB22_69:                              ;   in Loop: Header=BB22_31 Depth=3
	v_mov_b32_e32 v37, 0
	s_andn2_b64 vcc, exec, s[46:47]
	s_cbranch_vccnz .LBB22_72
; %bb.70:                               ;   in Loop: Header=BB22_31 Depth=3
	v_pk_mov_b32 v[10:11], v[8:9], v[8:9] op_sel:[0,1]
	v_mov_b32_e32 v4, v33
	s_mov_b32 s61, s38
.LBB22_71:                              ;   Parent Loop BB22_16 Depth=1
                                        ;     Parent Loop BB22_26 Depth=2
                                        ;       Parent Loop BB22_31 Depth=3
                                        ; =>      This Inner Loop Header: Depth=4
	v_lshlrev_b64 v[38:39], 2, v[4:5]
	v_mov_b32_e32 v41, s35
	v_add_co_u32_e32 v38, vcc, s34, v38
	v_addc_co_u32_e32 v39, vcc, v41, v39, vcc
	global_load_dword v40, v[10:11], off
	s_add_i32 s61, s61, -1
	global_load_dword v38, v[38:39], off
	v_add_co_u32_e32 v10, vcc, 4, v10
	v_add_u32_e32 v4, s38, v4
	v_addc_co_u32_e32 v11, vcc, 0, v11, vcc
	s_cmp_eq_u32 s61, 0
	s_waitcnt vmcnt(0)
	v_fmac_f32_e32 v37, v40, v38
	s_cbranch_scc0 .LBB22_71
.LBB22_72:                              ;   in Loop: Header=BB22_31 Depth=3
	v_add_lshl_u32 v4, v36, v12, 2
	ds_read_b32 v10, v4 offset:64
	s_waitcnt lgkmcnt(0)
	v_fmac_f32_e32 v10, v1, v37
	ds_write_b32 v4, v10 offset:64
	s_or_b64 exec, exec, s[6:7]
	s_and_saveexec_b64 s[62:63], s[54:55]
	s_cbranch_execz .LBB22_84
.LBB22_73:                              ;   in Loop: Header=BB22_31 Depth=3
	s_andn2_b64 vcc, exec, s[44:45]
	v_cmp_ne_u32_e64 s[6:7], 1, v25
	s_cbranch_vccnz .LBB22_77
; %bb.74:                               ;   in Loop: Header=BB22_31 Depth=3
	s_and_b64 vcc, exec, s[6:7]
	s_cbranch_vccnz .LBB22_78
; %bb.75:                               ;   in Loop: Header=BB22_31 Depth=3
	s_mov_b32 s61, 0
	v_mov_b32_e32 v37, 0
	v_mov_b32_e32 v10, v28
.LBB22_76:                              ;   Parent Loop BB22_16 Depth=1
                                        ;     Parent Loop BB22_26 Depth=2
                                        ;       Parent Loop BB22_31 Depth=3
                                        ; =>      This Inner Loop Header: Depth=4
	v_ashrrev_i32_e32 v11, 31, v10
	v_lshlrev_b64 v[38:39], 2, v[10:11]
	v_mov_b32_e32 v42, s23
	v_add_u32_e32 v4, s61, v34
	v_add_co_u32_e32 v38, vcc, s22, v38
	v_lshlrev_b64 v[40:41], 2, v[4:5]
	v_addc_co_u32_e32 v39, vcc, v42, v39, vcc
	v_mov_b32_e32 v43, s35
	v_add_co_u32_e32 v40, vcc, s34, v40
	v_addc_co_u32_e32 v41, vcc, v43, v41, vcc
	global_load_dword v4, v[38:39], off
	global_load_dword v11, v[40:41], off
	s_add_i32 s61, s61, 1
	v_add_u32_e32 v10, s38, v10
	s_cmp_eq_u32 s38, s61
	s_waitcnt vmcnt(0)
	v_fmac_f32_e32 v37, v4, v11
	s_cbranch_scc0 .LBB22_76
	s_branch .LBB22_79
.LBB22_77:                              ;   in Loop: Header=BB22_31 Depth=3
                                        ; implicit-def: $vgpr37
	s_branch .LBB22_80
.LBB22_78:                              ;   in Loop: Header=BB22_31 Depth=3
	v_mov_b32_e32 v37, 0
.LBB22_79:                              ;   in Loop: Header=BB22_31 Depth=3
	s_cbranch_execnz .LBB22_83
.LBB22_80:                              ;   in Loop: Header=BB22_31 Depth=3
	v_mov_b32_e32 v37, 0
	s_and_b64 vcc, exec, s[6:7]
	s_cbranch_vccnz .LBB22_83
; %bb.81:                               ;   in Loop: Header=BB22_31 Depth=3
	v_pk_mov_b32 v[10:11], v[8:9], v[8:9] op_sel:[0,1]
	v_mov_b32_e32 v4, v35
	s_mov_b32 s6, s38
.LBB22_82:                              ;   Parent Loop BB22_16 Depth=1
                                        ;     Parent Loop BB22_26 Depth=2
                                        ;       Parent Loop BB22_31 Depth=3
                                        ; =>      This Inner Loop Header: Depth=4
	v_lshlrev_b64 v[38:39], 2, v[4:5]
	v_mov_b32_e32 v41, s35
	v_add_co_u32_e32 v38, vcc, s34, v38
	v_addc_co_u32_e32 v39, vcc, v41, v39, vcc
	global_load_dword v40, v[10:11], off
	s_add_i32 s6, s6, -1
	global_load_dword v38, v[38:39], off
	v_add_co_u32_e32 v10, vcc, 4, v10
	v_add_u32_e32 v4, s38, v4
	v_addc_co_u32_e32 v11, vcc, 0, v11, vcc
	s_cmp_eq_u32 s6, 0
	s_waitcnt vmcnt(0)
	v_fmac_f32_e32 v37, v40, v38
	s_cbranch_scc0 .LBB22_82
.LBB22_83:                              ;   in Loop: Header=BB22_31 Depth=3
	v_add_lshl_u32 v4, v36, v12, 2
	ds_read_b32 v10, v4 offset:96
	s_waitcnt lgkmcnt(0)
	v_fmac_f32_e32 v10, v1, v37
	ds_write_b32 v4, v10 offset:96
.LBB22_84:                              ;   in Loop: Header=BB22_31 Depth=3
	s_or_b64 exec, exec, s[62:63]
	s_mov_b64 s[6:7], -1
	s_mov_b32 s72, s71
	s_mov_b32 s61, s70
	s_waitcnt lgkmcnt(0)
	s_barrier
.LBB22_85:                              ;   in Loop: Header=BB22_31 Depth=3
	s_add_i32 s60, s60, 1
	s_cmp_lt_i32 s60, s57
	s_cselect_b64 s[62:63], -1, 0
	s_and_b64 s[6:7], s[6:7], s[62:63]
	v_add_u32_e32 v7, s36, v7
	v_add_u32_e32 v29, s36, v29
	;; [unrolled: 1-line block ×8, first 2 shown]
	s_and_b64 vcc, exec, s[6:7]
	s_cbranch_vccz .LBB22_88
; %bb.86:                               ;   in Loop: Header=BB22_31 Depth=3
	s_mov_b32 s71, s72
	s_mov_b32 s70, s61
	s_branch .LBB22_31
.LBB22_87:                              ;   in Loop: Header=BB22_26 Depth=2
	s_mov_b32 s72, s60
	s_mov_b32 s61, s70
.LBB22_88:                              ;   in Loop: Header=BB22_26 Depth=2
	s_add_u32 s6, s10, s58
	s_addc_u32 s7, s11, s59
	s_add_i32 s56, s56, 1
	v_mov_b32_e32 v4, s72
	v_add_u32_e32 v28, s36, v28
	s_cmp_lt_i32 s56, s33
	v_add_u32_e32 v6, s36, v6
	global_store_dword v5, v4, s[6:7]
	s_cbranch_scc0 .LBB22_91
; %bb.89:                               ;   in Loop: Header=BB22_26 Depth=2
	s_mov_b32 s70, s61
	s_branch .LBB22_26
.LBB22_90:                              ;   in Loop: Header=BB22_26 Depth=2
                                        ; implicit-def: $sgpr60
	s_branch .LBB22_28
.LBB22_91:                              ;   in Loop: Header=BB22_16 Depth=1
	s_andn2_b64 vcc, exec, s[0:1]
	s_cbranch_vccnz .LBB22_123
; %bb.92:                               ;   in Loop: Header=BB22_16 Depth=1
	s_load_dwordx2 s[8:9], s[12:13], 0x0
	s_waitcnt lgkmcnt(0)
	s_cmp_ge_i32 s8, s9
	s_cbranch_scc1 .LBB22_123
; %bb.93:                               ;   in Loop: Header=BB22_16 Depth=1
	s_sub_i32 s6, s8, s31
	s_mul_i32 s7, s38, s6
	v_add_u32_e32 v4, s7, v12
	v_mul_lo_u32 v6, s38, v4
	v_add_u32_e32 v4, s7, v14
	v_mul_lo_u32 v7, s38, v4
	;; [unrolled: 2-line block ×3, first 2 shown]
	v_add_u32_e32 v4, s7, v16
	s_ashr_i32 s7, s6, 31
	s_sub_i32 s60, s9, s31
	s_add_i32 s62, s68, s8
	s_lshl_b64 s[8:9], s[6:7], 2
	s_add_u32 s8, s14, s8
	v_mul_lo_u32 v9, s38, v4
	s_addc_u32 s9, s15, s9
	v_mov_b32_e32 v10, v2
	s_branch .LBB22_97
.LBB22_94:                              ;   in Loop: Header=BB22_97 Depth=2
	v_lshlrev_b64 v[28:29], 2, v[4:5]
	v_mov_b32_e32 v4, s17
	v_add_co_u32_e32 v28, vcc, s16, v28
	v_addc_co_u32_e32 v29, vcc, v4, v29, vcc
	global_load_dword v4, v[28:29], off
	v_add_lshl_u32 v11, v11, v12, 2
	ds_read_b32 v28, v11 offset:96
	s_waitcnt vmcnt(0) lgkmcnt(0)
	v_fmac_f32_e32 v28, v3, v4
	ds_write_b32 v11, v28 offset:96
.LBB22_95:                              ;   in Loop: Header=BB22_97 Depth=2
	s_or_b64 exec, exec, s[56:57]
	s_mov_b64 s[56:57], -1
	s_mov_b32 s7, s61
	s_waitcnt lgkmcnt(0)
	s_barrier
.LBB22_96:                              ;   in Loop: Header=BB22_97 Depth=2
	s_add_i32 s6, s6, 1
	s_cmp_lt_i32 s62, s60
	s_cselect_b64 s[58:59], -1, 0
	s_and_b64 s[56:57], s[56:57], s[58:59]
	s_add_i32 s62, s62, 1
	s_add_u32 s8, s8, 4
	v_add_u32_e32 v10, s36, v10
	s_addc_u32 s9, s9, 0
	s_mov_b32 s61, s7
	s_and_b64 vcc, exec, s[56:57]
	s_cbranch_vccz .LBB22_123
.LBB22_97:                              ;   Parent Loop BB22_16 Depth=1
                                        ; =>  This Inner Loop Header: Depth=2
	s_load_dword s7, s[8:9], 0x0
	s_waitcnt lgkmcnt(0)
	s_sub_i32 s63, s7, s31
	s_cmp_lt_i32 s63, s19
	s_cselect_b64 s[58:59], -1, 0
	s_cmp_lt_i32 s63, s69
	s_cselect_b64 s[56:57], -1, 0
	s_cmp_ge_i32 s63, s69
	s_cselect_b64 s[64:65], -1, 0
	s_or_b64 s[64:65], s[58:59], s[64:65]
	s_mov_b64 s[58:59], -1
	s_and_b64 vcc, exec, s[64:65]
                                        ; implicit-def: $sgpr7
	s_cbranch_vccz .LBB22_99
; %bb.98:                               ;   in Loop: Header=BB22_97 Depth=2
	s_min_i32 s7, s63, s61
	s_and_b64 s[58:59], s[56:57], exec
	s_cselect_b32 s7, s61, s7
	s_mov_b64 s[58:59], 0
.LBB22_99:                              ;   in Loop: Header=BB22_97 Depth=2
	s_andn2_b64 vcc, exec, s[58:59]
	s_cbranch_vccnz .LBB22_96
; %bb.100:                              ;   in Loop: Header=BB22_97 Depth=2
	s_sub_i32 s7, s63, s19
	v_mov_b32_e32 v4, s7
	s_mul_i32 s56, s6, s38
	ds_write_b8 v4, v27 offset:8192
	v_add_u32_e32 v4, s56, v2
	v_mul_lo_u32 v28, v4, s38
	v_lshl_or_b32 v11, s7, 10, v13
	s_and_saveexec_b64 s[56:57], s[48:49]
	s_cbranch_execnz .LBB22_104
; %bb.101:                              ;   in Loop: Header=BB22_97 Depth=2
	s_or_b64 exec, exec, s[56:57]
	s_and_saveexec_b64 s[56:57], s[50:51]
	s_cbranch_execnz .LBB22_108
.LBB22_102:                             ;   in Loop: Header=BB22_97 Depth=2
	s_or_b64 exec, exec, s[56:57]
	s_and_saveexec_b64 s[56:57], s[52:53]
	s_cbranch_execnz .LBB22_112
.LBB22_103:                             ;   in Loop: Header=BB22_97 Depth=2
	s_or_b64 exec, exec, s[56:57]
	s_and_saveexec_b64 s[56:57], s[54:55]
	s_cbranch_execz .LBB22_95
	s_branch .LBB22_116
.LBB22_104:                             ;   in Loop: Header=BB22_97 Depth=2
	s_and_b64 vcc, exec, s[44:45]
	s_cbranch_vccz .LBB22_118
; %bb.105:                              ;   in Loop: Header=BB22_97 Depth=2
	v_add_u32_e32 v4, v6, v10
	s_cbranch_execnz .LBB22_107
.LBB22_106:                             ;   in Loop: Header=BB22_97 Depth=2
	v_add_u32_e32 v4, v28, v12
.LBB22_107:                             ;   in Loop: Header=BB22_97 Depth=2
	v_lshlrev_b64 v[30:31], 2, v[4:5]
	v_mov_b32_e32 v4, s17
	v_add_co_u32_e32 v30, vcc, s16, v30
	v_addc_co_u32_e32 v31, vcc, v4, v31, vcc
	global_load_dword v4, v[30:31], off
	v_or_b32_e32 v29, v11, v12
	v_lshlrev_b32_e32 v29, 2, v29
	ds_read_b32 v30, v29
	s_waitcnt vmcnt(0) lgkmcnt(0)
	v_fmac_f32_e32 v30, v3, v4
	ds_write_b32 v29, v30
	s_or_b64 exec, exec, s[56:57]
	s_and_saveexec_b64 s[56:57], s[50:51]
	s_cbranch_execz .LBB22_102
.LBB22_108:                             ;   in Loop: Header=BB22_97 Depth=2
	s_andn2_b64 vcc, exec, s[44:45]
	s_cbranch_vccnz .LBB22_119
; %bb.109:                              ;   in Loop: Header=BB22_97 Depth=2
	v_add_u32_e32 v4, v7, v10
	s_cbranch_execnz .LBB22_111
.LBB22_110:                             ;   in Loop: Header=BB22_97 Depth=2
	v_add_u32_e32 v4, v28, v14
.LBB22_111:                             ;   in Loop: Header=BB22_97 Depth=2
	v_lshlrev_b64 v[30:31], 2, v[4:5]
	v_mov_b32_e32 v4, s17
	v_add_co_u32_e32 v30, vcc, s16, v30
	v_addc_co_u32_e32 v31, vcc, v4, v31, vcc
	global_load_dword v4, v[30:31], off
	v_add_lshl_u32 v29, v11, v12, 2
	ds_read_b32 v30, v29 offset:32
	s_waitcnt vmcnt(0) lgkmcnt(0)
	v_fmac_f32_e32 v30, v3, v4
	ds_write_b32 v29, v30 offset:32
	s_or_b64 exec, exec, s[56:57]
	s_and_saveexec_b64 s[56:57], s[52:53]
	s_cbranch_execz .LBB22_103
.LBB22_112:                             ;   in Loop: Header=BB22_97 Depth=2
	s_andn2_b64 vcc, exec, s[44:45]
	s_cbranch_vccnz .LBB22_120
; %bb.113:                              ;   in Loop: Header=BB22_97 Depth=2
	v_add_u32_e32 v4, v8, v10
	s_cbranch_execnz .LBB22_115
.LBB22_114:                             ;   in Loop: Header=BB22_97 Depth=2
	v_add_u32_e32 v4, v28, v15
.LBB22_115:                             ;   in Loop: Header=BB22_97 Depth=2
	v_lshlrev_b64 v[30:31], 2, v[4:5]
	v_mov_b32_e32 v4, s17
	v_add_co_u32_e32 v30, vcc, s16, v30
	v_addc_co_u32_e32 v31, vcc, v4, v31, vcc
	global_load_dword v4, v[30:31], off
	v_add_lshl_u32 v29, v11, v12, 2
	ds_read_b32 v30, v29 offset:64
	s_waitcnt vmcnt(0) lgkmcnt(0)
	v_fmac_f32_e32 v30, v3, v4
	ds_write_b32 v29, v30 offset:64
	s_or_b64 exec, exec, s[56:57]
	s_and_saveexec_b64 s[56:57], s[54:55]
	s_cbranch_execz .LBB22_95
.LBB22_116:                             ;   in Loop: Header=BB22_97 Depth=2
	s_andn2_b64 vcc, exec, s[44:45]
	s_cbranch_vccnz .LBB22_121
; %bb.117:                              ;   in Loop: Header=BB22_97 Depth=2
	v_add_u32_e32 v4, v9, v10
	s_cbranch_execnz .LBB22_94
	s_branch .LBB22_122
.LBB22_118:                             ;   in Loop: Header=BB22_97 Depth=2
	s_branch .LBB22_106
.LBB22_119:                             ;   in Loop: Header=BB22_97 Depth=2
	s_branch .LBB22_110
.LBB22_120:                             ;   in Loop: Header=BB22_97 Depth=2
	s_branch .LBB22_114
.LBB22_121:                             ;   in Loop: Header=BB22_97 Depth=2
.LBB22_122:                             ;   in Loop: Header=BB22_97 Depth=2
	v_add_u32_e32 v4, v28, v16
	s_branch .LBB22_94
.LBB22_123:                             ;   in Loop: Header=BB22_16 Depth=1
	s_barrier
	ds_read_u8 v4, v5 offset:8192
	s_add_i32 s56, s19, s30
	s_mov_b32 s58, 0
	s_waitcnt lgkmcnt(0)
	v_cmp_eq_u32_e32 vcc, 0, v4
	s_cbranch_vccnz .LBB22_145
; %bb.124:                              ;   in Loop: Header=BB22_16 Depth=1
	s_ashr_i32 s19, s18, 31
	s_lshl_b64 s[6:7], s[18:19], 2
	s_add_u32 s6, s40, s6
	s_addc_u32 s7, s41, s7
	v_mov_b32_e32 v4, s56
	s_mul_i32 s19, s18, s38
	global_store_dword v5, v4, s[6:7]
	v_add_u32_e32 v4, s19, v2
	v_mul_lo_u32 v6, v4, s38
	s_and_saveexec_b64 s[6:7], s[48:49]
	s_cbranch_execnz .LBB22_128
; %bb.125:                              ;   in Loop: Header=BB22_16 Depth=1
	s_or_b64 exec, exec, s[6:7]
	s_and_saveexec_b64 s[6:7], s[50:51]
	s_cbranch_execnz .LBB22_132
.LBB22_126:                             ;   in Loop: Header=BB22_16 Depth=1
	s_or_b64 exec, exec, s[6:7]
	s_and_saveexec_b64 s[6:7], s[52:53]
	s_cbranch_execnz .LBB22_136
.LBB22_127:                             ;   in Loop: Header=BB22_16 Depth=1
	s_or_b64 exec, exec, s[6:7]
	s_and_saveexec_b64 s[6:7], s[54:55]
	s_cbranch_execnz .LBB22_140
	s_branch .LBB22_144
.LBB22_128:                             ;   in Loop: Header=BB22_16 Depth=1
	s_and_b64 vcc, exec, s[44:45]
	s_cbranch_vccz .LBB22_164
; %bb.129:                              ;   in Loop: Header=BB22_16 Depth=1
	v_add_u32_e32 v4, s19, v12
	v_mad_u64_u32 v[8:9], s[8:9], v4, s38, v[2:3]
	v_mov_b32_e32 v4, v8
	s_cbranch_execnz .LBB22_131
.LBB22_130:                             ;   in Loop: Header=BB22_16 Depth=1
	v_add_u32_e32 v4, v6, v12
.LBB22_131:                             ;   in Loop: Header=BB22_16 Depth=1
	ds_read_b32 v7, v17
	v_lshlrev_b64 v[8:9], 2, v[4:5]
	v_mov_b32_e32 v4, s43
	v_add_co_u32_e32 v8, vcc, s42, v8
	v_addc_co_u32_e32 v9, vcc, v4, v9, vcc
	s_waitcnt lgkmcnt(0)
	global_store_dword v[8:9], v7, off
	s_or_b64 exec, exec, s[6:7]
	s_and_saveexec_b64 s[6:7], s[50:51]
	s_cbranch_execz .LBB22_126
.LBB22_132:                             ;   in Loop: Header=BB22_16 Depth=1
	s_andn2_b64 vcc, exec, s[44:45]
	s_cbranch_vccnz .LBB22_165
; %bb.133:                              ;   in Loop: Header=BB22_16 Depth=1
	v_add_u32_e32 v4, s19, v14
	v_mad_u64_u32 v[8:9], s[8:9], v4, s38, v[2:3]
	v_mov_b32_e32 v4, v8
	s_cbranch_execnz .LBB22_135
.LBB22_134:                             ;   in Loop: Header=BB22_16 Depth=1
	v_add_u32_e32 v4, v6, v14
.LBB22_135:                             ;   in Loop: Header=BB22_16 Depth=1
	ds_read_b32 v7, v17 offset:32
	v_lshlrev_b64 v[8:9], 2, v[4:5]
	v_mov_b32_e32 v4, s43
	v_add_co_u32_e32 v8, vcc, s42, v8
	v_addc_co_u32_e32 v9, vcc, v4, v9, vcc
	s_waitcnt lgkmcnt(0)
	global_store_dword v[8:9], v7, off
	s_or_b64 exec, exec, s[6:7]
	s_and_saveexec_b64 s[6:7], s[52:53]
	s_cbranch_execz .LBB22_127
.LBB22_136:                             ;   in Loop: Header=BB22_16 Depth=1
	s_andn2_b64 vcc, exec, s[44:45]
	s_cbranch_vccnz .LBB22_166
; %bb.137:                              ;   in Loop: Header=BB22_16 Depth=1
	v_add_u32_e32 v4, s19, v15
	v_mad_u64_u32 v[8:9], s[8:9], v4, s38, v[2:3]
	v_mov_b32_e32 v4, v8
	s_cbranch_execnz .LBB22_139
.LBB22_138:                             ;   in Loop: Header=BB22_16 Depth=1
	v_add_u32_e32 v4, v6, v15
.LBB22_139:                             ;   in Loop: Header=BB22_16 Depth=1
	ds_read_b32 v7, v17 offset:64
	v_lshlrev_b64 v[8:9], 2, v[4:5]
	v_mov_b32_e32 v4, s43
	v_add_co_u32_e32 v8, vcc, s42, v8
	v_addc_co_u32_e32 v9, vcc, v4, v9, vcc
	s_waitcnt lgkmcnt(0)
	global_store_dword v[8:9], v7, off
	s_or_b64 exec, exec, s[6:7]
	s_and_saveexec_b64 s[6:7], s[54:55]
	s_cbranch_execz .LBB22_144
.LBB22_140:                             ;   in Loop: Header=BB22_16 Depth=1
	s_andn2_b64 vcc, exec, s[44:45]
	s_cbranch_vccnz .LBB22_167
; %bb.141:                              ;   in Loop: Header=BB22_16 Depth=1
	v_add_u32_e32 v4, s19, v16
	v_mad_u64_u32 v[8:9], s[8:9], v4, s38, v[2:3]
	v_mov_b32_e32 v4, v8
	s_cbranch_execnz .LBB22_143
.LBB22_142:                             ;   in Loop: Header=BB22_16 Depth=1
	v_add_u32_e32 v4, v6, v16
.LBB22_143:                             ;   in Loop: Header=BB22_16 Depth=1
	ds_read_b32 v8, v17 offset:96
	v_lshlrev_b64 v[6:7], 2, v[4:5]
	v_mov_b32_e32 v4, s43
	v_add_co_u32_e32 v6, vcc, s42, v6
	v_addc_co_u32_e32 v7, vcc, v4, v7, vcc
	s_waitcnt lgkmcnt(0)
	global_store_dword v[6:7], v8, off
.LBB22_144:                             ;   in Loop: Header=BB22_16 Depth=1
	s_or_b64 exec, exec, s[6:7]
	s_mov_b32 s58, 1
.LBB22_145:                             ;   in Loop: Header=BB22_16 Depth=1
	ds_read_u8 v4, v5 offset:8193
	s_waitcnt lgkmcnt(0)
	v_cmp_eq_u32_e32 vcc, 0, v4
	s_cbranch_vccnz .LBB22_15
; %bb.146:                              ;   in Loop: Header=BB22_16 Depth=1
	s_add_i32 s6, s58, s18
	s_ashr_i32 s7, s6, 31
	s_add_i32 s19, s56, 1
	s_lshl_b64 s[8:9], s[6:7], 2
	s_add_u32 s8, s40, s8
	s_addc_u32 s9, s41, s9
	v_mov_b32_e32 v4, s19
	s_mul_i32 s19, s6, s38
	global_store_dword v5, v4, s[8:9]
	v_add_u32_e32 v4, s19, v2
	v_mul_lo_u32 v6, v4, s38
	v_cmp_ne_u32_e64 s[6:7], 1, v24
	s_and_saveexec_b64 s[8:9], s[48:49]
	s_cbranch_execnz .LBB22_150
; %bb.147:                              ;   in Loop: Header=BB22_16 Depth=1
	s_or_b64 exec, exec, s[8:9]
	s_and_saveexec_b64 s[8:9], s[50:51]
	s_cbranch_execnz .LBB22_154
.LBB22_148:                             ;   in Loop: Header=BB22_16 Depth=1
	s_or_b64 exec, exec, s[8:9]
	s_and_saveexec_b64 s[8:9], s[52:53]
	s_cbranch_execnz .LBB22_158
.LBB22_149:                             ;   in Loop: Header=BB22_16 Depth=1
	s_or_b64 exec, exec, s[8:9]
	s_and_saveexec_b64 s[8:9], s[54:55]
	s_cbranch_execz .LBB22_14
	s_branch .LBB22_162
.LBB22_150:                             ;   in Loop: Header=BB22_16 Depth=1
	s_and_b64 vcc, exec, s[6:7]
	s_cbranch_vccnz .LBB22_168
; %bb.151:                              ;   in Loop: Header=BB22_16 Depth=1
	v_add_u32_e32 v4, s19, v12
	v_mad_u64_u32 v[8:9], s[56:57], v4, s38, v[2:3]
	v_mov_b32_e32 v4, v8
	s_cbranch_execnz .LBB22_153
.LBB22_152:                             ;   in Loop: Header=BB22_16 Depth=1
	v_add_u32_e32 v4, v6, v12
.LBB22_153:                             ;   in Loop: Header=BB22_16 Depth=1
	ds_read_b32 v7, v17 offset:4096
	v_lshlrev_b64 v[8:9], 2, v[4:5]
	v_mov_b32_e32 v4, s43
	v_add_co_u32_e32 v8, vcc, s42, v8
	v_addc_co_u32_e32 v9, vcc, v4, v9, vcc
	s_waitcnt lgkmcnt(0)
	global_store_dword v[8:9], v7, off
	s_or_b64 exec, exec, s[8:9]
	s_and_saveexec_b64 s[8:9], s[50:51]
	s_cbranch_execz .LBB22_148
.LBB22_154:                             ;   in Loop: Header=BB22_16 Depth=1
	s_and_b64 vcc, exec, s[6:7]
	s_cbranch_vccnz .LBB22_169
; %bb.155:                              ;   in Loop: Header=BB22_16 Depth=1
	v_add_u32_e32 v4, s19, v14
	v_mad_u64_u32 v[8:9], s[56:57], v4, s38, v[2:3]
	v_mov_b32_e32 v4, v8
	s_cbranch_execnz .LBB22_157
.LBB22_156:                             ;   in Loop: Header=BB22_16 Depth=1
	v_add_u32_e32 v4, v6, v14
.LBB22_157:                             ;   in Loop: Header=BB22_16 Depth=1
	ds_read_b32 v7, v18 offset:4096
	v_lshlrev_b64 v[8:9], 2, v[4:5]
	v_mov_b32_e32 v4, s43
	v_add_co_u32_e32 v8, vcc, s42, v8
	v_addc_co_u32_e32 v9, vcc, v4, v9, vcc
	s_waitcnt lgkmcnt(0)
	global_store_dword v[8:9], v7, off
	s_or_b64 exec, exec, s[8:9]
	s_and_saveexec_b64 s[8:9], s[52:53]
	s_cbranch_execz .LBB22_149
.LBB22_158:                             ;   in Loop: Header=BB22_16 Depth=1
	s_and_b64 vcc, exec, s[6:7]
	s_cbranch_vccnz .LBB22_170
; %bb.159:                              ;   in Loop: Header=BB22_16 Depth=1
	v_add_u32_e32 v4, s19, v15
	v_mad_u64_u32 v[8:9], s[56:57], v4, s38, v[2:3]
	v_mov_b32_e32 v4, v8
	s_cbranch_execnz .LBB22_161
.LBB22_160:                             ;   in Loop: Header=BB22_16 Depth=1
	v_add_u32_e32 v4, v6, v15
.LBB22_161:                             ;   in Loop: Header=BB22_16 Depth=1
	ds_read_b32 v7, v19 offset:4096
	v_lshlrev_b64 v[8:9], 2, v[4:5]
	v_mov_b32_e32 v4, s43
	v_add_co_u32_e32 v8, vcc, s42, v8
	v_addc_co_u32_e32 v9, vcc, v4, v9, vcc
	s_waitcnt lgkmcnt(0)
	global_store_dword v[8:9], v7, off
	s_or_b64 exec, exec, s[8:9]
	s_and_saveexec_b64 s[8:9], s[54:55]
	s_cbranch_execz .LBB22_14
.LBB22_162:                             ;   in Loop: Header=BB22_16 Depth=1
	s_and_b64 vcc, exec, s[6:7]
	s_cbranch_vccnz .LBB22_171
; %bb.163:                              ;   in Loop: Header=BB22_16 Depth=1
	v_add_u32_e32 v4, s19, v16
	v_mad_u64_u32 v[8:9], s[6:7], v4, s38, v[2:3]
	v_mov_b32_e32 v4, v8
	s_cbranch_execnz .LBB22_13
	s_branch .LBB22_172
.LBB22_164:                             ;   in Loop: Header=BB22_16 Depth=1
	s_branch .LBB22_130
.LBB22_165:                             ;   in Loop: Header=BB22_16 Depth=1
	s_branch .LBB22_134
.LBB22_166:                             ;   in Loop: Header=BB22_16 Depth=1
	s_branch .LBB22_138
.LBB22_167:                             ;   in Loop: Header=BB22_16 Depth=1
	s_branch .LBB22_142
.LBB22_168:                             ;   in Loop: Header=BB22_16 Depth=1
	s_branch .LBB22_152
.LBB22_169:                             ;   in Loop: Header=BB22_16 Depth=1
	s_branch .LBB22_156
.LBB22_170:                             ;   in Loop: Header=BB22_16 Depth=1
	s_branch .LBB22_160
.LBB22_171:                             ;   in Loop: Header=BB22_16 Depth=1
.LBB22_172:                             ;   in Loop: Header=BB22_16 Depth=1
	v_add_u32_e32 v4, v6, v16
	s_branch .LBB22_13
.LBB22_173:
	s_endpgm
	.section	.rodata,"a",@progbits
	.p2align	6, 0x0
	.amdhsa_kernel _ZN9rocsparseL31bsrgemm_block_per_row_multipassILj256ELj2ELj32EiifEEv20rocsparse_direction_T3_S2_PKS2_S4_NS_24const_host_device_scalarIT4_EEPKT2_S4_PKS6_SA_S4_SC_S7_SA_S4_SC_SA_PS2_PS6_PS8_21rocsparse_index_base_SG_SG_SG_bbb
		.amdhsa_group_segment_fixed_size 8196
		.amdhsa_private_segment_fixed_size 0
		.amdhsa_kernarg_size 172
		.amdhsa_user_sgpr_count 6
		.amdhsa_user_sgpr_private_segment_buffer 1
		.amdhsa_user_sgpr_dispatch_ptr 0
		.amdhsa_user_sgpr_queue_ptr 0
		.amdhsa_user_sgpr_kernarg_segment_ptr 1
		.amdhsa_user_sgpr_dispatch_id 0
		.amdhsa_user_sgpr_flat_scratch_init 0
		.amdhsa_user_sgpr_kernarg_preload_length 0
		.amdhsa_user_sgpr_kernarg_preload_offset 0
		.amdhsa_user_sgpr_private_segment_size 0
		.amdhsa_uses_dynamic_stack 0
		.amdhsa_system_sgpr_private_segment_wavefront_offset 0
		.amdhsa_system_sgpr_workgroup_id_x 1
		.amdhsa_system_sgpr_workgroup_id_y 0
		.amdhsa_system_sgpr_workgroup_id_z 0
		.amdhsa_system_sgpr_workgroup_info 0
		.amdhsa_system_vgpr_workitem_id 0
		.amdhsa_next_free_vgpr 44
		.amdhsa_next_free_sgpr 74
		.amdhsa_accum_offset 44
		.amdhsa_reserve_vcc 1
		.amdhsa_reserve_flat_scratch 0
		.amdhsa_float_round_mode_32 0
		.amdhsa_float_round_mode_16_64 0
		.amdhsa_float_denorm_mode_32 3
		.amdhsa_float_denorm_mode_16_64 3
		.amdhsa_dx10_clamp 1
		.amdhsa_ieee_mode 1
		.amdhsa_fp16_overflow 0
		.amdhsa_tg_split 0
		.amdhsa_exception_fp_ieee_invalid_op 0
		.amdhsa_exception_fp_denorm_src 0
		.amdhsa_exception_fp_ieee_div_zero 0
		.amdhsa_exception_fp_ieee_overflow 0
		.amdhsa_exception_fp_ieee_underflow 0
		.amdhsa_exception_fp_ieee_inexact 0
		.amdhsa_exception_int_div_zero 0
	.end_amdhsa_kernel
	.section	.text._ZN9rocsparseL31bsrgemm_block_per_row_multipassILj256ELj2ELj32EiifEEv20rocsparse_direction_T3_S2_PKS2_S4_NS_24const_host_device_scalarIT4_EEPKT2_S4_PKS6_SA_S4_SC_S7_SA_S4_SC_SA_PS2_PS6_PS8_21rocsparse_index_base_SG_SG_SG_bbb,"axG",@progbits,_ZN9rocsparseL31bsrgemm_block_per_row_multipassILj256ELj2ELj32EiifEEv20rocsparse_direction_T3_S2_PKS2_S4_NS_24const_host_device_scalarIT4_EEPKT2_S4_PKS6_SA_S4_SC_S7_SA_S4_SC_SA_PS2_PS6_PS8_21rocsparse_index_base_SG_SG_SG_bbb,comdat
.Lfunc_end22:
	.size	_ZN9rocsparseL31bsrgemm_block_per_row_multipassILj256ELj2ELj32EiifEEv20rocsparse_direction_T3_S2_PKS2_S4_NS_24const_host_device_scalarIT4_EEPKT2_S4_PKS6_SA_S4_SC_S7_SA_S4_SC_SA_PS2_PS6_PS8_21rocsparse_index_base_SG_SG_SG_bbb, .Lfunc_end22-_ZN9rocsparseL31bsrgemm_block_per_row_multipassILj256ELj2ELj32EiifEEv20rocsparse_direction_T3_S2_PKS2_S4_NS_24const_host_device_scalarIT4_EEPKT2_S4_PKS6_SA_S4_SC_S7_SA_S4_SC_SA_PS2_PS6_PS8_21rocsparse_index_base_SG_SG_SG_bbb
                                        ; -- End function
	.section	.AMDGPU.csdata,"",@progbits
; Kernel info:
; codeLenInByte = 4292
; NumSgprs: 78
; NumVgprs: 44
; NumAgprs: 0
; TotalNumVgprs: 44
; ScratchSize: 0
; MemoryBound: 0
; FloatMode: 240
; IeeeMode: 1
; LDSByteSize: 8196 bytes/workgroup (compile time only)
; SGPRBlocks: 9
; VGPRBlocks: 5
; NumSGPRsForWavesPerEU: 78
; NumVGPRsForWavesPerEU: 44
; AccumOffset: 44
; Occupancy: 7
; WaveLimiterHint : 1
; COMPUTE_PGM_RSRC2:SCRATCH_EN: 0
; COMPUTE_PGM_RSRC2:USER_SGPR: 6
; COMPUTE_PGM_RSRC2:TRAP_HANDLER: 0
; COMPUTE_PGM_RSRC2:TGID_X_EN: 1
; COMPUTE_PGM_RSRC2:TGID_Y_EN: 0
; COMPUTE_PGM_RSRC2:TGID_Z_EN: 0
; COMPUTE_PGM_RSRC2:TIDIG_COMP_CNT: 0
; COMPUTE_PGM_RSRC3_GFX90A:ACCUM_OFFSET: 10
; COMPUTE_PGM_RSRC3_GFX90A:TG_SPLIT: 0
	.section	.text._ZN9rocsparseL26bsrgemm_group_reduce_part2ILj256ELj8ELj2EdiiEEvT4_PKT3_PS1_Pi,"axG",@progbits,_ZN9rocsparseL26bsrgemm_group_reduce_part2ILj256ELj8ELj2EdiiEEvT4_PKT3_PS1_Pi,comdat
	.globl	_ZN9rocsparseL26bsrgemm_group_reduce_part2ILj256ELj8ELj2EdiiEEvT4_PKT3_PS1_Pi ; -- Begin function _ZN9rocsparseL26bsrgemm_group_reduce_part2ILj256ELj8ELj2EdiiEEvT4_PKT3_PS1_Pi
	.p2align	8
	.type	_ZN9rocsparseL26bsrgemm_group_reduce_part2ILj256ELj8ELj2EdiiEEvT4_PKT3_PS1_Pi,@function
_ZN9rocsparseL26bsrgemm_group_reduce_part2ILj256ELj8ELj2EdiiEEvT4_PKT3_PS1_Pi: ; @_ZN9rocsparseL26bsrgemm_group_reduce_part2ILj256ELj8ELj2EdiiEEvT4_PKT3_PS1_Pi
; %bb.0:
	s_mov_b32 s8, 0
	s_load_dword s7, s[4:5], 0x0
	s_load_dwordx2 s[2:3], s[4:5], 0x10
	s_mov_b32 s9, s8
	s_mov_b32 s10, s8
	;; [unrolled: 1-line block ×3, first 2 shown]
	v_pk_mov_b32 v[2:3], s[8:9], s[8:9] op_sel:[0,1]
	v_lshlrev_b32_e32 v1, 5, v0
	v_pk_mov_b32 v[4:5], s[10:11], s[10:11] op_sel:[0,1]
	ds_write_b128 v1, v[2:5]
	ds_write_b128 v1, v[2:5] offset:16
	v_lshl_or_b32 v2, s6, 8, v0
	s_waitcnt lgkmcnt(0)
	v_cmp_gt_i32_e32 vcc, s7, v2
	s_and_saveexec_b64 s[8:9], vcc
	s_cbranch_execz .LBB23_31
; %bb.1:
	s_load_dword s0, s[4:5], 0x20
	s_load_dwordx2 s[10:11], s[4:5], 0x8
	s_load_dwordx2 s[12:13], s[4:5], 0x18
	s_mov_b64 s[4:5], 0
	s_movk_i32 s27, 0x100
	s_waitcnt lgkmcnt(0)
	s_lshl_b32 s26, s0, 8
	v_mov_b32_e32 v6, s11
	s_movk_i32 s11, 0x80
	s_movk_i32 s28, 0x200
	v_mov_b32_e32 v7, 7
	v_mov_b32_e32 v8, 6
	;; [unrolled: 1-line block ×8, first 2 shown]
	s_branch .LBB23_3
.LBB23_2:                               ;   in Loop: Header=BB23_3 Depth=1
	s_or_b64 exec, exec, s[0:1]
	v_add_u32_e32 v2, s26, v2
	v_cmp_le_i32_e32 vcc, s7, v2
	s_or_b64 s[4:5], vcc, s[4:5]
	s_andn2_b64 exec, exec, s[4:5]
	s_cbranch_execz .LBB23_31
.LBB23_3:                               ; =>This Inner Loop Header: Depth=1
	v_ashrrev_i32_e32 v3, 31, v2
	v_lshlrev_b64 v[4:5], 2, v[2:3]
	v_add_co_u32_e32 v16, vcc, s10, v4
	v_addc_co_u32_e32 v17, vcc, v6, v5, vcc
	global_load_dwordx2 v[16:17], v[16:17], off
	s_waitcnt vmcnt(0)
	v_sub_u32_e32 v3, v17, v16
	v_cmp_lt_i32_e32 vcc, 8, v3
	s_and_saveexec_b64 s[0:1], vcc
	s_xor_b64 s[14:15], exec, s[0:1]
	s_cbranch_execz .LBB23_29
; %bb.4:                                ;   in Loop: Header=BB23_3 Depth=1
	v_cmp_lt_u32_e32 vcc, 16, v3
	s_and_saveexec_b64 s[0:1], vcc
	s_xor_b64 s[16:17], exec, s[0:1]
	s_cbranch_execz .LBB23_26
; %bb.5:                                ;   in Loop: Header=BB23_3 Depth=1
	v_cmp_lt_u32_e32 vcc, 32, v3
	;; [unrolled: 5-line block ×6, first 2 shown]
	v_mov_b32_e32 v3, s13
	v_add_co_u32_e64 v4, s[0:1], s12, v4
	v_addc_co_u32_e64 v5, s[0:1], v3, v5, s[0:1]
	s_and_saveexec_b64 s[0:1], vcc
	s_xor_b64 s[0:1], exec, s[0:1]
	s_cbranch_execz .LBB23_11
; %bb.10:                               ;   in Loop: Header=BB23_3 Depth=1
	ds_read_b32 v3, v1 offset:28
	global_store_dword v[4:5], v7, off
                                        ; implicit-def: $vgpr4_vgpr5
	s_waitcnt lgkmcnt(0)
	v_add_u32_e32 v3, 1, v3
	ds_write_b32 v1, v3 offset:28
.LBB23_11:                              ;   in Loop: Header=BB23_3 Depth=1
	s_andn2_saveexec_b64 s[0:1], s[0:1]
	s_cbranch_execz .LBB23_13
; %bb.12:                               ;   in Loop: Header=BB23_3 Depth=1
	ds_read_b32 v3, v1 offset:24
	global_store_dword v[4:5], v8, off
	s_waitcnt lgkmcnt(0)
	v_add_u32_e32 v3, 1, v3
	ds_write_b32 v1, v3 offset:24
.LBB23_13:                              ;   in Loop: Header=BB23_3 Depth=1
	s_or_b64 exec, exec, s[0:1]
                                        ; implicit-def: $vgpr4_vgpr5
.LBB23_14:                              ;   in Loop: Header=BB23_3 Depth=1
	s_andn2_saveexec_b64 s[0:1], s[24:25]
	s_cbranch_execz .LBB23_16
; %bb.15:                               ;   in Loop: Header=BB23_3 Depth=1
	ds_read_b32 v3, v1 offset:20
	v_mov_b32_e32 v15, s13
	v_add_co_u32_e32 v4, vcc, s12, v4
	v_addc_co_u32_e32 v5, vcc, v15, v5, vcc
	s_waitcnt lgkmcnt(0)
	v_add_u32_e32 v3, 1, v3
	ds_write_b32 v1, v3 offset:20
	global_store_dword v[4:5], v9, off
.LBB23_16:                              ;   in Loop: Header=BB23_3 Depth=1
	s_or_b64 exec, exec, s[0:1]
                                        ; implicit-def: $vgpr4_vgpr5
.LBB23_17:                              ;   in Loop: Header=BB23_3 Depth=1
	s_andn2_saveexec_b64 s[0:1], s[22:23]
	s_cbranch_execz .LBB23_19
; %bb.18:                               ;   in Loop: Header=BB23_3 Depth=1
	ds_read_b32 v3, v1 offset:16
	v_mov_b32_e32 v15, s13
	v_add_co_u32_e32 v4, vcc, s12, v4
	v_addc_co_u32_e32 v5, vcc, v15, v5, vcc
	s_waitcnt lgkmcnt(0)
	v_add_u32_e32 v3, 1, v3
	ds_write_b32 v1, v3 offset:16
	global_store_dword v[4:5], v10, off
.LBB23_19:                              ;   in Loop: Header=BB23_3 Depth=1
	s_or_b64 exec, exec, s[0:1]
                                        ; implicit-def: $vgpr4_vgpr5
.LBB23_20:                              ;   in Loop: Header=BB23_3 Depth=1
	s_andn2_saveexec_b64 s[0:1], s[20:21]
	s_cbranch_execz .LBB23_22
; %bb.21:                               ;   in Loop: Header=BB23_3 Depth=1
	ds_read_b32 v3, v1 offset:12
	v_mov_b32_e32 v15, s13
	v_add_co_u32_e32 v4, vcc, s12, v4
	v_addc_co_u32_e32 v5, vcc, v15, v5, vcc
	s_waitcnt lgkmcnt(0)
	v_add_u32_e32 v3, 1, v3
	ds_write_b32 v1, v3 offset:12
	global_store_dword v[4:5], v11, off
.LBB23_22:                              ;   in Loop: Header=BB23_3 Depth=1
	s_or_b64 exec, exec, s[0:1]
                                        ; implicit-def: $vgpr4_vgpr5
.LBB23_23:                              ;   in Loop: Header=BB23_3 Depth=1
	s_andn2_saveexec_b64 s[0:1], s[18:19]
	s_cbranch_execz .LBB23_25
; %bb.24:                               ;   in Loop: Header=BB23_3 Depth=1
	ds_read_b32 v3, v1 offset:8
	v_mov_b32_e32 v15, s13
	v_add_co_u32_e32 v4, vcc, s12, v4
	v_addc_co_u32_e32 v5, vcc, v15, v5, vcc
	s_waitcnt lgkmcnt(0)
	v_add_u32_e32 v3, 1, v3
	ds_write_b32 v1, v3 offset:8
	global_store_dword v[4:5], v12, off
.LBB23_25:                              ;   in Loop: Header=BB23_3 Depth=1
	s_or_b64 exec, exec, s[0:1]
                                        ; implicit-def: $vgpr4_vgpr5
.LBB23_26:                              ;   in Loop: Header=BB23_3 Depth=1
	s_andn2_saveexec_b64 s[0:1], s[16:17]
	s_cbranch_execz .LBB23_28
; %bb.27:                               ;   in Loop: Header=BB23_3 Depth=1
	ds_read_b32 v3, v1 offset:4
	v_mov_b32_e32 v15, s13
	v_add_co_u32_e32 v4, vcc, s12, v4
	v_addc_co_u32_e32 v5, vcc, v15, v5, vcc
	s_waitcnt lgkmcnt(0)
	v_add_u32_e32 v3, 1, v3
	ds_write_b32 v1, v3 offset:4
	global_store_dword v[4:5], v13, off
.LBB23_28:                              ;   in Loop: Header=BB23_3 Depth=1
	s_or_b64 exec, exec, s[0:1]
                                        ; implicit-def: $vgpr4_vgpr5
.LBB23_29:                              ;   in Loop: Header=BB23_3 Depth=1
	s_andn2_saveexec_b64 s[0:1], s[14:15]
	s_cbranch_execz .LBB23_2
; %bb.30:                               ;   in Loop: Header=BB23_3 Depth=1
	ds_read_b32 v3, v1
	v_mov_b32_e32 v15, s13
	v_add_co_u32_e32 v4, vcc, s12, v4
	v_addc_co_u32_e32 v5, vcc, v15, v5, vcc
	s_waitcnt lgkmcnt(0)
	v_add_u32_e32 v3, 1, v3
	ds_write_b32 v1, v3
	global_store_dword v[4:5], v14, off
	s_branch .LBB23_2
.LBB23_31:
	s_or_b64 exec, exec, s[8:9]
	s_movk_i32 s0, 0x80
	v_cmp_gt_u32_e32 vcc, s0, v0
	s_waitcnt lgkmcnt(0)
	s_barrier
	s_barrier
	s_barrier
	s_and_saveexec_b64 s[0:1], vcc
	s_cbranch_execz .LBB23_33
; %bb.32:
	ds_read_b128 v[2:5], v1 offset:4096
	ds_read_b128 v[6:9], v1
	ds_read_b128 v[10:13], v1 offset:16
	ds_read_b128 v[14:17], v1 offset:4112
	s_waitcnt lgkmcnt(2)
	v_add_u32_e32 v3, v7, v3
	v_add_u32_e32 v2, v6, v2
	v_add_u32_e32 v5, v9, v5
	v_add_u32_e32 v4, v8, v4
	ds_write_b128 v1, v[2:5]
	s_waitcnt lgkmcnt(1)
	v_add_u32_e32 v3, v11, v15
	v_add_u32_e32 v2, v10, v14
	v_add_u32_e32 v5, v13, v17
	v_add_u32_e32 v4, v12, v16
	ds_write_b128 v1, v[2:5] offset:16
.LBB23_33:
	s_or_b64 exec, exec, s[0:1]
	v_cmp_gt_u32_e32 vcc, 64, v0
	s_waitcnt lgkmcnt(0)
	s_barrier
	s_and_saveexec_b64 s[0:1], vcc
	s_cbranch_execz .LBB23_35
; %bb.34:
	ds_read_b128 v[2:5], v1 offset:2048
	ds_read_b128 v[6:9], v1
	ds_read_b128 v[10:13], v1 offset:16
	ds_read_b128 v[14:17], v1 offset:2064
	s_waitcnt lgkmcnt(2)
	v_add_u32_e32 v3, v7, v3
	v_add_u32_e32 v2, v6, v2
	v_add_u32_e32 v5, v9, v5
	v_add_u32_e32 v4, v8, v4
	ds_write_b128 v1, v[2:5]
	s_waitcnt lgkmcnt(1)
	v_add_u32_e32 v3, v11, v15
	v_add_u32_e32 v2, v10, v14
	v_add_u32_e32 v5, v13, v17
	v_add_u32_e32 v4, v12, v16
	ds_write_b128 v1, v[2:5] offset:16
.LBB23_35:
	s_or_b64 exec, exec, s[0:1]
	v_cmp_gt_u32_e32 vcc, 32, v0
	s_waitcnt lgkmcnt(0)
	s_barrier
	;; [unrolled: 24-line block ×4, first 2 shown]
	s_and_saveexec_b64 s[0:1], vcc
	s_cbranch_execz .LBB23_41
; %bb.40:
	ds_read_b128 v[2:5], v1 offset:256
	ds_read_b128 v[6:9], v1
	ds_read_b128 v[10:13], v1 offset:16
	ds_read_b128 v[14:17], v1 offset:272
	s_waitcnt lgkmcnt(2)
	v_add_u32_e32 v3, v7, v3
	v_add_u32_e32 v2, v6, v2
	;; [unrolled: 1-line block ×4, first 2 shown]
	ds_write_b128 v1, v[2:5]
	s_waitcnt lgkmcnt(1)
	v_add_u32_e32 v3, v11, v15
	v_add_u32_e32 v2, v10, v14
	;; [unrolled: 1-line block ×4, first 2 shown]
	ds_write_b128 v1, v[2:5] offset:16
.LBB23_41:
	s_or_b64 exec, exec, s[0:1]
	v_cmp_gt_u32_e64 s[0:1], 4, v0
	s_waitcnt lgkmcnt(0)
	s_barrier
	s_and_saveexec_b64 s[4:5], s[0:1]
	s_cbranch_execz .LBB23_43
; %bb.42:
	ds_read_b128 v[2:5], v1 offset:128
	ds_read_b128 v[6:9], v1
	ds_read_b128 v[10:13], v1 offset:16
	ds_read_b128 v[14:17], v1 offset:144
	s_waitcnt lgkmcnt(2)
	v_add_u32_e32 v3, v7, v3
	v_add_u32_e32 v2, v6, v2
	;; [unrolled: 1-line block ×4, first 2 shown]
	ds_write_b128 v1, v[2:5]
	s_waitcnt lgkmcnt(1)
	v_add_u32_e32 v3, v11, v15
	v_add_u32_e32 v2, v10, v14
	;; [unrolled: 1-line block ×4, first 2 shown]
	ds_write_b128 v1, v[2:5] offset:16
.LBB23_43:
	s_or_b64 exec, exec, s[4:5]
	v_cmp_gt_u32_e64 s[0:1], 2, v0
	s_waitcnt lgkmcnt(0)
	s_barrier
	s_and_saveexec_b64 s[4:5], s[0:1]
	s_cbranch_execz .LBB23_45
; %bb.44:
	ds_read_b128 v[2:5], v1 offset:64
	ds_read_b128 v[6:9], v1
	ds_read_b128 v[10:13], v1 offset:16
	ds_read_b128 v[14:17], v1 offset:80
	s_waitcnt lgkmcnt(2)
	v_add_u32_e32 v3, v7, v3
	v_add_u32_e32 v2, v6, v2
	;; [unrolled: 1-line block ×4, first 2 shown]
	ds_write_b128 v1, v[2:5]
	s_waitcnt lgkmcnt(1)
	v_add_u32_e32 v3, v11, v15
	v_add_u32_e32 v2, v10, v14
	;; [unrolled: 1-line block ×4, first 2 shown]
	ds_write_b128 v1, v[2:5] offset:16
.LBB23_45:
	s_or_b64 exec, exec, s[4:5]
	v_cmp_eq_u32_e64 s[0:1], 0, v0
	s_waitcnt lgkmcnt(0)
	s_barrier
	s_and_saveexec_b64 s[4:5], s[0:1]
	s_cbranch_execz .LBB23_47
; %bb.46:
	v_mov_b32_e32 v1, 0
	ds_read_b128 v[2:5], v1 offset:32
	ds_read_b128 v[6:9], v1
	ds_read_b128 v[10:13], v1 offset:16
	ds_read_b128 v[14:17], v1 offset:48
	s_waitcnt lgkmcnt(2)
	v_add_u32_e32 v3, v7, v3
	v_add_u32_e32 v2, v6, v2
	;; [unrolled: 1-line block ×4, first 2 shown]
	ds_write_b128 v1, v[2:5]
	s_waitcnt lgkmcnt(1)
	v_add_u32_e32 v3, v11, v15
	v_add_u32_e32 v2, v10, v14
	;; [unrolled: 1-line block ×4, first 2 shown]
	ds_write_b128 v1, v[2:5] offset:16
.LBB23_47:
	s_or_b64 exec, exec, s[4:5]
	s_waitcnt lgkmcnt(0)
	s_barrier
	s_and_saveexec_b64 s[0:1], vcc
	s_cbranch_execz .LBB23_49
; %bb.48:
	v_lshl_or_b32 v2, s6, 3, v0
	v_lshlrev_b32_e32 v0, 2, v0
	ds_read_b32 v4, v0
	v_mov_b32_e32 v3, 0
	v_lshlrev_b64 v[2:3], 2, v[2:3]
	v_mov_b32_e32 v1, s3
	v_add_co_u32_e32 v0, vcc, s2, v2
	v_addc_co_u32_e32 v1, vcc, v1, v3, vcc
	s_waitcnt lgkmcnt(0)
	global_store_dword v[0:1], v4, off
.LBB23_49:
	s_endpgm
	.section	.rodata,"a",@progbits
	.p2align	6, 0x0
	.amdhsa_kernel _ZN9rocsparseL26bsrgemm_group_reduce_part2ILj256ELj8ELj2EdiiEEvT4_PKT3_PS1_Pi
		.amdhsa_group_segment_fixed_size 8192
		.amdhsa_private_segment_fixed_size 0
		.amdhsa_kernarg_size 288
		.amdhsa_user_sgpr_count 6
		.amdhsa_user_sgpr_private_segment_buffer 1
		.amdhsa_user_sgpr_dispatch_ptr 0
		.amdhsa_user_sgpr_queue_ptr 0
		.amdhsa_user_sgpr_kernarg_segment_ptr 1
		.amdhsa_user_sgpr_dispatch_id 0
		.amdhsa_user_sgpr_flat_scratch_init 0
		.amdhsa_user_sgpr_kernarg_preload_length 0
		.amdhsa_user_sgpr_kernarg_preload_offset 0
		.amdhsa_user_sgpr_private_segment_size 0
		.amdhsa_uses_dynamic_stack 0
		.amdhsa_system_sgpr_private_segment_wavefront_offset 0
		.amdhsa_system_sgpr_workgroup_id_x 1
		.amdhsa_system_sgpr_workgroup_id_y 0
		.amdhsa_system_sgpr_workgroup_id_z 0
		.amdhsa_system_sgpr_workgroup_info 0
		.amdhsa_system_vgpr_workitem_id 0
		.amdhsa_next_free_vgpr 18
		.amdhsa_next_free_sgpr 29
		.amdhsa_accum_offset 20
		.amdhsa_reserve_vcc 1
		.amdhsa_reserve_flat_scratch 0
		.amdhsa_float_round_mode_32 0
		.amdhsa_float_round_mode_16_64 0
		.amdhsa_float_denorm_mode_32 3
		.amdhsa_float_denorm_mode_16_64 3
		.amdhsa_dx10_clamp 1
		.amdhsa_ieee_mode 1
		.amdhsa_fp16_overflow 0
		.amdhsa_tg_split 0
		.amdhsa_exception_fp_ieee_invalid_op 0
		.amdhsa_exception_fp_denorm_src 0
		.amdhsa_exception_fp_ieee_div_zero 0
		.amdhsa_exception_fp_ieee_overflow 0
		.amdhsa_exception_fp_ieee_underflow 0
		.amdhsa_exception_fp_ieee_inexact 0
		.amdhsa_exception_int_div_zero 0
	.end_amdhsa_kernel
	.section	.text._ZN9rocsparseL26bsrgemm_group_reduce_part2ILj256ELj8ELj2EdiiEEvT4_PKT3_PS1_Pi,"axG",@progbits,_ZN9rocsparseL26bsrgemm_group_reduce_part2ILj256ELj8ELj2EdiiEEvT4_PKT3_PS1_Pi,comdat
.Lfunc_end23:
	.size	_ZN9rocsparseL26bsrgemm_group_reduce_part2ILj256ELj8ELj2EdiiEEvT4_PKT3_PS1_Pi, .Lfunc_end23-_ZN9rocsparseL26bsrgemm_group_reduce_part2ILj256ELj8ELj2EdiiEEvT4_PKT3_PS1_Pi
                                        ; -- End function
	.section	.AMDGPU.csdata,"",@progbits
; Kernel info:
; codeLenInByte = 1788
; NumSgprs: 33
; NumVgprs: 18
; NumAgprs: 0
; TotalNumVgprs: 18
; ScratchSize: 0
; MemoryBound: 0
; FloatMode: 240
; IeeeMode: 1
; LDSByteSize: 8192 bytes/workgroup (compile time only)
; SGPRBlocks: 4
; VGPRBlocks: 2
; NumSGPRsForWavesPerEU: 33
; NumVGPRsForWavesPerEU: 18
; AccumOffset: 20
; Occupancy: 8
; WaveLimiterHint : 0
; COMPUTE_PGM_RSRC2:SCRATCH_EN: 0
; COMPUTE_PGM_RSRC2:USER_SGPR: 6
; COMPUTE_PGM_RSRC2:TRAP_HANDLER: 0
; COMPUTE_PGM_RSRC2:TGID_X_EN: 1
; COMPUTE_PGM_RSRC2:TGID_Y_EN: 0
; COMPUTE_PGM_RSRC2:TGID_Z_EN: 0
; COMPUTE_PGM_RSRC2:TIDIG_COMP_CNT: 0
; COMPUTE_PGM_RSRC3_GFX90A:ACCUM_OFFSET: 4
; COMPUTE_PGM_RSRC3_GFX90A:TG_SPLIT: 0
	.section	.text._ZN9rocsparseL26bsrgemm_group_reduce_part2ILj256ELj8ELj8EdiiEEvT4_PKT3_PS1_Pi,"axG",@progbits,_ZN9rocsparseL26bsrgemm_group_reduce_part2ILj256ELj8ELj8EdiiEEvT4_PKT3_PS1_Pi,comdat
	.globl	_ZN9rocsparseL26bsrgemm_group_reduce_part2ILj256ELj8ELj8EdiiEEvT4_PKT3_PS1_Pi ; -- Begin function _ZN9rocsparseL26bsrgemm_group_reduce_part2ILj256ELj8ELj8EdiiEEvT4_PKT3_PS1_Pi
	.p2align	8
	.type	_ZN9rocsparseL26bsrgemm_group_reduce_part2ILj256ELj8ELj8EdiiEEvT4_PKT3_PS1_Pi,@function
_ZN9rocsparseL26bsrgemm_group_reduce_part2ILj256ELj8ELj8EdiiEEvT4_PKT3_PS1_Pi: ; @_ZN9rocsparseL26bsrgemm_group_reduce_part2ILj256ELj8ELj8EdiiEEvT4_PKT3_PS1_Pi
; %bb.0:
	s_mov_b32 s8, 0
	s_load_dword s7, s[4:5], 0x0
	s_load_dwordx2 s[2:3], s[4:5], 0x10
	s_mov_b32 s9, s8
	s_mov_b32 s10, s8
	;; [unrolled: 1-line block ×3, first 2 shown]
	v_pk_mov_b32 v[2:3], s[8:9], s[8:9] op_sel:[0,1]
	v_lshlrev_b32_e32 v1, 5, v0
	v_pk_mov_b32 v[4:5], s[10:11], s[10:11] op_sel:[0,1]
	ds_write_b128 v1, v[2:5]
	ds_write_b128 v1, v[2:5] offset:16
	v_lshl_or_b32 v2, s6, 8, v0
	s_waitcnt lgkmcnt(0)
	v_cmp_gt_i32_e32 vcc, s7, v2
	s_and_saveexec_b64 s[8:9], vcc
	s_cbranch_execz .LBB24_31
; %bb.1:
	s_load_dword s0, s[4:5], 0x20
	s_load_dwordx2 s[10:11], s[4:5], 0x8
	s_load_dwordx2 s[12:13], s[4:5], 0x18
	s_mov_b64 s[4:5], 0
	s_movk_i32 s27, 0x100
	s_waitcnt lgkmcnt(0)
	s_lshl_b32 s26, s0, 8
	v_mov_b32_e32 v6, s11
	s_movk_i32 s11, 0x80
	s_movk_i32 s28, 0x200
	v_mov_b32_e32 v7, 7
	v_mov_b32_e32 v8, 6
	;; [unrolled: 1-line block ×8, first 2 shown]
	s_branch .LBB24_3
.LBB24_2:                               ;   in Loop: Header=BB24_3 Depth=1
	s_or_b64 exec, exec, s[0:1]
	v_add_u32_e32 v2, s26, v2
	v_cmp_le_i32_e32 vcc, s7, v2
	s_or_b64 s[4:5], vcc, s[4:5]
	s_andn2_b64 exec, exec, s[4:5]
	s_cbranch_execz .LBB24_31
.LBB24_3:                               ; =>This Inner Loop Header: Depth=1
	v_ashrrev_i32_e32 v3, 31, v2
	v_lshlrev_b64 v[4:5], 2, v[2:3]
	v_add_co_u32_e32 v16, vcc, s10, v4
	v_addc_co_u32_e32 v17, vcc, v6, v5, vcc
	global_load_dwordx2 v[16:17], v[16:17], off
	s_waitcnt vmcnt(0)
	v_sub_u32_e32 v3, v17, v16
	v_cmp_lt_i32_e32 vcc, 8, v3
	s_and_saveexec_b64 s[0:1], vcc
	s_xor_b64 s[14:15], exec, s[0:1]
	s_cbranch_execz .LBB24_29
; %bb.4:                                ;   in Loop: Header=BB24_3 Depth=1
	v_cmp_lt_u32_e32 vcc, 16, v3
	s_and_saveexec_b64 s[0:1], vcc
	s_xor_b64 s[16:17], exec, s[0:1]
	s_cbranch_execz .LBB24_26
; %bb.5:                                ;   in Loop: Header=BB24_3 Depth=1
	v_cmp_lt_u32_e32 vcc, 32, v3
	;; [unrolled: 5-line block ×6, first 2 shown]
	v_mov_b32_e32 v3, s13
	v_add_co_u32_e64 v4, s[0:1], s12, v4
	v_addc_co_u32_e64 v5, s[0:1], v3, v5, s[0:1]
	s_and_saveexec_b64 s[0:1], vcc
	s_xor_b64 s[0:1], exec, s[0:1]
	s_cbranch_execz .LBB24_11
; %bb.10:                               ;   in Loop: Header=BB24_3 Depth=1
	ds_read_b32 v3, v1 offset:28
	global_store_dword v[4:5], v7, off
                                        ; implicit-def: $vgpr4_vgpr5
	s_waitcnt lgkmcnt(0)
	v_add_u32_e32 v3, 1, v3
	ds_write_b32 v1, v3 offset:28
.LBB24_11:                              ;   in Loop: Header=BB24_3 Depth=1
	s_andn2_saveexec_b64 s[0:1], s[0:1]
	s_cbranch_execz .LBB24_13
; %bb.12:                               ;   in Loop: Header=BB24_3 Depth=1
	ds_read_b32 v3, v1 offset:24
	global_store_dword v[4:5], v8, off
	s_waitcnt lgkmcnt(0)
	v_add_u32_e32 v3, 1, v3
	ds_write_b32 v1, v3 offset:24
.LBB24_13:                              ;   in Loop: Header=BB24_3 Depth=1
	s_or_b64 exec, exec, s[0:1]
                                        ; implicit-def: $vgpr4_vgpr5
.LBB24_14:                              ;   in Loop: Header=BB24_3 Depth=1
	s_andn2_saveexec_b64 s[0:1], s[24:25]
	s_cbranch_execz .LBB24_16
; %bb.15:                               ;   in Loop: Header=BB24_3 Depth=1
	ds_read_b32 v3, v1 offset:20
	v_mov_b32_e32 v15, s13
	v_add_co_u32_e32 v4, vcc, s12, v4
	v_addc_co_u32_e32 v5, vcc, v15, v5, vcc
	s_waitcnt lgkmcnt(0)
	v_add_u32_e32 v3, 1, v3
	ds_write_b32 v1, v3 offset:20
	global_store_dword v[4:5], v9, off
.LBB24_16:                              ;   in Loop: Header=BB24_3 Depth=1
	s_or_b64 exec, exec, s[0:1]
                                        ; implicit-def: $vgpr4_vgpr5
.LBB24_17:                              ;   in Loop: Header=BB24_3 Depth=1
	s_andn2_saveexec_b64 s[0:1], s[22:23]
	s_cbranch_execz .LBB24_19
; %bb.18:                               ;   in Loop: Header=BB24_3 Depth=1
	ds_read_b32 v3, v1 offset:16
	v_mov_b32_e32 v15, s13
	v_add_co_u32_e32 v4, vcc, s12, v4
	v_addc_co_u32_e32 v5, vcc, v15, v5, vcc
	s_waitcnt lgkmcnt(0)
	v_add_u32_e32 v3, 1, v3
	ds_write_b32 v1, v3 offset:16
	global_store_dword v[4:5], v10, off
.LBB24_19:                              ;   in Loop: Header=BB24_3 Depth=1
	s_or_b64 exec, exec, s[0:1]
                                        ; implicit-def: $vgpr4_vgpr5
.LBB24_20:                              ;   in Loop: Header=BB24_3 Depth=1
	s_andn2_saveexec_b64 s[0:1], s[20:21]
	s_cbranch_execz .LBB24_22
; %bb.21:                               ;   in Loop: Header=BB24_3 Depth=1
	ds_read_b32 v3, v1 offset:12
	v_mov_b32_e32 v15, s13
	v_add_co_u32_e32 v4, vcc, s12, v4
	v_addc_co_u32_e32 v5, vcc, v15, v5, vcc
	s_waitcnt lgkmcnt(0)
	v_add_u32_e32 v3, 1, v3
	ds_write_b32 v1, v3 offset:12
	global_store_dword v[4:5], v11, off
.LBB24_22:                              ;   in Loop: Header=BB24_3 Depth=1
	s_or_b64 exec, exec, s[0:1]
                                        ; implicit-def: $vgpr4_vgpr5
.LBB24_23:                              ;   in Loop: Header=BB24_3 Depth=1
	s_andn2_saveexec_b64 s[0:1], s[18:19]
	s_cbranch_execz .LBB24_25
; %bb.24:                               ;   in Loop: Header=BB24_3 Depth=1
	ds_read_b32 v3, v1 offset:8
	v_mov_b32_e32 v15, s13
	v_add_co_u32_e32 v4, vcc, s12, v4
	v_addc_co_u32_e32 v5, vcc, v15, v5, vcc
	s_waitcnt lgkmcnt(0)
	v_add_u32_e32 v3, 1, v3
	ds_write_b32 v1, v3 offset:8
	global_store_dword v[4:5], v12, off
.LBB24_25:                              ;   in Loop: Header=BB24_3 Depth=1
	s_or_b64 exec, exec, s[0:1]
                                        ; implicit-def: $vgpr4_vgpr5
.LBB24_26:                              ;   in Loop: Header=BB24_3 Depth=1
	s_andn2_saveexec_b64 s[0:1], s[16:17]
	s_cbranch_execz .LBB24_28
; %bb.27:                               ;   in Loop: Header=BB24_3 Depth=1
	ds_read_b32 v3, v1 offset:4
	v_mov_b32_e32 v15, s13
	v_add_co_u32_e32 v4, vcc, s12, v4
	v_addc_co_u32_e32 v5, vcc, v15, v5, vcc
	s_waitcnt lgkmcnt(0)
	v_add_u32_e32 v3, 1, v3
	ds_write_b32 v1, v3 offset:4
	global_store_dword v[4:5], v13, off
.LBB24_28:                              ;   in Loop: Header=BB24_3 Depth=1
	s_or_b64 exec, exec, s[0:1]
                                        ; implicit-def: $vgpr4_vgpr5
.LBB24_29:                              ;   in Loop: Header=BB24_3 Depth=1
	s_andn2_saveexec_b64 s[0:1], s[14:15]
	s_cbranch_execz .LBB24_2
; %bb.30:                               ;   in Loop: Header=BB24_3 Depth=1
	ds_read_b32 v3, v1
	v_mov_b32_e32 v15, s13
	v_add_co_u32_e32 v4, vcc, s12, v4
	v_addc_co_u32_e32 v5, vcc, v15, v5, vcc
	s_waitcnt lgkmcnt(0)
	v_add_u32_e32 v3, 1, v3
	ds_write_b32 v1, v3
	global_store_dword v[4:5], v14, off
	s_branch .LBB24_2
.LBB24_31:
	s_or_b64 exec, exec, s[8:9]
	s_movk_i32 s0, 0x80
	v_cmp_gt_u32_e32 vcc, s0, v0
	s_waitcnt lgkmcnt(0)
	s_barrier
	s_barrier
	;; [unrolled: 1-line block ×3, first 2 shown]
	s_and_saveexec_b64 s[0:1], vcc
	s_cbranch_execz .LBB24_33
; %bb.32:
	ds_read_b128 v[2:5], v1 offset:4096
	ds_read_b128 v[6:9], v1
	ds_read_b128 v[10:13], v1 offset:16
	ds_read_b128 v[14:17], v1 offset:4112
	s_waitcnt lgkmcnt(2)
	v_add_u32_e32 v3, v7, v3
	v_add_u32_e32 v2, v6, v2
	v_add_u32_e32 v5, v9, v5
	v_add_u32_e32 v4, v8, v4
	ds_write_b128 v1, v[2:5]
	s_waitcnt lgkmcnt(1)
	v_add_u32_e32 v3, v11, v15
	v_add_u32_e32 v2, v10, v14
	v_add_u32_e32 v5, v13, v17
	v_add_u32_e32 v4, v12, v16
	ds_write_b128 v1, v[2:5] offset:16
.LBB24_33:
	s_or_b64 exec, exec, s[0:1]
	v_cmp_gt_u32_e32 vcc, 64, v0
	s_waitcnt lgkmcnt(0)
	s_barrier
	s_and_saveexec_b64 s[0:1], vcc
	s_cbranch_execz .LBB24_35
; %bb.34:
	ds_read_b128 v[2:5], v1 offset:2048
	ds_read_b128 v[6:9], v1
	ds_read_b128 v[10:13], v1 offset:16
	ds_read_b128 v[14:17], v1 offset:2064
	s_waitcnt lgkmcnt(2)
	v_add_u32_e32 v3, v7, v3
	v_add_u32_e32 v2, v6, v2
	v_add_u32_e32 v5, v9, v5
	v_add_u32_e32 v4, v8, v4
	ds_write_b128 v1, v[2:5]
	s_waitcnt lgkmcnt(1)
	v_add_u32_e32 v3, v11, v15
	v_add_u32_e32 v2, v10, v14
	v_add_u32_e32 v5, v13, v17
	v_add_u32_e32 v4, v12, v16
	ds_write_b128 v1, v[2:5] offset:16
.LBB24_35:
	s_or_b64 exec, exec, s[0:1]
	v_cmp_gt_u32_e32 vcc, 32, v0
	s_waitcnt lgkmcnt(0)
	s_barrier
	;; [unrolled: 24-line block ×4, first 2 shown]
	s_and_saveexec_b64 s[0:1], vcc
	s_cbranch_execz .LBB24_41
; %bb.40:
	ds_read_b128 v[2:5], v1 offset:256
	ds_read_b128 v[6:9], v1
	ds_read_b128 v[10:13], v1 offset:16
	ds_read_b128 v[14:17], v1 offset:272
	s_waitcnt lgkmcnt(2)
	v_add_u32_e32 v3, v7, v3
	v_add_u32_e32 v2, v6, v2
	;; [unrolled: 1-line block ×4, first 2 shown]
	ds_write_b128 v1, v[2:5]
	s_waitcnt lgkmcnt(1)
	v_add_u32_e32 v3, v11, v15
	v_add_u32_e32 v2, v10, v14
	;; [unrolled: 1-line block ×4, first 2 shown]
	ds_write_b128 v1, v[2:5] offset:16
.LBB24_41:
	s_or_b64 exec, exec, s[0:1]
	v_cmp_gt_u32_e64 s[0:1], 4, v0
	s_waitcnt lgkmcnt(0)
	s_barrier
	s_and_saveexec_b64 s[4:5], s[0:1]
	s_cbranch_execz .LBB24_43
; %bb.42:
	ds_read_b128 v[2:5], v1 offset:128
	ds_read_b128 v[6:9], v1
	ds_read_b128 v[10:13], v1 offset:16
	ds_read_b128 v[14:17], v1 offset:144
	s_waitcnt lgkmcnt(2)
	v_add_u32_e32 v3, v7, v3
	v_add_u32_e32 v2, v6, v2
	;; [unrolled: 1-line block ×4, first 2 shown]
	ds_write_b128 v1, v[2:5]
	s_waitcnt lgkmcnt(1)
	v_add_u32_e32 v3, v11, v15
	v_add_u32_e32 v2, v10, v14
	;; [unrolled: 1-line block ×4, first 2 shown]
	ds_write_b128 v1, v[2:5] offset:16
.LBB24_43:
	s_or_b64 exec, exec, s[4:5]
	v_cmp_gt_u32_e64 s[0:1], 2, v0
	s_waitcnt lgkmcnt(0)
	s_barrier
	s_and_saveexec_b64 s[4:5], s[0:1]
	s_cbranch_execz .LBB24_45
; %bb.44:
	ds_read_b128 v[2:5], v1 offset:64
	ds_read_b128 v[6:9], v1
	ds_read_b128 v[10:13], v1 offset:16
	ds_read_b128 v[14:17], v1 offset:80
	s_waitcnt lgkmcnt(2)
	v_add_u32_e32 v3, v7, v3
	v_add_u32_e32 v2, v6, v2
	;; [unrolled: 1-line block ×4, first 2 shown]
	ds_write_b128 v1, v[2:5]
	s_waitcnt lgkmcnt(1)
	v_add_u32_e32 v3, v11, v15
	v_add_u32_e32 v2, v10, v14
	;; [unrolled: 1-line block ×4, first 2 shown]
	ds_write_b128 v1, v[2:5] offset:16
.LBB24_45:
	s_or_b64 exec, exec, s[4:5]
	v_cmp_eq_u32_e64 s[0:1], 0, v0
	s_waitcnt lgkmcnt(0)
	s_barrier
	s_and_saveexec_b64 s[4:5], s[0:1]
	s_cbranch_execz .LBB24_47
; %bb.46:
	v_mov_b32_e32 v1, 0
	ds_read_b128 v[2:5], v1 offset:32
	ds_read_b128 v[6:9], v1
	ds_read_b128 v[10:13], v1 offset:16
	ds_read_b128 v[14:17], v1 offset:48
	s_waitcnt lgkmcnt(2)
	v_add_u32_e32 v3, v7, v3
	v_add_u32_e32 v2, v6, v2
	;; [unrolled: 1-line block ×4, first 2 shown]
	ds_write_b128 v1, v[2:5]
	s_waitcnt lgkmcnt(1)
	v_add_u32_e32 v3, v11, v15
	v_add_u32_e32 v2, v10, v14
	v_add_u32_e32 v5, v13, v17
	v_add_u32_e32 v4, v12, v16
	ds_write_b128 v1, v[2:5] offset:16
.LBB24_47:
	s_or_b64 exec, exec, s[4:5]
	s_waitcnt lgkmcnt(0)
	s_barrier
	s_and_saveexec_b64 s[0:1], vcc
	s_cbranch_execz .LBB24_49
; %bb.48:
	v_lshl_or_b32 v2, s6, 3, v0
	v_lshlrev_b32_e32 v0, 2, v0
	ds_read_b32 v4, v0
	v_mov_b32_e32 v3, 0
	v_lshlrev_b64 v[2:3], 2, v[2:3]
	v_mov_b32_e32 v1, s3
	v_add_co_u32_e32 v0, vcc, s2, v2
	v_addc_co_u32_e32 v1, vcc, v1, v3, vcc
	s_waitcnt lgkmcnt(0)
	global_store_dword v[0:1], v4, off
.LBB24_49:
	s_endpgm
	.section	.rodata,"a",@progbits
	.p2align	6, 0x0
	.amdhsa_kernel _ZN9rocsparseL26bsrgemm_group_reduce_part2ILj256ELj8ELj8EdiiEEvT4_PKT3_PS1_Pi
		.amdhsa_group_segment_fixed_size 8192
		.amdhsa_private_segment_fixed_size 0
		.amdhsa_kernarg_size 288
		.amdhsa_user_sgpr_count 6
		.amdhsa_user_sgpr_private_segment_buffer 1
		.amdhsa_user_sgpr_dispatch_ptr 0
		.amdhsa_user_sgpr_queue_ptr 0
		.amdhsa_user_sgpr_kernarg_segment_ptr 1
		.amdhsa_user_sgpr_dispatch_id 0
		.amdhsa_user_sgpr_flat_scratch_init 0
		.amdhsa_user_sgpr_kernarg_preload_length 0
		.amdhsa_user_sgpr_kernarg_preload_offset 0
		.amdhsa_user_sgpr_private_segment_size 0
		.amdhsa_uses_dynamic_stack 0
		.amdhsa_system_sgpr_private_segment_wavefront_offset 0
		.amdhsa_system_sgpr_workgroup_id_x 1
		.amdhsa_system_sgpr_workgroup_id_y 0
		.amdhsa_system_sgpr_workgroup_id_z 0
		.amdhsa_system_sgpr_workgroup_info 0
		.amdhsa_system_vgpr_workitem_id 0
		.amdhsa_next_free_vgpr 18
		.amdhsa_next_free_sgpr 29
		.amdhsa_accum_offset 20
		.amdhsa_reserve_vcc 1
		.amdhsa_reserve_flat_scratch 0
		.amdhsa_float_round_mode_32 0
		.amdhsa_float_round_mode_16_64 0
		.amdhsa_float_denorm_mode_32 3
		.amdhsa_float_denorm_mode_16_64 3
		.amdhsa_dx10_clamp 1
		.amdhsa_ieee_mode 1
		.amdhsa_fp16_overflow 0
		.amdhsa_tg_split 0
		.amdhsa_exception_fp_ieee_invalid_op 0
		.amdhsa_exception_fp_denorm_src 0
		.amdhsa_exception_fp_ieee_div_zero 0
		.amdhsa_exception_fp_ieee_overflow 0
		.amdhsa_exception_fp_ieee_underflow 0
		.amdhsa_exception_fp_ieee_inexact 0
		.amdhsa_exception_int_div_zero 0
	.end_amdhsa_kernel
	.section	.text._ZN9rocsparseL26bsrgemm_group_reduce_part2ILj256ELj8ELj8EdiiEEvT4_PKT3_PS1_Pi,"axG",@progbits,_ZN9rocsparseL26bsrgemm_group_reduce_part2ILj256ELj8ELj8EdiiEEvT4_PKT3_PS1_Pi,comdat
.Lfunc_end24:
	.size	_ZN9rocsparseL26bsrgemm_group_reduce_part2ILj256ELj8ELj8EdiiEEvT4_PKT3_PS1_Pi, .Lfunc_end24-_ZN9rocsparseL26bsrgemm_group_reduce_part2ILj256ELj8ELj8EdiiEEvT4_PKT3_PS1_Pi
                                        ; -- End function
	.section	.AMDGPU.csdata,"",@progbits
; Kernel info:
; codeLenInByte = 1788
; NumSgprs: 33
; NumVgprs: 18
; NumAgprs: 0
; TotalNumVgprs: 18
; ScratchSize: 0
; MemoryBound: 0
; FloatMode: 240
; IeeeMode: 1
; LDSByteSize: 8192 bytes/workgroup (compile time only)
; SGPRBlocks: 4
; VGPRBlocks: 2
; NumSGPRsForWavesPerEU: 33
; NumVGPRsForWavesPerEU: 18
; AccumOffset: 20
; Occupancy: 8
; WaveLimiterHint : 0
; COMPUTE_PGM_RSRC2:SCRATCH_EN: 0
; COMPUTE_PGM_RSRC2:USER_SGPR: 6
; COMPUTE_PGM_RSRC2:TRAP_HANDLER: 0
; COMPUTE_PGM_RSRC2:TGID_X_EN: 1
; COMPUTE_PGM_RSRC2:TGID_Y_EN: 0
; COMPUTE_PGM_RSRC2:TGID_Z_EN: 0
; COMPUTE_PGM_RSRC2:TIDIG_COMP_CNT: 0
; COMPUTE_PGM_RSRC3_GFX90A:ACCUM_OFFSET: 4
; COMPUTE_PGM_RSRC3_GFX90A:TG_SPLIT: 0
	.section	.text._ZN9rocsparseL27bsrgemm_fill_wf_per_row_2x2ILj256ELj16ELj8ELj137EiidEEv20rocsparse_direction_T4_S2_PKS2_S4_NS_24const_host_device_scalarIT5_EEPKT3_S4_PKS6_SA_S4_SC_S7_SA_S4_SC_SA_PS2_PS6_21rocsparse_index_base_SF_SF_SF_bbb,"axG",@progbits,_ZN9rocsparseL27bsrgemm_fill_wf_per_row_2x2ILj256ELj16ELj8ELj137EiidEEv20rocsparse_direction_T4_S2_PKS2_S4_NS_24const_host_device_scalarIT5_EEPKT3_S4_PKS6_SA_S4_SC_S7_SA_S4_SC_SA_PS2_PS6_21rocsparse_index_base_SF_SF_SF_bbb,comdat
	.globl	_ZN9rocsparseL27bsrgemm_fill_wf_per_row_2x2ILj256ELj16ELj8ELj137EiidEEv20rocsparse_direction_T4_S2_PKS2_S4_NS_24const_host_device_scalarIT5_EEPKT3_S4_PKS6_SA_S4_SC_S7_SA_S4_SC_SA_PS2_PS6_21rocsparse_index_base_SF_SF_SF_bbb ; -- Begin function _ZN9rocsparseL27bsrgemm_fill_wf_per_row_2x2ILj256ELj16ELj8ELj137EiidEEv20rocsparse_direction_T4_S2_PKS2_S4_NS_24const_host_device_scalarIT5_EEPKT3_S4_PKS6_SA_S4_SC_S7_SA_S4_SC_SA_PS2_PS6_21rocsparse_index_base_SF_SF_SF_bbb
	.p2align	8
	.type	_ZN9rocsparseL27bsrgemm_fill_wf_per_row_2x2ILj256ELj16ELj8ELj137EiidEEv20rocsparse_direction_T4_S2_PKS2_S4_NS_24const_host_device_scalarIT5_EEPKT3_S4_PKS6_SA_S4_SC_S7_SA_S4_SC_SA_PS2_PS6_21rocsparse_index_base_SF_SF_SF_bbb,@function
_ZN9rocsparseL27bsrgemm_fill_wf_per_row_2x2ILj256ELj16ELj8ELj137EiidEEv20rocsparse_direction_T4_S2_PKS2_S4_NS_24const_host_device_scalarIT5_EEPKT3_S4_PKS6_SA_S4_SC_S7_SA_S4_SC_SA_PS2_PS6_21rocsparse_index_base_SF_SF_SF_bbb: ; @_ZN9rocsparseL27bsrgemm_fill_wf_per_row_2x2ILj256ELj16ELj8ELj137EiidEEv20rocsparse_direction_T4_S2_PKS2_S4_NS_24const_host_device_scalarIT5_EEPKT3_S4_PKS6_SA_S4_SC_S7_SA_S4_SC_SA_PS2_PS6_21rocsparse_index_base_SF_SF_SF_bbb
; %bb.0:
	s_load_dword s7, s[4:5], 0xa0
	s_load_dwordx2 s[2:3], s[4:5], 0x20
	s_load_dwordx2 s[0:1], s[4:5], 0x58
	s_waitcnt lgkmcnt(0)
	s_and_b32 s10, 1, s7
	s_bitcmp1_b32 s7, 16
	s_cselect_b64 s[8:9], -1, 0
	s_cmp_eq_u32 s10, 1
	s_cselect_b64 s[34:35], -1, 0
	s_and_b64 s[10:11], s[34:35], exec
	s_cselect_b32 s11, s3, 0
	s_cselect_b32 s10, s2, 0
	s_xor_b64 s[12:13], s[34:35], -1
	s_or_b64 s[12:13], s[12:13], s[8:9]
	s_and_b64 vcc, exec, s[12:13]
	v_pk_mov_b32 v[4:5], s[10:11], s[10:11] op_sel:[0,1]
	s_cbranch_vccnz .LBB25_2
; %bb.1:
	v_pk_mov_b32 v[2:3], s[2:3], s[2:3] op_sel:[0,1]
	flat_load_dwordx2 v[4:5], v[2:3]
.LBB25_2:
	s_bitcmp1_b32 s7, 8
	s_load_dwordx4 s[36:39], s[4:5], 0x90
	s_cselect_b64 s[2:3], -1, 0
	s_and_b64 s[10:11], s[2:3], exec
	s_cselect_b32 s11, s1, 0
	s_cselect_b32 s10, s0, 0
	s_xor_b64 s[12:13], s[2:3], -1
	s_or_b64 s[8:9], s[12:13], s[8:9]
	s_and_b64 vcc, exec, s[8:9]
	v_pk_mov_b32 v[2:3], s[10:11], s[10:11] op_sel:[0,1]
	s_cbranch_vccnz .LBB25_4
; %bb.3:
	v_pk_mov_b32 v[2:3], s[0:1], s[0:1] op_sel:[0,1]
	flat_load_dwordx2 v[2:3], v[2:3]
.LBB25_4:
	s_load_dwordx4 s[40:43], s[4:5], 0x80
	s_load_dwordx8 s[8:15], s[4:5], 0x60
	s_load_dwordx4 s[44:47], s[4:5], 0x48
	s_load_dwordx8 s[16:23], s[4:5], 0x0
	s_load_dwordx8 s[24:31], s[4:5], 0x28
	v_and_b32_e32 v28, 15, v0
	v_lshrrev_b32_e32 v6, 4, v0
	v_mov_b32_e32 v0, 0x1000
	v_lshl_or_b32 v29, v6, 5, v0
	v_cmp_gt_u32_e64 s[0:1], 8, v28
	s_and_saveexec_b64 s[4:5], s[0:1]
	s_cbranch_execz .LBB25_6
; %bb.5:
	v_lshl_add_u32 v0, v28, 2, v29
	s_waitcnt lgkmcnt(0)
	v_mov_b32_e32 v1, s18
	ds_write_b32 v0, v1
.LBB25_6:
	s_or_b64 exec, exec, s[4:5]
	v_lshlrev_b32_e32 v0, 3, v28
	v_lshl_or_b32 v8, v6, 8, v0
	v_mov_b32_e32 v0, 0
	v_or_b32_e32 v7, -16, v28
	s_mov_b64 s[4:5], 0
	v_mov_b32_e32 v1, v0
.LBB25_7:                               ; =>This Inner Loop Header: Depth=1
	v_add_co_u32_e32 v7, vcc, 16, v7
	s_xor_b64 s[48:49], vcc, -1
	s_and_b64 s[48:49], exec, s[48:49]
	ds_write_b64 v8, v[0:1]
	s_or_b64 s[4:5], s[48:49], s[4:5]
	v_add_u32_e32 v8, 0x80, v8
	s_andn2_b64 exec, exec, s[4:5]
	s_cbranch_execnz .LBB25_7
; %bb.8:
	s_or_b64 exec, exec, s[4:5]
	v_lshl_or_b32 v0, s6, 4, v6
	s_waitcnt lgkmcnt(0)
	v_cmp_gt_i32_e32 vcc, s17, v0
	s_barrier
	s_and_saveexec_b64 s[4:5], vcc
	s_cbranch_execz .LBB25_14
; %bb.9:
	s_cmp_eq_u64 s[22:23], 0
	s_cbranch_scc1 .LBB25_11
; %bb.10:
	s_load_dword s4, s[20:21], 0x0
	v_mov_b32_e32 v7, s23
	s_waitcnt lgkmcnt(0)
	v_add_u32_e32 v0, s4, v0
	v_ashrrev_i32_e32 v1, 31, v0
	v_lshlrev_b64 v[0:1], 2, v[0:1]
	v_add_co_u32_e32 v0, vcc, s22, v0
	v_addc_co_u32_e32 v1, vcc, v7, v1, vcc
	global_load_dword v0, v[0:1], off
.LBB25_11:
	v_lshlrev_b32_e32 v30, 8, v6
	s_andn2_b64 vcc, exec, s[34:35]
	s_waitcnt vmcnt(0)
	v_ashrrev_i32_e32 v1, 31, v0
	s_cbranch_vccz .LBB25_15
; %bb.12:
	s_andn2_b64 vcc, exec, s[2:3]
	s_cbranch_vccz .LBB25_70
.LBB25_13:
	s_and_b64 exec, exec, s[0:1]
	s_cbranch_execnz .LBB25_122
.LBB25_14:
	s_endpgm
.LBB25_15:
	v_lshlrev_b64 v[6:7], 2, v[0:1]
	v_mov_b32_e32 v8, s25
	v_add_co_u32_e32 v6, vcc, s24, v6
	v_addc_co_u32_e32 v7, vcc, v8, v7, vcc
	global_load_dwordx2 v[6:7], v[6:7], off
	v_subrev_u32_e32 v8, s36, v28
	s_waitcnt vmcnt(0)
	v_subrev_u32_e32 v31, s36, v7
	v_add_u32_e32 v6, v6, v8
	v_cmp_lt_i32_e32 vcc, v6, v31
	s_and_saveexec_b64 s[4:5], vcc
	s_cbranch_execz .LBB25_69
; %bb.16:
	s_cmp_eq_u32 s16, 0
	s_cselect_b32 s17, 1, 2
	s_cselect_b32 s19, 2, 1
	v_add_u32_e32 v32, 8, v30
	v_add_u32_e32 v33, 16, v30
	;; [unrolled: 1-line block ×3, first 2 shown]
	s_mov_b64 s[6:7], 0
	v_mov_b32_e32 v35, s27
	v_mov_b32_e32 v36, s31
	s_branch .LBB25_18
.LBB25_17:                              ;   in Loop: Header=BB25_18 Depth=1
	s_or_b64 exec, exec, s[20:21]
	v_add_u32_e32 v6, 16, v6
	v_cmp_ge_i32_e32 vcc, v6, v31
	s_or_b64 s[6:7], vcc, s[6:7]
	s_andn2_b64 exec, exec, s[6:7]
	s_cbranch_execz .LBB25_69
.LBB25_18:                              ; =>This Loop Header: Depth=1
                                        ;     Child Loop BB25_21 Depth 2
                                        ;       Child Loop BB25_23 Depth 3
                                        ;       Child Loop BB25_35 Depth 3
	;; [unrolled: 1-line block ×4, first 2 shown]
	v_ashrrev_i32_e32 v7, 31, v6
	v_lshlrev_b64 v[8:9], 2, v[6:7]
	v_add_co_u32_e32 v8, vcc, s26, v8
	v_addc_co_u32_e32 v9, vcc, v35, v9, vcc
	global_load_dword v7, v[8:9], off
	s_waitcnt vmcnt(0)
	v_subrev_u32_e32 v8, s36, v7
	v_ashrrev_i32_e32 v9, 31, v8
	v_lshlrev_b64 v[8:9], 2, v[8:9]
	v_add_co_u32_e32 v8, vcc, s30, v8
	v_addc_co_u32_e32 v9, vcc, v36, v9, vcc
	global_load_dwordx2 v[8:9], v[8:9], off
	s_waitcnt vmcnt(0)
	v_cmp_lt_i32_e32 vcc, v8, v9
	s_and_saveexec_b64 s[20:21], vcc
	s_cbranch_execz .LBB25_17
; %bb.19:                               ;   in Loop: Header=BB25_18 Depth=1
	v_lshlrev_b32_e32 v10, 2, v6
	v_ashrrev_i32_e32 v11, 31, v10
	v_or_b32_e32 v12, s17, v10
	v_or_b32_e32 v14, s19, v10
	v_lshlrev_b64 v[10:11], 3, v[10:11]
	v_mov_b32_e32 v7, s29
	v_add_co_u32_e32 v10, vcc, s28, v10
	v_ashrrev_i32_e32 v15, 31, v14
	v_addc_co_u32_e32 v11, vcc, v7, v11, vcc
	v_lshlrev_b64 v[14:15], 3, v[14:15]
	v_add_co_u32_e32 v14, vcc, s28, v14
	v_ashrrev_i32_e32 v13, 31, v12
	v_addc_co_u32_e32 v15, vcc, v7, v15, vcc
	v_lshlrev_b64 v[12:13], 3, v[12:13]
	v_add_co_u32_e32 v12, vcc, s28, v12
	v_addc_co_u32_e32 v13, vcc, v7, v13, vcc
	global_load_dwordx2 v[16:17], v[10:11], off offset:24
	global_load_dwordx2 v[18:19], v[14:15], off
	global_load_dwordx2 v[20:21], v[12:13], off
	;; [unrolled: 1-line block ×3, first 2 shown]
	v_subrev_u32_e32 v7, s37, v9
	v_subrev_u32_e32 v8, s37, v8
	s_mov_b64 s[22:23], 0
	s_waitcnt vmcnt(3)
	v_mul_f64 v[10:11], v[4:5], v[16:17]
	s_waitcnt vmcnt(2)
	v_mul_f64 v[12:13], v[4:5], v[18:19]
	;; [unrolled: 2-line block ×4, first 2 shown]
	s_branch .LBB25_21
.LBB25_20:                              ;   in Loop: Header=BB25_21 Depth=2
	s_or_b64 exec, exec, s[24:25]
	v_add_u32_e32 v8, 1, v8
	v_cmp_ge_i32_e32 vcc, v8, v7
	s_or_b64 s[22:23], vcc, s[22:23]
	s_andn2_b64 exec, exec, s[22:23]
	s_cbranch_execz .LBB25_17
.LBB25_21:                              ;   Parent Loop BB25_18 Depth=1
                                        ; =>  This Loop Header: Depth=2
                                        ;       Child Loop BB25_23 Depth 3
                                        ;       Child Loop BB25_35 Depth 3
	;; [unrolled: 1-line block ×4, first 2 shown]
	v_ashrrev_i32_e32 v9, 31, v8
	v_lshlrev_b64 v[18:19], 2, v[8:9]
	v_mov_b32_e32 v9, s45
	v_add_co_u32_e32 v18, vcc, s44, v18
	v_addc_co_u32_e32 v19, vcc, v9, v19, vcc
	global_load_dword v9, v[18:19], off
	v_lshlrev_b32_e32 v18, 2, v8
	v_ashrrev_i32_e32 v19, 31, v18
	v_or_b32_e32 v20, s17, v18
	v_or_b32_e32 v24, s19, v18
	v_lshlrev_b64 v[18:19], 3, v[18:19]
	v_mov_b32_e32 v37, s47
	v_add_co_u32_e32 v26, vcc, s46, v18
	v_ashrrev_i32_e32 v21, 31, v20
	v_ashrrev_i32_e32 v25, 31, v24
	v_addc_co_u32_e32 v27, vcc, v37, v19, vcc
	v_lshlrev_b64 v[18:19], 3, v[20:21]
	v_lshlrev_b64 v[20:21], 3, v[24:25]
	v_add_co_u32_e32 v20, vcc, s46, v20
	v_addc_co_u32_e32 v21, vcc, v37, v21, vcc
	global_load_dwordx2 v[22:23], v[26:27], off
	global_load_dwordx2 v[24:25], v[20:21], off
	v_add_co_u32_e32 v38, vcc, s46, v18
	v_addc_co_u32_e32 v39, vcc, v37, v19, vcc
	global_load_dwordx2 v[18:19], v[38:39], off
	global_load_dwordx2 v[20:21], v[26:27], off offset:24
	s_mov_b64 s[24:25], 0
	s_waitcnt vmcnt(4)
	v_subrev_u32_e32 v9, s37, v9
	v_and_b32_e32 v37, 7, v9
	v_mov_b32_e32 v38, v37
	s_waitcnt vmcnt(2)
	v_mul_f64 v[26:27], v[16:17], v[24:25]
	v_fmac_f64_e32 v[26:27], v[14:15], v[22:23]
	s_branch .LBB25_23
.LBB25_22:                              ;   in Loop: Header=BB25_23 Depth=3
	s_or_b64 exec, exec, s[34:35]
	s_xor_b64 s[34:35], s[48:49], -1
	s_and_b64 s[34:35], exec, s[34:35]
	s_or_b64 s[24:25], s[34:35], s[24:25]
	s_andn2_b64 exec, exec, s[24:25]
	s_cbranch_execz .LBB25_33
.LBB25_23:                              ;   Parent Loop BB25_18 Depth=1
                                        ;     Parent Loop BB25_21 Depth=2
                                        ; =>    This Inner Loop Header: Depth=3
	v_lshl_add_u32 v39, v38, 2, v29
	ds_read_b32 v40, v39
                                        ; implicit-def: $sgpr48_sgpr49
	s_waitcnt lgkmcnt(0)
	v_cmp_ne_u32_e32 vcc, v40, v9
	s_and_saveexec_b64 s[34:35], vcc
	s_xor_b64 s[34:35], exec, s[34:35]
	s_cbranch_execz .LBB25_31
; %bb.24:                               ;   in Loop: Header=BB25_23 Depth=3
	v_cmp_ne_u32_e32 vcc, s18, v40
                                        ; implicit-def: $sgpr48_sgpr49
	s_and_saveexec_b64 s[50:51], vcc
	s_xor_b64 s[50:51], exec, s[50:51]
; %bb.25:                               ;   in Loop: Header=BB25_23 Depth=3
	v_add_u32_e32 v38, 1, v38
	v_and_b32_e32 v38, 7, v38
	s_mov_b64 s[48:49], -1
                                        ; implicit-def: $vgpr39
; %bb.26:                               ;   in Loop: Header=BB25_23 Depth=3
	s_andn2_saveexec_b64 s[50:51], s[50:51]
	s_cbranch_execz .LBB25_30
; %bb.27:                               ;   in Loop: Header=BB25_23 Depth=3
	v_mov_b32_e32 v40, s18
	ds_cmpst_rtn_b32 v39, v39, v40, v9
	s_mov_b64 s[52:53], -1
	s_waitcnt lgkmcnt(0)
	v_cmp_eq_u32_e32 vcc, s18, v39
	s_and_saveexec_b64 s[54:55], vcc
	s_cbranch_execz .LBB25_29
; %bb.28:                               ;   in Loop: Header=BB25_23 Depth=3
	v_lshl_add_u32 v39, v38, 5, v30
	ds_add_f64 v39, v[26:27]
	s_xor_b64 s[52:53], exec, -1
.LBB25_29:                              ;   in Loop: Header=BB25_23 Depth=3
	s_or_b64 exec, exec, s[54:55]
	s_andn2_b64 s[48:49], s[48:49], exec
	s_and_b64 s[52:53], s[52:53], exec
	s_or_b64 s[48:49], s[48:49], s[52:53]
.LBB25_30:                              ;   in Loop: Header=BB25_23 Depth=3
	s_or_b64 exec, exec, s[50:51]
	s_and_b64 s[48:49], s[48:49], exec
.LBB25_31:                              ;   in Loop: Header=BB25_23 Depth=3
	s_andn2_saveexec_b64 s[34:35], s[34:35]
	s_cbranch_execz .LBB25_22
; %bb.32:                               ;   in Loop: Header=BB25_23 Depth=3
	v_lshl_add_u32 v39, v38, 5, v30
	ds_add_f64 v39, v[26:27]
	s_andn2_b64 s[48:49], s[48:49], exec
	s_branch .LBB25_22
.LBB25_33:                              ;   in Loop: Header=BB25_21 Depth=2
	s_or_b64 exec, exec, s[24:25]
	s_waitcnt vmcnt(0)
	v_mul_f64 v[26:27], v[16:17], v[20:21]
	v_fmac_f64_e32 v[26:27], v[14:15], v[18:19]
	s_mov_b64 s[24:25], 0
	v_mov_b32_e32 v38, v37
	s_branch .LBB25_35
.LBB25_34:                              ;   in Loop: Header=BB25_35 Depth=3
	s_or_b64 exec, exec, s[34:35]
	s_xor_b64 s[34:35], s[48:49], -1
	s_and_b64 s[34:35], exec, s[34:35]
	s_or_b64 s[24:25], s[34:35], s[24:25]
	s_andn2_b64 exec, exec, s[24:25]
	s_cbranch_execz .LBB25_45
.LBB25_35:                              ;   Parent Loop BB25_18 Depth=1
                                        ;     Parent Loop BB25_21 Depth=2
                                        ; =>    This Inner Loop Header: Depth=3
	v_lshl_add_u32 v39, v38, 2, v29
	ds_read_b32 v40, v39
                                        ; implicit-def: $sgpr48_sgpr49
	s_waitcnt lgkmcnt(0)
	v_cmp_ne_u32_e32 vcc, v40, v9
	s_and_saveexec_b64 s[34:35], vcc
	s_xor_b64 s[34:35], exec, s[34:35]
	s_cbranch_execz .LBB25_43
; %bb.36:                               ;   in Loop: Header=BB25_35 Depth=3
	v_cmp_ne_u32_e32 vcc, s18, v40
                                        ; implicit-def: $sgpr48_sgpr49
	s_and_saveexec_b64 s[50:51], vcc
	s_xor_b64 s[50:51], exec, s[50:51]
; %bb.37:                               ;   in Loop: Header=BB25_35 Depth=3
	v_add_u32_e32 v38, 1, v38
	v_and_b32_e32 v38, 7, v38
	s_mov_b64 s[48:49], -1
                                        ; implicit-def: $vgpr39
; %bb.38:                               ;   in Loop: Header=BB25_35 Depth=3
	s_andn2_saveexec_b64 s[50:51], s[50:51]
	s_cbranch_execz .LBB25_42
; %bb.39:                               ;   in Loop: Header=BB25_35 Depth=3
	v_mov_b32_e32 v40, s18
	ds_cmpst_rtn_b32 v39, v39, v40, v9
	s_mov_b64 s[52:53], -1
	s_waitcnt lgkmcnt(0)
	v_cmp_eq_u32_e32 vcc, s18, v39
	s_and_saveexec_b64 s[54:55], vcc
	s_cbranch_execz .LBB25_41
; %bb.40:                               ;   in Loop: Header=BB25_35 Depth=3
	v_lshl_add_u32 v39, v38, 5, v32
	ds_add_f64 v39, v[26:27]
	s_xor_b64 s[52:53], exec, -1
.LBB25_41:                              ;   in Loop: Header=BB25_35 Depth=3
	s_or_b64 exec, exec, s[54:55]
	s_andn2_b64 s[48:49], s[48:49], exec
	s_and_b64 s[52:53], s[52:53], exec
	s_or_b64 s[48:49], s[48:49], s[52:53]
.LBB25_42:                              ;   in Loop: Header=BB25_35 Depth=3
	s_or_b64 exec, exec, s[50:51]
	s_and_b64 s[48:49], s[48:49], exec
.LBB25_43:                              ;   in Loop: Header=BB25_35 Depth=3
	s_andn2_saveexec_b64 s[34:35], s[34:35]
	s_cbranch_execz .LBB25_34
; %bb.44:                               ;   in Loop: Header=BB25_35 Depth=3
	v_lshl_add_u32 v39, v38, 5, v32
	ds_add_f64 v39, v[26:27]
	s_andn2_b64 s[48:49], s[48:49], exec
	s_branch .LBB25_34
.LBB25_45:                              ;   in Loop: Header=BB25_21 Depth=2
	s_or_b64 exec, exec, s[24:25]
	v_mul_f64 v[24:25], v[10:11], v[24:25]
	v_fmac_f64_e32 v[24:25], v[12:13], v[22:23]
	s_mov_b64 s[24:25], 0
	v_mov_b32_e32 v22, v37
	s_branch .LBB25_47
.LBB25_46:                              ;   in Loop: Header=BB25_47 Depth=3
	s_or_b64 exec, exec, s[34:35]
	s_xor_b64 s[34:35], s[48:49], -1
	s_and_b64 s[34:35], exec, s[34:35]
	s_or_b64 s[24:25], s[34:35], s[24:25]
	s_andn2_b64 exec, exec, s[24:25]
	s_cbranch_execz .LBB25_57
.LBB25_47:                              ;   Parent Loop BB25_18 Depth=1
                                        ;     Parent Loop BB25_21 Depth=2
                                        ; =>    This Inner Loop Header: Depth=3
	v_lshl_add_u32 v23, v22, 2, v29
	ds_read_b32 v26, v23
                                        ; implicit-def: $sgpr48_sgpr49
	s_waitcnt lgkmcnt(0)
	v_cmp_ne_u32_e32 vcc, v26, v9
	s_and_saveexec_b64 s[34:35], vcc
	s_xor_b64 s[34:35], exec, s[34:35]
	s_cbranch_execz .LBB25_55
; %bb.48:                               ;   in Loop: Header=BB25_47 Depth=3
	v_cmp_ne_u32_e32 vcc, s18, v26
                                        ; implicit-def: $sgpr48_sgpr49
	s_and_saveexec_b64 s[50:51], vcc
	s_xor_b64 s[50:51], exec, s[50:51]
; %bb.49:                               ;   in Loop: Header=BB25_47 Depth=3
	v_add_u32_e32 v22, 1, v22
	v_and_b32_e32 v22, 7, v22
	s_mov_b64 s[48:49], -1
                                        ; implicit-def: $vgpr23
; %bb.50:                               ;   in Loop: Header=BB25_47 Depth=3
	s_andn2_saveexec_b64 s[50:51], s[50:51]
	s_cbranch_execz .LBB25_54
; %bb.51:                               ;   in Loop: Header=BB25_47 Depth=3
	v_mov_b32_e32 v26, s18
	ds_cmpst_rtn_b32 v23, v23, v26, v9
	s_mov_b64 s[52:53], -1
	s_waitcnt lgkmcnt(0)
	v_cmp_eq_u32_e32 vcc, s18, v23
	s_and_saveexec_b64 s[54:55], vcc
	s_cbranch_execz .LBB25_53
; %bb.52:                               ;   in Loop: Header=BB25_47 Depth=3
	v_lshl_add_u32 v23, v22, 5, v33
	ds_add_f64 v23, v[24:25]
	s_xor_b64 s[52:53], exec, -1
.LBB25_53:                              ;   in Loop: Header=BB25_47 Depth=3
	s_or_b64 exec, exec, s[54:55]
	s_andn2_b64 s[48:49], s[48:49], exec
	s_and_b64 s[52:53], s[52:53], exec
	s_or_b64 s[48:49], s[48:49], s[52:53]
.LBB25_54:                              ;   in Loop: Header=BB25_47 Depth=3
	s_or_b64 exec, exec, s[50:51]
	s_and_b64 s[48:49], s[48:49], exec
.LBB25_55:                              ;   in Loop: Header=BB25_47 Depth=3
	s_andn2_saveexec_b64 s[34:35], s[34:35]
	s_cbranch_execz .LBB25_46
; %bb.56:                               ;   in Loop: Header=BB25_47 Depth=3
	v_lshl_add_u32 v23, v22, 5, v33
	ds_add_f64 v23, v[24:25]
	s_andn2_b64 s[48:49], s[48:49], exec
	s_branch .LBB25_46
.LBB25_57:                              ;   in Loop: Header=BB25_21 Depth=2
	s_or_b64 exec, exec, s[24:25]
	v_mul_f64 v[20:21], v[10:11], v[20:21]
	v_fmac_f64_e32 v[20:21], v[12:13], v[18:19]
	s_mov_b64 s[24:25], 0
	s_branch .LBB25_59
.LBB25_58:                              ;   in Loop: Header=BB25_59 Depth=3
	s_or_b64 exec, exec, s[34:35]
	s_xor_b64 s[34:35], s[48:49], -1
	s_and_b64 s[34:35], exec, s[34:35]
	s_or_b64 s[24:25], s[34:35], s[24:25]
	s_andn2_b64 exec, exec, s[24:25]
	s_cbranch_execz .LBB25_20
.LBB25_59:                              ;   Parent Loop BB25_18 Depth=1
                                        ;     Parent Loop BB25_21 Depth=2
                                        ; =>    This Inner Loop Header: Depth=3
	v_lshl_add_u32 v18, v37, 2, v29
	ds_read_b32 v19, v18
                                        ; implicit-def: $sgpr48_sgpr49
	s_waitcnt lgkmcnt(0)
	v_cmp_ne_u32_e32 vcc, v19, v9
	s_and_saveexec_b64 s[34:35], vcc
	s_xor_b64 s[34:35], exec, s[34:35]
	s_cbranch_execz .LBB25_67
; %bb.60:                               ;   in Loop: Header=BB25_59 Depth=3
	v_cmp_ne_u32_e32 vcc, s18, v19
                                        ; implicit-def: $sgpr48_sgpr49
	s_and_saveexec_b64 s[50:51], vcc
	s_xor_b64 s[50:51], exec, s[50:51]
; %bb.61:                               ;   in Loop: Header=BB25_59 Depth=3
	v_add_u32_e32 v18, 1, v37
	v_and_b32_e32 v37, 7, v18
	s_mov_b64 s[48:49], -1
                                        ; implicit-def: $vgpr18
; %bb.62:                               ;   in Loop: Header=BB25_59 Depth=3
	s_andn2_saveexec_b64 s[50:51], s[50:51]
	s_cbranch_execz .LBB25_66
; %bb.63:                               ;   in Loop: Header=BB25_59 Depth=3
	v_mov_b32_e32 v19, s18
	ds_cmpst_rtn_b32 v18, v18, v19, v9
	s_mov_b64 s[52:53], -1
	s_waitcnt lgkmcnt(0)
	v_cmp_eq_u32_e32 vcc, s18, v18
	s_and_saveexec_b64 s[54:55], vcc
	s_cbranch_execz .LBB25_65
; %bb.64:                               ;   in Loop: Header=BB25_59 Depth=3
	v_lshl_add_u32 v18, v37, 5, v34
	ds_add_f64 v18, v[20:21]
	s_xor_b64 s[52:53], exec, -1
.LBB25_65:                              ;   in Loop: Header=BB25_59 Depth=3
	s_or_b64 exec, exec, s[54:55]
	s_andn2_b64 s[48:49], s[48:49], exec
	s_and_b64 s[52:53], s[52:53], exec
	s_or_b64 s[48:49], s[48:49], s[52:53]
.LBB25_66:                              ;   in Loop: Header=BB25_59 Depth=3
	s_or_b64 exec, exec, s[50:51]
	s_and_b64 s[48:49], s[48:49], exec
.LBB25_67:                              ;   in Loop: Header=BB25_59 Depth=3
	s_andn2_saveexec_b64 s[34:35], s[34:35]
	s_cbranch_execz .LBB25_58
; %bb.68:                               ;   in Loop: Header=BB25_59 Depth=3
	v_lshl_add_u32 v18, v37, 5, v34
	ds_add_f64 v18, v[20:21]
	s_andn2_b64 s[48:49], s[48:49], exec
	s_branch .LBB25_58
.LBB25_69:
	s_or_b64 exec, exec, s[4:5]
	s_andn2_b64 vcc, exec, s[2:3]
	s_waitcnt lgkmcnt(0)
	s_cbranch_vccnz .LBB25_13
.LBB25_70:
	v_lshlrev_b64 v[4:5], 2, v[0:1]
	v_mov_b32_e32 v6, s9
	v_add_co_u32_e32 v4, vcc, s8, v4
	v_addc_co_u32_e32 v5, vcc, v6, v5, vcc
	global_load_dwordx2 v[4:5], v[4:5], off
	v_subrev_u32_e32 v6, s39, v28
	s_waitcnt vmcnt(0)
	v_subrev_u32_e32 v14, s39, v5
	v_add_u32_e32 v4, v4, v6
	v_cmp_lt_i32_e32 vcc, v4, v14
	s_and_saveexec_b64 s[2:3], vcc
	s_cbranch_execz .LBB25_121
; %bb.71:
	s_cmp_eq_u32 s16, 0
	s_cselect_b32 s17, 1, 2
	s_cselect_b32 s19, 2, 1
	v_add_u32_e32 v15, 8, v30
	v_add_u32_e32 v16, 16, v30
	;; [unrolled: 1-line block ×3, first 2 shown]
	s_mov_b64 s[4:5], 0
	v_mov_b32_e32 v18, s13
	v_mov_b32_e32 v19, s11
	s_branch .LBB25_73
.LBB25_72:                              ;   in Loop: Header=BB25_73 Depth=1
	s_or_b64 exec, exec, s[6:7]
	v_add_u32_e32 v4, 16, v4
	v_cmp_ge_i32_e32 vcc, v4, v14
	s_or_b64 s[4:5], vcc, s[4:5]
	s_andn2_b64 exec, exec, s[4:5]
	s_cbranch_execz .LBB25_121
.LBB25_73:                              ; =>This Loop Header: Depth=1
                                        ;     Child Loop BB25_75 Depth 2
                                        ;     Child Loop BB25_87 Depth 2
                                        ;     Child Loop BB25_99 Depth 2
                                        ;     Child Loop BB25_111 Depth 2
	v_lshlrev_b32_e32 v6, 2, v4
	v_ashrrev_i32_e32 v7, 31, v6
	v_or_b32_e32 v8, s17, v6
	v_or_b32_e32 v10, s19, v6
	v_lshlrev_b64 v[6:7], 3, v[6:7]
	v_add_co_u32_e32 v12, vcc, s12, v6
	v_ashrrev_i32_e32 v9, 31, v8
	v_addc_co_u32_e32 v13, vcc, v18, v7, vcc
	v_lshlrev_b64 v[6:7], 3, v[8:9]
	v_add_co_u32_e32 v22, vcc, s12, v6
	v_ashrrev_i32_e32 v5, 31, v4
	v_addc_co_u32_e32 v23, vcc, v18, v7, vcc
	v_lshlrev_b64 v[8:9], 2, v[4:5]
	v_ashrrev_i32_e32 v11, 31, v10
	v_add_co_u32_e32 v8, vcc, s10, v8
	v_lshlrev_b64 v[6:7], 3, v[10:11]
	v_addc_co_u32_e32 v9, vcc, v19, v9, vcc
	global_load_dword v5, v[8:9], off
	v_add_co_u32_e32 v24, vcc, s12, v6
	global_load_dwordx2 v[20:21], v[12:13], off
	v_addc_co_u32_e32 v25, vcc, v18, v7, vcc
	global_load_dwordx2 v[8:9], v[24:25], off
	global_load_dwordx2 v[10:11], v[22:23], off
	global_load_dwordx2 v[6:7], v[12:13], off offset:24
	s_mov_b64 s[6:7], 0
	s_waitcnt vmcnt(4)
	v_subrev_u32_e32 v5, s39, v5
	s_waitcnt vmcnt(3)
	v_mul_f64 v[12:13], v[2:3], v[20:21]
	v_and_b32_e32 v20, 7, v5
	v_mov_b32_e32 v21, v20
	s_branch .LBB25_75
.LBB25_74:                              ;   in Loop: Header=BB25_75 Depth=2
	s_or_b64 exec, exec, s[8:9]
	s_xor_b64 s[8:9], s[20:21], -1
	s_and_b64 s[8:9], exec, s[8:9]
	s_or_b64 s[6:7], s[8:9], s[6:7]
	s_andn2_b64 exec, exec, s[6:7]
	s_cbranch_execz .LBB25_85
.LBB25_75:                              ;   Parent Loop BB25_73 Depth=1
                                        ; =>  This Inner Loop Header: Depth=2
	v_lshl_add_u32 v22, v21, 2, v29
	ds_read_b32 v23, v22
                                        ; implicit-def: $sgpr20_sgpr21
	s_waitcnt lgkmcnt(0)
	v_cmp_ne_u32_e32 vcc, v23, v5
	s_and_saveexec_b64 s[8:9], vcc
	s_xor_b64 s[8:9], exec, s[8:9]
	s_cbranch_execz .LBB25_83
; %bb.76:                               ;   in Loop: Header=BB25_75 Depth=2
	v_cmp_ne_u32_e32 vcc, s18, v23
                                        ; implicit-def: $sgpr20_sgpr21
	s_and_saveexec_b64 s[22:23], vcc
	s_xor_b64 s[22:23], exec, s[22:23]
; %bb.77:                               ;   in Loop: Header=BB25_75 Depth=2
	v_add_u32_e32 v21, 1, v21
	v_and_b32_e32 v21, 7, v21
	s_mov_b64 s[20:21], -1
                                        ; implicit-def: $vgpr22
; %bb.78:                               ;   in Loop: Header=BB25_75 Depth=2
	s_andn2_saveexec_b64 s[22:23], s[22:23]
	s_cbranch_execz .LBB25_82
; %bb.79:                               ;   in Loop: Header=BB25_75 Depth=2
	v_mov_b32_e32 v23, s18
	ds_cmpst_rtn_b32 v22, v22, v23, v5
	s_mov_b64 s[24:25], -1
	s_waitcnt lgkmcnt(0)
	v_cmp_eq_u32_e32 vcc, s18, v22
	s_and_saveexec_b64 s[26:27], vcc
	s_cbranch_execz .LBB25_81
; %bb.80:                               ;   in Loop: Header=BB25_75 Depth=2
	v_lshl_add_u32 v22, v21, 5, v30
	ds_add_f64 v22, v[12:13]
	s_xor_b64 s[24:25], exec, -1
.LBB25_81:                              ;   in Loop: Header=BB25_75 Depth=2
	s_or_b64 exec, exec, s[26:27]
	s_andn2_b64 s[20:21], s[20:21], exec
	s_and_b64 s[24:25], s[24:25], exec
	s_or_b64 s[20:21], s[20:21], s[24:25]
.LBB25_82:                              ;   in Loop: Header=BB25_75 Depth=2
	s_or_b64 exec, exec, s[22:23]
	s_and_b64 s[20:21], s[20:21], exec
.LBB25_83:                              ;   in Loop: Header=BB25_75 Depth=2
	s_andn2_saveexec_b64 s[8:9], s[8:9]
	s_cbranch_execz .LBB25_74
; %bb.84:                               ;   in Loop: Header=BB25_75 Depth=2
	v_lshl_add_u32 v22, v21, 5, v30
	ds_add_f64 v22, v[12:13]
	s_andn2_b64 s[20:21], s[20:21], exec
	s_branch .LBB25_74
.LBB25_85:                              ;   in Loop: Header=BB25_73 Depth=1
	s_or_b64 exec, exec, s[6:7]
	s_waitcnt vmcnt(1)
	v_mul_f64 v[10:11], v[2:3], v[10:11]
	s_mov_b64 s[6:7], 0
	v_mov_b32_e32 v12, v20
	s_branch .LBB25_87
.LBB25_86:                              ;   in Loop: Header=BB25_87 Depth=2
	s_or_b64 exec, exec, s[8:9]
	s_xor_b64 s[8:9], s[20:21], -1
	s_and_b64 s[8:9], exec, s[8:9]
	s_or_b64 s[6:7], s[8:9], s[6:7]
	s_andn2_b64 exec, exec, s[6:7]
	s_cbranch_execz .LBB25_97
.LBB25_87:                              ;   Parent Loop BB25_73 Depth=1
                                        ; =>  This Inner Loop Header: Depth=2
	v_lshl_add_u32 v13, v12, 2, v29
	ds_read_b32 v21, v13
                                        ; implicit-def: $sgpr20_sgpr21
	s_waitcnt lgkmcnt(0)
	v_cmp_ne_u32_e32 vcc, v21, v5
	s_and_saveexec_b64 s[8:9], vcc
	s_xor_b64 s[8:9], exec, s[8:9]
	s_cbranch_execz .LBB25_95
; %bb.88:                               ;   in Loop: Header=BB25_87 Depth=2
	v_cmp_ne_u32_e32 vcc, s18, v21
                                        ; implicit-def: $sgpr20_sgpr21
	s_and_saveexec_b64 s[22:23], vcc
	s_xor_b64 s[22:23], exec, s[22:23]
; %bb.89:                               ;   in Loop: Header=BB25_87 Depth=2
	v_add_u32_e32 v12, 1, v12
	v_and_b32_e32 v12, 7, v12
	s_mov_b64 s[20:21], -1
                                        ; implicit-def: $vgpr13
; %bb.90:                               ;   in Loop: Header=BB25_87 Depth=2
	s_andn2_saveexec_b64 s[22:23], s[22:23]
	s_cbranch_execz .LBB25_94
; %bb.91:                               ;   in Loop: Header=BB25_87 Depth=2
	v_mov_b32_e32 v21, s18
	ds_cmpst_rtn_b32 v13, v13, v21, v5
	s_mov_b64 s[24:25], -1
	s_waitcnt lgkmcnt(0)
	v_cmp_eq_u32_e32 vcc, s18, v13
	s_and_saveexec_b64 s[26:27], vcc
	s_cbranch_execz .LBB25_93
; %bb.92:                               ;   in Loop: Header=BB25_87 Depth=2
	v_lshl_add_u32 v13, v12, 5, v15
	ds_add_f64 v13, v[10:11]
	s_xor_b64 s[24:25], exec, -1
.LBB25_93:                              ;   in Loop: Header=BB25_87 Depth=2
	s_or_b64 exec, exec, s[26:27]
	s_andn2_b64 s[20:21], s[20:21], exec
	s_and_b64 s[24:25], s[24:25], exec
	s_or_b64 s[20:21], s[20:21], s[24:25]
.LBB25_94:                              ;   in Loop: Header=BB25_87 Depth=2
	s_or_b64 exec, exec, s[22:23]
	s_and_b64 s[20:21], s[20:21], exec
.LBB25_95:                              ;   in Loop: Header=BB25_87 Depth=2
	s_andn2_saveexec_b64 s[8:9], s[8:9]
	s_cbranch_execz .LBB25_86
; %bb.96:                               ;   in Loop: Header=BB25_87 Depth=2
	v_lshl_add_u32 v13, v12, 5, v15
	ds_add_f64 v13, v[10:11]
	s_andn2_b64 s[20:21], s[20:21], exec
	s_branch .LBB25_86
.LBB25_97:                              ;   in Loop: Header=BB25_73 Depth=1
	s_or_b64 exec, exec, s[6:7]
	v_mul_f64 v[8:9], v[2:3], v[8:9]
	s_mov_b64 s[6:7], 0
	v_mov_b32_e32 v10, v20
	s_branch .LBB25_99
.LBB25_98:                              ;   in Loop: Header=BB25_99 Depth=2
	s_or_b64 exec, exec, s[8:9]
	s_xor_b64 s[8:9], s[20:21], -1
	s_and_b64 s[8:9], exec, s[8:9]
	s_or_b64 s[6:7], s[8:9], s[6:7]
	s_andn2_b64 exec, exec, s[6:7]
	s_cbranch_execz .LBB25_109
.LBB25_99:                              ;   Parent Loop BB25_73 Depth=1
                                        ; =>  This Inner Loop Header: Depth=2
	v_lshl_add_u32 v11, v10, 2, v29
	ds_read_b32 v12, v11
                                        ; implicit-def: $sgpr20_sgpr21
	s_waitcnt lgkmcnt(0)
	v_cmp_ne_u32_e32 vcc, v12, v5
	s_and_saveexec_b64 s[8:9], vcc
	s_xor_b64 s[8:9], exec, s[8:9]
	s_cbranch_execz .LBB25_107
; %bb.100:                              ;   in Loop: Header=BB25_99 Depth=2
	v_cmp_ne_u32_e32 vcc, s18, v12
                                        ; implicit-def: $sgpr20_sgpr21
	s_and_saveexec_b64 s[22:23], vcc
	s_xor_b64 s[22:23], exec, s[22:23]
; %bb.101:                              ;   in Loop: Header=BB25_99 Depth=2
	v_add_u32_e32 v10, 1, v10
	v_and_b32_e32 v10, 7, v10
	s_mov_b64 s[20:21], -1
                                        ; implicit-def: $vgpr11
; %bb.102:                              ;   in Loop: Header=BB25_99 Depth=2
	s_andn2_saveexec_b64 s[22:23], s[22:23]
	s_cbranch_execz .LBB25_106
; %bb.103:                              ;   in Loop: Header=BB25_99 Depth=2
	v_mov_b32_e32 v12, s18
	ds_cmpst_rtn_b32 v11, v11, v12, v5
	s_mov_b64 s[24:25], -1
	s_waitcnt lgkmcnt(0)
	v_cmp_eq_u32_e32 vcc, s18, v11
	s_and_saveexec_b64 s[26:27], vcc
	s_cbranch_execz .LBB25_105
; %bb.104:                              ;   in Loop: Header=BB25_99 Depth=2
	v_lshl_add_u32 v11, v10, 5, v16
	ds_add_f64 v11, v[8:9]
	s_xor_b64 s[24:25], exec, -1
.LBB25_105:                             ;   in Loop: Header=BB25_99 Depth=2
	s_or_b64 exec, exec, s[26:27]
	s_andn2_b64 s[20:21], s[20:21], exec
	s_and_b64 s[24:25], s[24:25], exec
	s_or_b64 s[20:21], s[20:21], s[24:25]
.LBB25_106:                             ;   in Loop: Header=BB25_99 Depth=2
	s_or_b64 exec, exec, s[22:23]
	s_and_b64 s[20:21], s[20:21], exec
.LBB25_107:                             ;   in Loop: Header=BB25_99 Depth=2
	s_andn2_saveexec_b64 s[8:9], s[8:9]
	s_cbranch_execz .LBB25_98
; %bb.108:                              ;   in Loop: Header=BB25_99 Depth=2
	v_lshl_add_u32 v11, v10, 5, v16
	ds_add_f64 v11, v[8:9]
	s_andn2_b64 s[20:21], s[20:21], exec
	s_branch .LBB25_98
.LBB25_109:                             ;   in Loop: Header=BB25_73 Depth=1
	s_or_b64 exec, exec, s[6:7]
	s_waitcnt vmcnt(0)
	v_mul_f64 v[6:7], v[2:3], v[6:7]
	s_mov_b64 s[6:7], 0
	s_branch .LBB25_111
.LBB25_110:                             ;   in Loop: Header=BB25_111 Depth=2
	s_or_b64 exec, exec, s[8:9]
	s_xor_b64 s[8:9], s[20:21], -1
	s_and_b64 s[8:9], exec, s[8:9]
	s_or_b64 s[6:7], s[8:9], s[6:7]
	s_andn2_b64 exec, exec, s[6:7]
	s_cbranch_execz .LBB25_72
.LBB25_111:                             ;   Parent Loop BB25_73 Depth=1
                                        ; =>  This Inner Loop Header: Depth=2
	v_lshl_add_u32 v8, v20, 2, v29
	ds_read_b32 v9, v8
                                        ; implicit-def: $sgpr20_sgpr21
	s_waitcnt lgkmcnt(0)
	v_cmp_ne_u32_e32 vcc, v9, v5
	s_and_saveexec_b64 s[8:9], vcc
	s_xor_b64 s[8:9], exec, s[8:9]
	s_cbranch_execz .LBB25_119
; %bb.112:                              ;   in Loop: Header=BB25_111 Depth=2
	v_cmp_ne_u32_e32 vcc, s18, v9
                                        ; implicit-def: $sgpr20_sgpr21
	s_and_saveexec_b64 s[22:23], vcc
	s_xor_b64 s[22:23], exec, s[22:23]
; %bb.113:                              ;   in Loop: Header=BB25_111 Depth=2
	v_add_u32_e32 v8, 1, v20
	v_and_b32_e32 v20, 7, v8
	s_mov_b64 s[20:21], -1
                                        ; implicit-def: $vgpr8
; %bb.114:                              ;   in Loop: Header=BB25_111 Depth=2
	s_andn2_saveexec_b64 s[22:23], s[22:23]
	s_cbranch_execz .LBB25_118
; %bb.115:                              ;   in Loop: Header=BB25_111 Depth=2
	v_mov_b32_e32 v9, s18
	ds_cmpst_rtn_b32 v8, v8, v9, v5
	s_mov_b64 s[24:25], -1
	s_waitcnt lgkmcnt(0)
	v_cmp_eq_u32_e32 vcc, s18, v8
	s_and_saveexec_b64 s[26:27], vcc
	s_cbranch_execz .LBB25_117
; %bb.116:                              ;   in Loop: Header=BB25_111 Depth=2
	v_lshl_add_u32 v8, v20, 5, v17
	ds_add_f64 v8, v[6:7]
	s_xor_b64 s[24:25], exec, -1
.LBB25_117:                             ;   in Loop: Header=BB25_111 Depth=2
	s_or_b64 exec, exec, s[26:27]
	s_andn2_b64 s[20:21], s[20:21], exec
	s_and_b64 s[24:25], s[24:25], exec
	s_or_b64 s[20:21], s[20:21], s[24:25]
.LBB25_118:                             ;   in Loop: Header=BB25_111 Depth=2
	s_or_b64 exec, exec, s[22:23]
	s_and_b64 s[20:21], s[20:21], exec
.LBB25_119:                             ;   in Loop: Header=BB25_111 Depth=2
	s_andn2_saveexec_b64 s[8:9], s[8:9]
	s_cbranch_execz .LBB25_110
; %bb.120:                              ;   in Loop: Header=BB25_111 Depth=2
	v_lshl_add_u32 v8, v20, 5, v17
	ds_add_f64 v8, v[6:7]
	s_andn2_b64 s[20:21], s[20:21], exec
	s_branch .LBB25_110
.LBB25_121:
	s_or_b64 exec, exec, s[2:3]
	s_waitcnt lgkmcnt(0)
	s_and_b64 exec, exec, s[0:1]
	s_cbranch_execz .LBB25_14
.LBB25_122:
	v_lshl_add_u32 v2, v28, 2, v29
	ds_read_b32 v2, v2
	s_waitcnt lgkmcnt(0)
	v_cmp_gt_i32_e32 vcc, s18, v2
	s_and_b64 exec, exec, vcc
	s_cbranch_execz .LBB25_14
; %bb.123:
	v_lshlrev_b64 v[0:1], 2, v[0:1]
	v_mov_b32_e32 v3, s15
	v_add_co_u32_e32 v0, vcc, s14, v0
	v_addc_co_u32_e32 v1, vcc, v3, v1, vcc
	global_load_dword v0, v[0:1], off
	ds_read_b128 v[4:7], v29
	ds_read_b128 v[8:11], v29 offset:16
	v_lshl_add_u32 v3, v28, 5, v30
	ds_read2_b64 v[12:15], v3 offset1:3
	s_cmp_eq_u32 s16, 0
	s_waitcnt lgkmcnt(2)
	v_cmp_gt_i32_e32 vcc, v2, v4
	v_cndmask_b32_e64 v4, 0, 1, vcc
	v_cmp_gt_i32_e32 vcc, v2, v6
	v_cndmask_b32_e64 v6, 0, 1, vcc
	s_waitcnt lgkmcnt(1)
	v_cmp_gt_i32_e32 vcc, v2, v8
	v_cndmask_b32_e64 v8, 0, 1, vcc
	v_cmp_gt_i32_e32 vcc, v2, v10
	v_cndmask_b32_e64 v10, 0, 1, vcc
	v_cmp_gt_i32_e32 vcc, v2, v5
	v_lshlrev_b32_e32 v1, 2, v28
	s_cselect_b32 s0, 1, 2
	s_cselect_b32 s1, 2, 1
	v_or_b32_e32 v3, s0, v1
	v_or_b32_e32 v1, s1, v1
	v_lshl_add_u32 v3, v3, 3, v30
	v_lshl_add_u32 v1, v1, 3, v30
	s_waitcnt lgkmcnt(0)
	v_mov_b32_e32 v16, v12
	v_mov_b32_e32 v17, v13
	ds_read_b64 v[18:19], v3
	ds_read_b64 v[12:13], v1
	v_add_u32_e32 v20, s38, v2
	v_mov_b32_e32 v21, s41
	v_mov_b32_e32 v22, s43
	s_waitcnt vmcnt(0)
	v_subrev_u32_e32 v0, s38, v0
	v_addc_co_u32_e32 v0, vcc, v0, v4, vcc
	v_cmp_gt_i32_e32 vcc, v2, v7
	v_addc_co_u32_e32 v0, vcc, v0, v6, vcc
	v_cmp_gt_i32_e32 vcc, v2, v9
	;; [unrolled: 2-line block ×3, first 2 shown]
	v_addc_co_u32_e32 v0, vcc, v0, v10, vcc
	v_ashrrev_i32_e32 v1, 31, v0
	v_lshlrev_b32_e32 v2, 2, v0
	v_lshlrev_b64 v[0:1], 2, v[0:1]
	v_ashrrev_i32_e32 v3, 31, v2
	v_add_co_u32_e32 v0, vcc, s40, v0
	v_addc_co_u32_e32 v1, vcc, v21, v1, vcc
	v_lshlrev_b64 v[2:3], 3, v[2:3]
	global_store_dword v[0:1], v20, off
	v_add_co_u32_e32 v0, vcc, s42, v2
	v_addc_co_u32_e32 v1, vcc, v22, v3, vcc
	s_waitcnt lgkmcnt(1)
	global_store_dwordx4 v[0:1], v[16:19], off
	s_waitcnt lgkmcnt(0)
	global_store_dwordx4 v[0:1], v[12:15], off offset:16
	s_endpgm
	.section	.rodata,"a",@progbits
	.p2align	6, 0x0
	.amdhsa_kernel _ZN9rocsparseL27bsrgemm_fill_wf_per_row_2x2ILj256ELj16ELj8ELj137EiidEEv20rocsparse_direction_T4_S2_PKS2_S4_NS_24const_host_device_scalarIT5_EEPKT3_S4_PKS6_SA_S4_SC_S7_SA_S4_SC_SA_PS2_PS6_21rocsparse_index_base_SF_SF_SF_bbb
		.amdhsa_group_segment_fixed_size 4608
		.amdhsa_private_segment_fixed_size 0
		.amdhsa_kernarg_size 164
		.amdhsa_user_sgpr_count 6
		.amdhsa_user_sgpr_private_segment_buffer 1
		.amdhsa_user_sgpr_dispatch_ptr 0
		.amdhsa_user_sgpr_queue_ptr 0
		.amdhsa_user_sgpr_kernarg_segment_ptr 1
		.amdhsa_user_sgpr_dispatch_id 0
		.amdhsa_user_sgpr_flat_scratch_init 0
		.amdhsa_user_sgpr_kernarg_preload_length 0
		.amdhsa_user_sgpr_kernarg_preload_offset 0
		.amdhsa_user_sgpr_private_segment_size 0
		.amdhsa_uses_dynamic_stack 0
		.amdhsa_system_sgpr_private_segment_wavefront_offset 0
		.amdhsa_system_sgpr_workgroup_id_x 1
		.amdhsa_system_sgpr_workgroup_id_y 0
		.amdhsa_system_sgpr_workgroup_id_z 0
		.amdhsa_system_sgpr_workgroup_info 0
		.amdhsa_system_vgpr_workitem_id 0
		.amdhsa_next_free_vgpr 41
		.amdhsa_next_free_sgpr 56
		.amdhsa_accum_offset 44
		.amdhsa_reserve_vcc 1
		.amdhsa_reserve_flat_scratch 0
		.amdhsa_float_round_mode_32 0
		.amdhsa_float_round_mode_16_64 0
		.amdhsa_float_denorm_mode_32 3
		.amdhsa_float_denorm_mode_16_64 3
		.amdhsa_dx10_clamp 1
		.amdhsa_ieee_mode 1
		.amdhsa_fp16_overflow 0
		.amdhsa_tg_split 0
		.amdhsa_exception_fp_ieee_invalid_op 0
		.amdhsa_exception_fp_denorm_src 0
		.amdhsa_exception_fp_ieee_div_zero 0
		.amdhsa_exception_fp_ieee_overflow 0
		.amdhsa_exception_fp_ieee_underflow 0
		.amdhsa_exception_fp_ieee_inexact 0
		.amdhsa_exception_int_div_zero 0
	.end_amdhsa_kernel
	.section	.text._ZN9rocsparseL27bsrgemm_fill_wf_per_row_2x2ILj256ELj16ELj8ELj137EiidEEv20rocsparse_direction_T4_S2_PKS2_S4_NS_24const_host_device_scalarIT5_EEPKT3_S4_PKS6_SA_S4_SC_S7_SA_S4_SC_SA_PS2_PS6_21rocsparse_index_base_SF_SF_SF_bbb,"axG",@progbits,_ZN9rocsparseL27bsrgemm_fill_wf_per_row_2x2ILj256ELj16ELj8ELj137EiidEEv20rocsparse_direction_T4_S2_PKS2_S4_NS_24const_host_device_scalarIT5_EEPKT3_S4_PKS6_SA_S4_SC_S7_SA_S4_SC_SA_PS2_PS6_21rocsparse_index_base_SF_SF_SF_bbb,comdat
.Lfunc_end25:
	.size	_ZN9rocsparseL27bsrgemm_fill_wf_per_row_2x2ILj256ELj16ELj8ELj137EiidEEv20rocsparse_direction_T4_S2_PKS2_S4_NS_24const_host_device_scalarIT5_EEPKT3_S4_PKS6_SA_S4_SC_S7_SA_S4_SC_SA_PS2_PS6_21rocsparse_index_base_SF_SF_SF_bbb, .Lfunc_end25-_ZN9rocsparseL27bsrgemm_fill_wf_per_row_2x2ILj256ELj16ELj8ELj137EiidEEv20rocsparse_direction_T4_S2_PKS2_S4_NS_24const_host_device_scalarIT5_EEPKT3_S4_PKS6_SA_S4_SC_S7_SA_S4_SC_SA_PS2_PS6_21rocsparse_index_base_SF_SF_SF_bbb
                                        ; -- End function
	.section	.AMDGPU.csdata,"",@progbits
; Kernel info:
; codeLenInByte = 3476
; NumSgprs: 60
; NumVgprs: 41
; NumAgprs: 0
; TotalNumVgprs: 41
; ScratchSize: 0
; MemoryBound: 0
; FloatMode: 240
; IeeeMode: 1
; LDSByteSize: 4608 bytes/workgroup (compile time only)
; SGPRBlocks: 7
; VGPRBlocks: 5
; NumSGPRsForWavesPerEU: 60
; NumVGPRsForWavesPerEU: 41
; AccumOffset: 44
; Occupancy: 8
; WaveLimiterHint : 1
; COMPUTE_PGM_RSRC2:SCRATCH_EN: 0
; COMPUTE_PGM_RSRC2:USER_SGPR: 6
; COMPUTE_PGM_RSRC2:TRAP_HANDLER: 0
; COMPUTE_PGM_RSRC2:TGID_X_EN: 1
; COMPUTE_PGM_RSRC2:TGID_Y_EN: 0
; COMPUTE_PGM_RSRC2:TGID_Z_EN: 0
; COMPUTE_PGM_RSRC2:TIDIG_COMP_CNT: 0
; COMPUTE_PGM_RSRC3_GFX90A:ACCUM_OFFSET: 10
; COMPUTE_PGM_RSRC3_GFX90A:TG_SPLIT: 0
	.section	.text._ZN9rocsparseL27bsrgemm_fill_wf_per_row_2x2ILj256ELj16ELj16ELj137EiidEEv20rocsparse_direction_T4_S2_PKS2_S4_NS_24const_host_device_scalarIT5_EEPKT3_S4_PKS6_SA_S4_SC_S7_SA_S4_SC_SA_PS2_PS6_21rocsparse_index_base_SF_SF_SF_bbb,"axG",@progbits,_ZN9rocsparseL27bsrgemm_fill_wf_per_row_2x2ILj256ELj16ELj16ELj137EiidEEv20rocsparse_direction_T4_S2_PKS2_S4_NS_24const_host_device_scalarIT5_EEPKT3_S4_PKS6_SA_S4_SC_S7_SA_S4_SC_SA_PS2_PS6_21rocsparse_index_base_SF_SF_SF_bbb,comdat
	.globl	_ZN9rocsparseL27bsrgemm_fill_wf_per_row_2x2ILj256ELj16ELj16ELj137EiidEEv20rocsparse_direction_T4_S2_PKS2_S4_NS_24const_host_device_scalarIT5_EEPKT3_S4_PKS6_SA_S4_SC_S7_SA_S4_SC_SA_PS2_PS6_21rocsparse_index_base_SF_SF_SF_bbb ; -- Begin function _ZN9rocsparseL27bsrgemm_fill_wf_per_row_2x2ILj256ELj16ELj16ELj137EiidEEv20rocsparse_direction_T4_S2_PKS2_S4_NS_24const_host_device_scalarIT5_EEPKT3_S4_PKS6_SA_S4_SC_S7_SA_S4_SC_SA_PS2_PS6_21rocsparse_index_base_SF_SF_SF_bbb
	.p2align	8
	.type	_ZN9rocsparseL27bsrgemm_fill_wf_per_row_2x2ILj256ELj16ELj16ELj137EiidEEv20rocsparse_direction_T4_S2_PKS2_S4_NS_24const_host_device_scalarIT5_EEPKT3_S4_PKS6_SA_S4_SC_S7_SA_S4_SC_SA_PS2_PS6_21rocsparse_index_base_SF_SF_SF_bbb,@function
_ZN9rocsparseL27bsrgemm_fill_wf_per_row_2x2ILj256ELj16ELj16ELj137EiidEEv20rocsparse_direction_T4_S2_PKS2_S4_NS_24const_host_device_scalarIT5_EEPKT3_S4_PKS6_SA_S4_SC_S7_SA_S4_SC_SA_PS2_PS6_21rocsparse_index_base_SF_SF_SF_bbb: ; @_ZN9rocsparseL27bsrgemm_fill_wf_per_row_2x2ILj256ELj16ELj16ELj137EiidEEv20rocsparse_direction_T4_S2_PKS2_S4_NS_24const_host_device_scalarIT5_EEPKT3_S4_PKS6_SA_S4_SC_S7_SA_S4_SC_SA_PS2_PS6_21rocsparse_index_base_SF_SF_SF_bbb
; %bb.0:
	s_load_dword s7, s[4:5], 0xa0
	s_load_dwordx4 s[0:3], s[4:5], 0x90
	s_load_dwordx2 s[8:9], s[4:5], 0x20
	s_load_dwordx2 s[28:29], s[4:5], 0x58
	s_waitcnt lgkmcnt(0)
	s_and_b32 s10, 1, s7
	s_bitcmp1_b32 s7, 16
	s_cselect_b64 s[30:31], -1, 0
	s_cmp_eq_u32 s10, 1
	s_cselect_b64 s[44:45], -1, 0
	s_and_b64 s[10:11], s[44:45], exec
	s_cselect_b32 s11, s9, 0
	s_cselect_b32 s10, s8, 0
	s_xor_b64 s[12:13], s[44:45], -1
	s_or_b64 s[12:13], s[12:13], s[30:31]
	s_and_b64 vcc, exec, s[12:13]
	v_pk_mov_b32 v[4:5], s[10:11], s[10:11] op_sel:[0,1]
	s_cbranch_vccnz .LBB26_2
; %bb.1:
	v_pk_mov_b32 v[2:3], s[8:9], s[8:9] op_sel:[0,1]
	flat_load_dwordx2 v[4:5], v[2:3]
.LBB26_2:
	s_load_dwordx4 s[24:27], s[4:5], 0x80
	s_load_dwordx8 s[8:15], s[4:5], 0x60
	s_load_dwordx4 s[36:39], s[4:5], 0x48
	s_load_dwordx4 s[40:43], s[4:5], 0x10
	s_load_dwordx8 s[16:23], s[4:5], 0x28
	s_bitcmp1_b32 s7, 8
	s_cselect_b64 s[34:35], -1, 0
	s_and_b64 s[46:47], s[34:35], exec
	s_cselect_b32 s47, s29, 0
	s_cselect_b32 s46, s28, 0
	s_xor_b64 s[48:49], s[34:35], -1
	s_or_b64 s[30:31], s[48:49], s[30:31]
	s_and_b64 vcc, exec, s[30:31]
	v_pk_mov_b32 v[2:3], s[46:47], s[46:47] op_sel:[0,1]
	s_cbranch_vccnz .LBB26_4
; %bb.3:
	v_pk_mov_b32 v[2:3], s[28:29], s[28:29] op_sel:[0,1]
	flat_load_dwordx2 v[2:3], v[2:3]
.LBB26_4:
	s_load_dwordx4 s[28:31], s[4:5], 0x0
	v_and_b32_e32 v28, 15, v0
	v_lshrrev_b32_e32 v6, 4, v0
	v_and_b32_e32 v0, 0xf0, v0
	v_mov_b32_e32 v1, 0x2000
	v_lshl_or_b32 v30, v0, 2, v1
	v_lshl_or_b32 v31, v28, 2, v30
	s_waitcnt lgkmcnt(0)
	v_mov_b32_e32 v0, s30
	ds_write_b32 v31, v0
	v_lshlrev_b32_e32 v0, 3, v28
	v_lshl_or_b32 v8, v6, 9, v0
	v_mov_b32_e32 v0, 0
	v_or_b32_e32 v7, -16, v28
	s_mov_b64 s[4:5], 0
	v_mov_b32_e32 v1, v0
.LBB26_5:                               ; =>This Inner Loop Header: Depth=1
	v_add_u32_e32 v7, 16, v7
	v_cmp_lt_u32_e32 vcc, 47, v7
	ds_write_b64 v8, v[0:1]
	s_or_b64 s[4:5], vcc, s[4:5]
	v_add_u32_e32 v8, 0x80, v8
	s_andn2_b64 exec, exec, s[4:5]
	s_cbranch_execnz .LBB26_5
; %bb.6:
	s_or_b64 exec, exec, s[4:5]
	v_lshl_or_b32 v0, s6, 4, v6
	v_cmp_gt_i32_e32 vcc, s29, v0
	s_waitcnt lgkmcnt(0)
	s_barrier
	s_and_saveexec_b64 s[4:5], vcc
	s_cbranch_execz .LBB26_120
; %bb.7:
	s_cmp_eq_u64 s[42:43], 0
	s_cbranch_scc1 .LBB26_9
; %bb.8:
	s_load_dword s4, s[40:41], 0x0
	v_mov_b32_e32 v7, s43
	s_waitcnt lgkmcnt(0)
	v_add_u32_e32 v0, s4, v0
	v_ashrrev_i32_e32 v1, 31, v0
	v_lshlrev_b64 v[0:1], 2, v[0:1]
	v_add_co_u32_e32 v0, vcc, s42, v0
	v_addc_co_u32_e32 v1, vcc, v7, v1, vcc
	global_load_dword v0, v[0:1], off
.LBB26_9:
	s_waitcnt vmcnt(0)
	v_ashrrev_i32_e32 v1, 31, v0
	v_lshlrev_b32_e32 v29, 9, v6
	s_andn2_b64 vcc, exec, s[44:45]
	v_lshlrev_b64 v[0:1], 2, v[0:1]
	s_cbranch_vccnz .LBB26_65
; %bb.10:
	v_mov_b32_e32 v7, s17
	v_add_co_u32_e32 v6, vcc, s16, v0
	v_addc_co_u32_e32 v7, vcc, v7, v1, vcc
	global_load_dwordx2 v[6:7], v[6:7], off
	v_subrev_u32_e32 v8, s0, v28
	s_waitcnt vmcnt(0)
	v_subrev_u32_e32 v32, s0, v7
	v_add_u32_e32 v6, v6, v8
	v_cmp_lt_i32_e32 vcc, v6, v32
	s_and_saveexec_b64 s[4:5], vcc
	s_cbranch_execz .LBB26_64
; %bb.11:
	s_cmp_eq_u32 s28, 0
	s_cselect_b32 s29, 1, 2
	s_cselect_b32 s31, 2, 1
	v_add_u32_e32 v33, 8, v29
	v_add_u32_e32 v34, 16, v29
	;; [unrolled: 1-line block ×3, first 2 shown]
	s_mov_b64 s[6:7], 0
	v_mov_b32_e32 v36, s19
	v_mov_b32_e32 v37, s23
	s_branch .LBB26_13
.LBB26_12:                              ;   in Loop: Header=BB26_13 Depth=1
	s_or_b64 exec, exec, s[16:17]
	v_add_u32_e32 v6, 16, v6
	v_cmp_ge_i32_e32 vcc, v6, v32
	s_or_b64 s[6:7], vcc, s[6:7]
	s_andn2_b64 exec, exec, s[6:7]
	s_cbranch_execz .LBB26_64
.LBB26_13:                              ; =>This Loop Header: Depth=1
                                        ;     Child Loop BB26_16 Depth 2
                                        ;       Child Loop BB26_18 Depth 3
                                        ;       Child Loop BB26_30 Depth 3
	;; [unrolled: 1-line block ×4, first 2 shown]
	v_ashrrev_i32_e32 v7, 31, v6
	v_lshlrev_b64 v[8:9], 2, v[6:7]
	v_add_co_u32_e32 v8, vcc, s18, v8
	v_addc_co_u32_e32 v9, vcc, v36, v9, vcc
	global_load_dword v7, v[8:9], off
	s_waitcnt vmcnt(0)
	v_subrev_u32_e32 v8, s0, v7
	v_ashrrev_i32_e32 v9, 31, v8
	v_lshlrev_b64 v[8:9], 2, v[8:9]
	v_add_co_u32_e32 v8, vcc, s22, v8
	v_addc_co_u32_e32 v9, vcc, v37, v9, vcc
	global_load_dwordx2 v[8:9], v[8:9], off
	s_waitcnt vmcnt(0)
	v_cmp_lt_i32_e32 vcc, v8, v9
	s_and_saveexec_b64 s[16:17], vcc
	s_cbranch_execz .LBB26_12
; %bb.14:                               ;   in Loop: Header=BB26_13 Depth=1
	v_lshlrev_b32_e32 v10, 2, v6
	v_ashrrev_i32_e32 v11, 31, v10
	v_or_b32_e32 v12, s29, v10
	v_or_b32_e32 v14, s31, v10
	v_lshlrev_b64 v[10:11], 3, v[10:11]
	v_mov_b32_e32 v7, s21
	v_add_co_u32_e32 v10, vcc, s20, v10
	v_ashrrev_i32_e32 v15, 31, v14
	v_addc_co_u32_e32 v11, vcc, v7, v11, vcc
	v_lshlrev_b64 v[14:15], 3, v[14:15]
	v_add_co_u32_e32 v14, vcc, s20, v14
	v_ashrrev_i32_e32 v13, 31, v12
	v_addc_co_u32_e32 v15, vcc, v7, v15, vcc
	v_lshlrev_b64 v[12:13], 3, v[12:13]
	v_add_co_u32_e32 v12, vcc, s20, v12
	v_addc_co_u32_e32 v13, vcc, v7, v13, vcc
	global_load_dwordx2 v[16:17], v[10:11], off offset:24
	global_load_dwordx2 v[18:19], v[14:15], off
	global_load_dwordx2 v[20:21], v[12:13], off
	;; [unrolled: 1-line block ×3, first 2 shown]
	v_subrev_u32_e32 v7, s1, v9
	v_subrev_u32_e32 v8, s1, v8
	s_mov_b64 s[40:41], 0
	s_waitcnt vmcnt(3)
	v_mul_f64 v[10:11], v[4:5], v[16:17]
	s_waitcnt vmcnt(2)
	v_mul_f64 v[12:13], v[4:5], v[18:19]
	;; [unrolled: 2-line block ×4, first 2 shown]
	s_branch .LBB26_16
.LBB26_15:                              ;   in Loop: Header=BB26_16 Depth=2
	s_or_b64 exec, exec, s[42:43]
	v_add_u32_e32 v8, 1, v8
	v_cmp_ge_i32_e32 vcc, v8, v7
	s_or_b64 s[40:41], vcc, s[40:41]
	s_andn2_b64 exec, exec, s[40:41]
	s_cbranch_execz .LBB26_12
.LBB26_16:                              ;   Parent Loop BB26_13 Depth=1
                                        ; =>  This Loop Header: Depth=2
                                        ;       Child Loop BB26_18 Depth 3
                                        ;       Child Loop BB26_30 Depth 3
	;; [unrolled: 1-line block ×4, first 2 shown]
	v_ashrrev_i32_e32 v9, 31, v8
	v_lshlrev_b64 v[18:19], 2, v[8:9]
	v_mov_b32_e32 v9, s37
	v_add_co_u32_e32 v18, vcc, s36, v18
	v_addc_co_u32_e32 v19, vcc, v9, v19, vcc
	global_load_dword v9, v[18:19], off
	v_lshlrev_b32_e32 v18, 2, v8
	v_ashrrev_i32_e32 v19, 31, v18
	v_or_b32_e32 v20, s29, v18
	v_or_b32_e32 v24, s31, v18
	v_lshlrev_b64 v[18:19], 3, v[18:19]
	v_mov_b32_e32 v39, s39
	v_add_co_u32_e32 v26, vcc, s38, v18
	v_ashrrev_i32_e32 v21, 31, v20
	v_ashrrev_i32_e32 v25, 31, v24
	v_addc_co_u32_e32 v27, vcc, v39, v19, vcc
	v_lshlrev_b64 v[18:19], 3, v[20:21]
	v_lshlrev_b64 v[20:21], 3, v[24:25]
	v_add_co_u32_e32 v20, vcc, s38, v20
	v_addc_co_u32_e32 v21, vcc, v39, v21, vcc
	global_load_dwordx2 v[22:23], v[26:27], off
	global_load_dwordx2 v[24:25], v[20:21], off
	v_add_co_u32_e32 v38, vcc, s38, v18
	v_addc_co_u32_e32 v39, vcc, v39, v19, vcc
	global_load_dwordx2 v[18:19], v[38:39], off
	global_load_dwordx2 v[20:21], v[26:27], off offset:24
	s_mov_b64 s[42:43], 0
	s_waitcnt vmcnt(4)
	v_subrev_u32_e32 v9, s1, v9
	v_lshl_add_u32 v38, v9, 3, v9
	v_and_b32_e32 v38, 15, v38
	v_mov_b32_e32 v39, v38
	s_waitcnt vmcnt(2)
	v_mul_f64 v[26:27], v[16:17], v[24:25]
	v_fmac_f64_e32 v[26:27], v[14:15], v[22:23]
	s_branch .LBB26_18
.LBB26_17:                              ;   in Loop: Header=BB26_18 Depth=3
	s_or_b64 exec, exec, s[44:45]
	s_xor_b64 s[44:45], s[46:47], -1
	s_and_b64 s[44:45], exec, s[44:45]
	s_or_b64 s[42:43], s[44:45], s[42:43]
	s_andn2_b64 exec, exec, s[42:43]
	s_cbranch_execz .LBB26_28
.LBB26_18:                              ;   Parent Loop BB26_13 Depth=1
                                        ;     Parent Loop BB26_16 Depth=2
                                        ; =>    This Inner Loop Header: Depth=3
	v_lshl_add_u32 v40, v39, 2, v30
	ds_read_b32 v41, v40
                                        ; implicit-def: $sgpr46_sgpr47
	s_waitcnt lgkmcnt(0)
	v_cmp_ne_u32_e32 vcc, v41, v9
	s_and_saveexec_b64 s[44:45], vcc
	s_xor_b64 s[44:45], exec, s[44:45]
	s_cbranch_execz .LBB26_26
; %bb.19:                               ;   in Loop: Header=BB26_18 Depth=3
	v_cmp_ne_u32_e32 vcc, s30, v41
                                        ; implicit-def: $sgpr46_sgpr47
	s_and_saveexec_b64 s[48:49], vcc
	s_xor_b64 s[48:49], exec, s[48:49]
; %bb.20:                               ;   in Loop: Header=BB26_18 Depth=3
	v_add_u32_e32 v39, 1, v39
	v_and_b32_e32 v39, 15, v39
	s_mov_b64 s[46:47], -1
                                        ; implicit-def: $vgpr40
; %bb.21:                               ;   in Loop: Header=BB26_18 Depth=3
	s_andn2_saveexec_b64 s[48:49], s[48:49]
	s_cbranch_execz .LBB26_25
; %bb.22:                               ;   in Loop: Header=BB26_18 Depth=3
	v_mov_b32_e32 v41, s30
	ds_cmpst_rtn_b32 v40, v40, v41, v9
	s_mov_b64 s[50:51], -1
	s_waitcnt lgkmcnt(0)
	v_cmp_eq_u32_e32 vcc, s30, v40
	s_and_saveexec_b64 s[52:53], vcc
	s_cbranch_execz .LBB26_24
; %bb.23:                               ;   in Loop: Header=BB26_18 Depth=3
	v_lshl_add_u32 v40, v39, 5, v29
	ds_add_f64 v40, v[26:27]
	s_xor_b64 s[50:51], exec, -1
.LBB26_24:                              ;   in Loop: Header=BB26_18 Depth=3
	s_or_b64 exec, exec, s[52:53]
	s_andn2_b64 s[46:47], s[46:47], exec
	s_and_b64 s[50:51], s[50:51], exec
	s_or_b64 s[46:47], s[46:47], s[50:51]
.LBB26_25:                              ;   in Loop: Header=BB26_18 Depth=3
	s_or_b64 exec, exec, s[48:49]
	s_and_b64 s[46:47], s[46:47], exec
.LBB26_26:                              ;   in Loop: Header=BB26_18 Depth=3
	s_andn2_saveexec_b64 s[44:45], s[44:45]
	s_cbranch_execz .LBB26_17
; %bb.27:                               ;   in Loop: Header=BB26_18 Depth=3
	v_lshl_add_u32 v40, v39, 5, v29
	ds_add_f64 v40, v[26:27]
	s_andn2_b64 s[46:47], s[46:47], exec
	s_branch .LBB26_17
.LBB26_28:                              ;   in Loop: Header=BB26_16 Depth=2
	s_or_b64 exec, exec, s[42:43]
	s_waitcnt vmcnt(0)
	v_mul_f64 v[26:27], v[16:17], v[20:21]
	v_fmac_f64_e32 v[26:27], v[14:15], v[18:19]
	s_mov_b64 s[42:43], 0
	v_mov_b32_e32 v39, v38
	s_branch .LBB26_30
.LBB26_29:                              ;   in Loop: Header=BB26_30 Depth=3
	s_or_b64 exec, exec, s[44:45]
	s_xor_b64 s[44:45], s[46:47], -1
	s_and_b64 s[44:45], exec, s[44:45]
	s_or_b64 s[42:43], s[44:45], s[42:43]
	s_andn2_b64 exec, exec, s[42:43]
	s_cbranch_execz .LBB26_40
.LBB26_30:                              ;   Parent Loop BB26_13 Depth=1
                                        ;     Parent Loop BB26_16 Depth=2
                                        ; =>    This Inner Loop Header: Depth=3
	v_lshl_add_u32 v40, v39, 2, v30
	ds_read_b32 v41, v40
                                        ; implicit-def: $sgpr46_sgpr47
	s_waitcnt lgkmcnt(0)
	v_cmp_ne_u32_e32 vcc, v41, v9
	s_and_saveexec_b64 s[44:45], vcc
	s_xor_b64 s[44:45], exec, s[44:45]
	s_cbranch_execz .LBB26_38
; %bb.31:                               ;   in Loop: Header=BB26_30 Depth=3
	v_cmp_ne_u32_e32 vcc, s30, v41
                                        ; implicit-def: $sgpr46_sgpr47
	s_and_saveexec_b64 s[48:49], vcc
	s_xor_b64 s[48:49], exec, s[48:49]
; %bb.32:                               ;   in Loop: Header=BB26_30 Depth=3
	v_add_u32_e32 v39, 1, v39
	v_and_b32_e32 v39, 15, v39
	s_mov_b64 s[46:47], -1
                                        ; implicit-def: $vgpr40
; %bb.33:                               ;   in Loop: Header=BB26_30 Depth=3
	s_andn2_saveexec_b64 s[48:49], s[48:49]
	s_cbranch_execz .LBB26_37
; %bb.34:                               ;   in Loop: Header=BB26_30 Depth=3
	v_mov_b32_e32 v41, s30
	ds_cmpst_rtn_b32 v40, v40, v41, v9
	s_mov_b64 s[50:51], -1
	s_waitcnt lgkmcnt(0)
	v_cmp_eq_u32_e32 vcc, s30, v40
	s_and_saveexec_b64 s[52:53], vcc
	s_cbranch_execz .LBB26_36
; %bb.35:                               ;   in Loop: Header=BB26_30 Depth=3
	v_lshl_add_u32 v40, v39, 5, v33
	ds_add_f64 v40, v[26:27]
	s_xor_b64 s[50:51], exec, -1
.LBB26_36:                              ;   in Loop: Header=BB26_30 Depth=3
	s_or_b64 exec, exec, s[52:53]
	s_andn2_b64 s[46:47], s[46:47], exec
	s_and_b64 s[50:51], s[50:51], exec
	s_or_b64 s[46:47], s[46:47], s[50:51]
.LBB26_37:                              ;   in Loop: Header=BB26_30 Depth=3
	s_or_b64 exec, exec, s[48:49]
	s_and_b64 s[46:47], s[46:47], exec
.LBB26_38:                              ;   in Loop: Header=BB26_30 Depth=3
	s_andn2_saveexec_b64 s[44:45], s[44:45]
	s_cbranch_execz .LBB26_29
; %bb.39:                               ;   in Loop: Header=BB26_30 Depth=3
	v_lshl_add_u32 v40, v39, 5, v33
	ds_add_f64 v40, v[26:27]
	s_andn2_b64 s[46:47], s[46:47], exec
	s_branch .LBB26_29
.LBB26_40:                              ;   in Loop: Header=BB26_16 Depth=2
	s_or_b64 exec, exec, s[42:43]
	v_mul_f64 v[24:25], v[10:11], v[24:25]
	v_fmac_f64_e32 v[24:25], v[12:13], v[22:23]
	s_mov_b64 s[42:43], 0
	v_mov_b32_e32 v22, v38
	s_branch .LBB26_42
.LBB26_41:                              ;   in Loop: Header=BB26_42 Depth=3
	s_or_b64 exec, exec, s[44:45]
	s_xor_b64 s[44:45], s[46:47], -1
	s_and_b64 s[44:45], exec, s[44:45]
	s_or_b64 s[42:43], s[44:45], s[42:43]
	s_andn2_b64 exec, exec, s[42:43]
	s_cbranch_execz .LBB26_52
.LBB26_42:                              ;   Parent Loop BB26_13 Depth=1
                                        ;     Parent Loop BB26_16 Depth=2
                                        ; =>    This Inner Loop Header: Depth=3
	v_lshl_add_u32 v23, v22, 2, v30
	ds_read_b32 v26, v23
                                        ; implicit-def: $sgpr46_sgpr47
	s_waitcnt lgkmcnt(0)
	v_cmp_ne_u32_e32 vcc, v26, v9
	s_and_saveexec_b64 s[44:45], vcc
	s_xor_b64 s[44:45], exec, s[44:45]
	s_cbranch_execz .LBB26_50
; %bb.43:                               ;   in Loop: Header=BB26_42 Depth=3
	v_cmp_ne_u32_e32 vcc, s30, v26
                                        ; implicit-def: $sgpr46_sgpr47
	s_and_saveexec_b64 s[48:49], vcc
	s_xor_b64 s[48:49], exec, s[48:49]
; %bb.44:                               ;   in Loop: Header=BB26_42 Depth=3
	v_add_u32_e32 v22, 1, v22
	v_and_b32_e32 v22, 15, v22
	s_mov_b64 s[46:47], -1
                                        ; implicit-def: $vgpr23
; %bb.45:                               ;   in Loop: Header=BB26_42 Depth=3
	s_andn2_saveexec_b64 s[48:49], s[48:49]
	s_cbranch_execz .LBB26_49
; %bb.46:                               ;   in Loop: Header=BB26_42 Depth=3
	v_mov_b32_e32 v26, s30
	ds_cmpst_rtn_b32 v23, v23, v26, v9
	s_mov_b64 s[50:51], -1
	s_waitcnt lgkmcnt(0)
	v_cmp_eq_u32_e32 vcc, s30, v23
	s_and_saveexec_b64 s[52:53], vcc
	s_cbranch_execz .LBB26_48
; %bb.47:                               ;   in Loop: Header=BB26_42 Depth=3
	v_lshl_add_u32 v23, v22, 5, v34
	ds_add_f64 v23, v[24:25]
	s_xor_b64 s[50:51], exec, -1
.LBB26_48:                              ;   in Loop: Header=BB26_42 Depth=3
	s_or_b64 exec, exec, s[52:53]
	s_andn2_b64 s[46:47], s[46:47], exec
	s_and_b64 s[50:51], s[50:51], exec
	s_or_b64 s[46:47], s[46:47], s[50:51]
.LBB26_49:                              ;   in Loop: Header=BB26_42 Depth=3
	s_or_b64 exec, exec, s[48:49]
	s_and_b64 s[46:47], s[46:47], exec
.LBB26_50:                              ;   in Loop: Header=BB26_42 Depth=3
	s_andn2_saveexec_b64 s[44:45], s[44:45]
	s_cbranch_execz .LBB26_41
; %bb.51:                               ;   in Loop: Header=BB26_42 Depth=3
	v_lshl_add_u32 v23, v22, 5, v34
	ds_add_f64 v23, v[24:25]
	s_andn2_b64 s[46:47], s[46:47], exec
	s_branch .LBB26_41
.LBB26_52:                              ;   in Loop: Header=BB26_16 Depth=2
	s_or_b64 exec, exec, s[42:43]
	v_mul_f64 v[20:21], v[10:11], v[20:21]
	v_fmac_f64_e32 v[20:21], v[12:13], v[18:19]
	s_mov_b64 s[42:43], 0
	s_branch .LBB26_54
.LBB26_53:                              ;   in Loop: Header=BB26_54 Depth=3
	s_or_b64 exec, exec, s[44:45]
	s_xor_b64 s[44:45], s[46:47], -1
	s_and_b64 s[44:45], exec, s[44:45]
	s_or_b64 s[42:43], s[44:45], s[42:43]
	s_andn2_b64 exec, exec, s[42:43]
	s_cbranch_execz .LBB26_15
.LBB26_54:                              ;   Parent Loop BB26_13 Depth=1
                                        ;     Parent Loop BB26_16 Depth=2
                                        ; =>    This Inner Loop Header: Depth=3
	v_lshl_add_u32 v18, v38, 2, v30
	ds_read_b32 v19, v18
                                        ; implicit-def: $sgpr46_sgpr47
	s_waitcnt lgkmcnt(0)
	v_cmp_ne_u32_e32 vcc, v19, v9
	s_and_saveexec_b64 s[44:45], vcc
	s_xor_b64 s[44:45], exec, s[44:45]
	s_cbranch_execz .LBB26_62
; %bb.55:                               ;   in Loop: Header=BB26_54 Depth=3
	v_cmp_ne_u32_e32 vcc, s30, v19
                                        ; implicit-def: $sgpr46_sgpr47
	s_and_saveexec_b64 s[48:49], vcc
	s_xor_b64 s[48:49], exec, s[48:49]
; %bb.56:                               ;   in Loop: Header=BB26_54 Depth=3
	v_add_u32_e32 v18, 1, v38
	v_and_b32_e32 v38, 15, v18
	s_mov_b64 s[46:47], -1
                                        ; implicit-def: $vgpr18
; %bb.57:                               ;   in Loop: Header=BB26_54 Depth=3
	s_andn2_saveexec_b64 s[48:49], s[48:49]
	s_cbranch_execz .LBB26_61
; %bb.58:                               ;   in Loop: Header=BB26_54 Depth=3
	v_mov_b32_e32 v19, s30
	ds_cmpst_rtn_b32 v18, v18, v19, v9
	s_mov_b64 s[50:51], -1
	s_waitcnt lgkmcnt(0)
	v_cmp_eq_u32_e32 vcc, s30, v18
	s_and_saveexec_b64 s[52:53], vcc
	s_cbranch_execz .LBB26_60
; %bb.59:                               ;   in Loop: Header=BB26_54 Depth=3
	v_lshl_add_u32 v18, v38, 5, v35
	ds_add_f64 v18, v[20:21]
	s_xor_b64 s[50:51], exec, -1
.LBB26_60:                              ;   in Loop: Header=BB26_54 Depth=3
	s_or_b64 exec, exec, s[52:53]
	s_andn2_b64 s[46:47], s[46:47], exec
	s_and_b64 s[50:51], s[50:51], exec
	s_or_b64 s[46:47], s[46:47], s[50:51]
.LBB26_61:                              ;   in Loop: Header=BB26_54 Depth=3
	s_or_b64 exec, exec, s[48:49]
	s_and_b64 s[46:47], s[46:47], exec
.LBB26_62:                              ;   in Loop: Header=BB26_54 Depth=3
	s_andn2_saveexec_b64 s[44:45], s[44:45]
	s_cbranch_execz .LBB26_53
; %bb.63:                               ;   in Loop: Header=BB26_54 Depth=3
	v_lshl_add_u32 v18, v38, 5, v35
	ds_add_f64 v18, v[20:21]
	s_andn2_b64 s[46:47], s[46:47], exec
	s_branch .LBB26_53
.LBB26_64:
	s_or_b64 exec, exec, s[4:5]
.LBB26_65:
	s_andn2_b64 vcc, exec, s[34:35]
	s_waitcnt lgkmcnt(0)
	s_cbranch_vccnz .LBB26_118
; %bb.66:
	v_mov_b32_e32 v5, s9
	v_add_co_u32_e32 v4, vcc, s8, v0
	v_addc_co_u32_e32 v5, vcc, v5, v1, vcc
	global_load_dwordx2 v[4:5], v[4:5], off
	v_subrev_u32_e32 v6, s3, v28
	s_waitcnt vmcnt(0)
	v_subrev_u32_e32 v14, s3, v5
	v_add_u32_e32 v4, v4, v6
	v_cmp_lt_i32_e32 vcc, v4, v14
	s_and_saveexec_b64 s[0:1], vcc
	s_cbranch_execz .LBB26_117
; %bb.67:
	s_cmp_eq_u32 s28, 0
	s_cselect_b32 s29, 1, 2
	s_cselect_b32 s31, 2, 1
	v_add_u32_e32 v15, 8, v29
	v_add_u32_e32 v16, 16, v29
	;; [unrolled: 1-line block ×3, first 2 shown]
	s_mov_b64 s[4:5], 0
	v_mov_b32_e32 v18, s13
	v_mov_b32_e32 v19, s11
	s_branch .LBB26_69
.LBB26_68:                              ;   in Loop: Header=BB26_69 Depth=1
	s_or_b64 exec, exec, s[6:7]
	v_add_u32_e32 v4, 16, v4
	v_cmp_ge_i32_e32 vcc, v4, v14
	s_or_b64 s[4:5], vcc, s[4:5]
	s_andn2_b64 exec, exec, s[4:5]
	s_cbranch_execz .LBB26_117
.LBB26_69:                              ; =>This Loop Header: Depth=1
                                        ;     Child Loop BB26_71 Depth 2
                                        ;     Child Loop BB26_83 Depth 2
	;; [unrolled: 1-line block ×4, first 2 shown]
	v_lshlrev_b32_e32 v6, 2, v4
	v_ashrrev_i32_e32 v7, 31, v6
	v_or_b32_e32 v8, s29, v6
	v_or_b32_e32 v10, s31, v6
	v_lshlrev_b64 v[6:7], 3, v[6:7]
	v_add_co_u32_e32 v12, vcc, s12, v6
	v_ashrrev_i32_e32 v9, 31, v8
	v_addc_co_u32_e32 v13, vcc, v18, v7, vcc
	v_lshlrev_b64 v[6:7], 3, v[8:9]
	v_add_co_u32_e32 v22, vcc, s12, v6
	v_ashrrev_i32_e32 v5, 31, v4
	v_addc_co_u32_e32 v23, vcc, v18, v7, vcc
	;; [unrolled: 4-line block ×3, first 2 shown]
	v_lshlrev_b64 v[6:7], 3, v[10:11]
	global_load_dword v5, v[8:9], off
	global_load_dwordx2 v[20:21], v[12:13], off
	v_add_co_u32_e32 v24, vcc, s12, v6
	v_addc_co_u32_e32 v25, vcc, v18, v7, vcc
	global_load_dwordx2 v[8:9], v[24:25], off
	global_load_dwordx2 v[10:11], v[22:23], off
	global_load_dwordx2 v[6:7], v[12:13], off offset:24
	s_mov_b64 s[6:7], 0
	s_waitcnt vmcnt(4)
	v_subrev_u32_e32 v5, s3, v5
	s_waitcnt vmcnt(3)
	v_mul_f64 v[12:13], v[2:3], v[20:21]
	v_lshl_add_u32 v20, v5, 3, v5
	v_and_b32_e32 v20, 15, v20
	v_mov_b32_e32 v21, v20
	s_branch .LBB26_71
.LBB26_70:                              ;   in Loop: Header=BB26_71 Depth=2
	s_or_b64 exec, exec, s[8:9]
	s_xor_b64 s[8:9], s[16:17], -1
	s_and_b64 s[8:9], exec, s[8:9]
	s_or_b64 s[6:7], s[8:9], s[6:7]
	s_andn2_b64 exec, exec, s[6:7]
	s_cbranch_execz .LBB26_81
.LBB26_71:                              ;   Parent Loop BB26_69 Depth=1
                                        ; =>  This Inner Loop Header: Depth=2
	v_lshl_add_u32 v22, v21, 2, v30
	ds_read_b32 v23, v22
                                        ; implicit-def: $sgpr16_sgpr17
	s_waitcnt lgkmcnt(0)
	v_cmp_ne_u32_e32 vcc, v23, v5
	s_and_saveexec_b64 s[8:9], vcc
	s_xor_b64 s[8:9], exec, s[8:9]
	s_cbranch_execz .LBB26_79
; %bb.72:                               ;   in Loop: Header=BB26_71 Depth=2
	v_cmp_ne_u32_e32 vcc, s30, v23
                                        ; implicit-def: $sgpr16_sgpr17
	s_and_saveexec_b64 s[18:19], vcc
	s_xor_b64 s[18:19], exec, s[18:19]
; %bb.73:                               ;   in Loop: Header=BB26_71 Depth=2
	v_add_u32_e32 v21, 1, v21
	v_and_b32_e32 v21, 15, v21
	s_mov_b64 s[16:17], -1
                                        ; implicit-def: $vgpr22
; %bb.74:                               ;   in Loop: Header=BB26_71 Depth=2
	s_andn2_saveexec_b64 s[18:19], s[18:19]
	s_cbranch_execz .LBB26_78
; %bb.75:                               ;   in Loop: Header=BB26_71 Depth=2
	v_mov_b32_e32 v23, s30
	ds_cmpst_rtn_b32 v22, v22, v23, v5
	s_mov_b64 s[20:21], -1
	s_waitcnt lgkmcnt(0)
	v_cmp_eq_u32_e32 vcc, s30, v22
	s_and_saveexec_b64 s[22:23], vcc
	s_cbranch_execz .LBB26_77
; %bb.76:                               ;   in Loop: Header=BB26_71 Depth=2
	v_lshl_add_u32 v22, v21, 5, v29
	ds_add_f64 v22, v[12:13]
	s_xor_b64 s[20:21], exec, -1
.LBB26_77:                              ;   in Loop: Header=BB26_71 Depth=2
	s_or_b64 exec, exec, s[22:23]
	s_andn2_b64 s[16:17], s[16:17], exec
	s_and_b64 s[20:21], s[20:21], exec
	s_or_b64 s[16:17], s[16:17], s[20:21]
.LBB26_78:                              ;   in Loop: Header=BB26_71 Depth=2
	s_or_b64 exec, exec, s[18:19]
	s_and_b64 s[16:17], s[16:17], exec
.LBB26_79:                              ;   in Loop: Header=BB26_71 Depth=2
	s_andn2_saveexec_b64 s[8:9], s[8:9]
	s_cbranch_execz .LBB26_70
; %bb.80:                               ;   in Loop: Header=BB26_71 Depth=2
	v_lshl_add_u32 v22, v21, 5, v29
	ds_add_f64 v22, v[12:13]
	s_andn2_b64 s[16:17], s[16:17], exec
	s_branch .LBB26_70
.LBB26_81:                              ;   in Loop: Header=BB26_69 Depth=1
	s_or_b64 exec, exec, s[6:7]
	s_waitcnt vmcnt(1)
	v_mul_f64 v[10:11], v[2:3], v[10:11]
	s_mov_b64 s[6:7], 0
	v_mov_b32_e32 v12, v20
	s_branch .LBB26_83
.LBB26_82:                              ;   in Loop: Header=BB26_83 Depth=2
	s_or_b64 exec, exec, s[8:9]
	s_xor_b64 s[8:9], s[16:17], -1
	s_and_b64 s[8:9], exec, s[8:9]
	s_or_b64 s[6:7], s[8:9], s[6:7]
	s_andn2_b64 exec, exec, s[6:7]
	s_cbranch_execz .LBB26_93
.LBB26_83:                              ;   Parent Loop BB26_69 Depth=1
                                        ; =>  This Inner Loop Header: Depth=2
	v_lshl_add_u32 v13, v12, 2, v30
	ds_read_b32 v21, v13
                                        ; implicit-def: $sgpr16_sgpr17
	s_waitcnt lgkmcnt(0)
	v_cmp_ne_u32_e32 vcc, v21, v5
	s_and_saveexec_b64 s[8:9], vcc
	s_xor_b64 s[8:9], exec, s[8:9]
	s_cbranch_execz .LBB26_91
; %bb.84:                               ;   in Loop: Header=BB26_83 Depth=2
	v_cmp_ne_u32_e32 vcc, s30, v21
                                        ; implicit-def: $sgpr16_sgpr17
	s_and_saveexec_b64 s[18:19], vcc
	s_xor_b64 s[18:19], exec, s[18:19]
; %bb.85:                               ;   in Loop: Header=BB26_83 Depth=2
	v_add_u32_e32 v12, 1, v12
	v_and_b32_e32 v12, 15, v12
	s_mov_b64 s[16:17], -1
                                        ; implicit-def: $vgpr13
; %bb.86:                               ;   in Loop: Header=BB26_83 Depth=2
	s_andn2_saveexec_b64 s[18:19], s[18:19]
	s_cbranch_execz .LBB26_90
; %bb.87:                               ;   in Loop: Header=BB26_83 Depth=2
	v_mov_b32_e32 v21, s30
	ds_cmpst_rtn_b32 v13, v13, v21, v5
	s_mov_b64 s[20:21], -1
	s_waitcnt lgkmcnt(0)
	v_cmp_eq_u32_e32 vcc, s30, v13
	s_and_saveexec_b64 s[22:23], vcc
	s_cbranch_execz .LBB26_89
; %bb.88:                               ;   in Loop: Header=BB26_83 Depth=2
	v_lshl_add_u32 v13, v12, 5, v15
	ds_add_f64 v13, v[10:11]
	s_xor_b64 s[20:21], exec, -1
.LBB26_89:                              ;   in Loop: Header=BB26_83 Depth=2
	s_or_b64 exec, exec, s[22:23]
	s_andn2_b64 s[16:17], s[16:17], exec
	s_and_b64 s[20:21], s[20:21], exec
	s_or_b64 s[16:17], s[16:17], s[20:21]
.LBB26_90:                              ;   in Loop: Header=BB26_83 Depth=2
	s_or_b64 exec, exec, s[18:19]
	s_and_b64 s[16:17], s[16:17], exec
.LBB26_91:                              ;   in Loop: Header=BB26_83 Depth=2
	s_andn2_saveexec_b64 s[8:9], s[8:9]
	s_cbranch_execz .LBB26_82
; %bb.92:                               ;   in Loop: Header=BB26_83 Depth=2
	v_lshl_add_u32 v13, v12, 5, v15
	ds_add_f64 v13, v[10:11]
	s_andn2_b64 s[16:17], s[16:17], exec
	s_branch .LBB26_82
.LBB26_93:                              ;   in Loop: Header=BB26_69 Depth=1
	s_or_b64 exec, exec, s[6:7]
	v_mul_f64 v[8:9], v[2:3], v[8:9]
	s_mov_b64 s[6:7], 0
	v_mov_b32_e32 v10, v20
	s_branch .LBB26_95
.LBB26_94:                              ;   in Loop: Header=BB26_95 Depth=2
	s_or_b64 exec, exec, s[8:9]
	s_xor_b64 s[8:9], s[16:17], -1
	s_and_b64 s[8:9], exec, s[8:9]
	s_or_b64 s[6:7], s[8:9], s[6:7]
	s_andn2_b64 exec, exec, s[6:7]
	s_cbranch_execz .LBB26_105
.LBB26_95:                              ;   Parent Loop BB26_69 Depth=1
                                        ; =>  This Inner Loop Header: Depth=2
	v_lshl_add_u32 v11, v10, 2, v30
	ds_read_b32 v12, v11
                                        ; implicit-def: $sgpr16_sgpr17
	s_waitcnt lgkmcnt(0)
	v_cmp_ne_u32_e32 vcc, v12, v5
	s_and_saveexec_b64 s[8:9], vcc
	s_xor_b64 s[8:9], exec, s[8:9]
	s_cbranch_execz .LBB26_103
; %bb.96:                               ;   in Loop: Header=BB26_95 Depth=2
	v_cmp_ne_u32_e32 vcc, s30, v12
                                        ; implicit-def: $sgpr16_sgpr17
	s_and_saveexec_b64 s[18:19], vcc
	s_xor_b64 s[18:19], exec, s[18:19]
; %bb.97:                               ;   in Loop: Header=BB26_95 Depth=2
	v_add_u32_e32 v10, 1, v10
	v_and_b32_e32 v10, 15, v10
	s_mov_b64 s[16:17], -1
                                        ; implicit-def: $vgpr11
; %bb.98:                               ;   in Loop: Header=BB26_95 Depth=2
	s_andn2_saveexec_b64 s[18:19], s[18:19]
	s_cbranch_execz .LBB26_102
; %bb.99:                               ;   in Loop: Header=BB26_95 Depth=2
	v_mov_b32_e32 v12, s30
	ds_cmpst_rtn_b32 v11, v11, v12, v5
	s_mov_b64 s[20:21], -1
	s_waitcnt lgkmcnt(0)
	v_cmp_eq_u32_e32 vcc, s30, v11
	s_and_saveexec_b64 s[22:23], vcc
	s_cbranch_execz .LBB26_101
; %bb.100:                              ;   in Loop: Header=BB26_95 Depth=2
	v_lshl_add_u32 v11, v10, 5, v16
	ds_add_f64 v11, v[8:9]
	s_xor_b64 s[20:21], exec, -1
.LBB26_101:                             ;   in Loop: Header=BB26_95 Depth=2
	s_or_b64 exec, exec, s[22:23]
	s_andn2_b64 s[16:17], s[16:17], exec
	s_and_b64 s[20:21], s[20:21], exec
	s_or_b64 s[16:17], s[16:17], s[20:21]
.LBB26_102:                             ;   in Loop: Header=BB26_95 Depth=2
	s_or_b64 exec, exec, s[18:19]
	s_and_b64 s[16:17], s[16:17], exec
.LBB26_103:                             ;   in Loop: Header=BB26_95 Depth=2
	s_andn2_saveexec_b64 s[8:9], s[8:9]
	s_cbranch_execz .LBB26_94
; %bb.104:                              ;   in Loop: Header=BB26_95 Depth=2
	v_lshl_add_u32 v11, v10, 5, v16
	ds_add_f64 v11, v[8:9]
	s_andn2_b64 s[16:17], s[16:17], exec
	s_branch .LBB26_94
.LBB26_105:                             ;   in Loop: Header=BB26_69 Depth=1
	s_or_b64 exec, exec, s[6:7]
	s_waitcnt vmcnt(0)
	v_mul_f64 v[6:7], v[2:3], v[6:7]
	s_mov_b64 s[6:7], 0
	s_branch .LBB26_107
.LBB26_106:                             ;   in Loop: Header=BB26_107 Depth=2
	s_or_b64 exec, exec, s[8:9]
	s_xor_b64 s[8:9], s[16:17], -1
	s_and_b64 s[8:9], exec, s[8:9]
	s_or_b64 s[6:7], s[8:9], s[6:7]
	s_andn2_b64 exec, exec, s[6:7]
	s_cbranch_execz .LBB26_68
.LBB26_107:                             ;   Parent Loop BB26_69 Depth=1
                                        ; =>  This Inner Loop Header: Depth=2
	v_lshl_add_u32 v8, v20, 2, v30
	ds_read_b32 v9, v8
                                        ; implicit-def: $sgpr16_sgpr17
	s_waitcnt lgkmcnt(0)
	v_cmp_ne_u32_e32 vcc, v9, v5
	s_and_saveexec_b64 s[8:9], vcc
	s_xor_b64 s[8:9], exec, s[8:9]
	s_cbranch_execz .LBB26_115
; %bb.108:                              ;   in Loop: Header=BB26_107 Depth=2
	v_cmp_ne_u32_e32 vcc, s30, v9
                                        ; implicit-def: $sgpr16_sgpr17
	s_and_saveexec_b64 s[18:19], vcc
	s_xor_b64 s[18:19], exec, s[18:19]
; %bb.109:                              ;   in Loop: Header=BB26_107 Depth=2
	v_add_u32_e32 v8, 1, v20
	v_and_b32_e32 v20, 15, v8
	s_mov_b64 s[16:17], -1
                                        ; implicit-def: $vgpr8
; %bb.110:                              ;   in Loop: Header=BB26_107 Depth=2
	s_andn2_saveexec_b64 s[18:19], s[18:19]
	s_cbranch_execz .LBB26_114
; %bb.111:                              ;   in Loop: Header=BB26_107 Depth=2
	v_mov_b32_e32 v9, s30
	ds_cmpst_rtn_b32 v8, v8, v9, v5
	s_mov_b64 s[20:21], -1
	s_waitcnt lgkmcnt(0)
	v_cmp_eq_u32_e32 vcc, s30, v8
	s_and_saveexec_b64 s[22:23], vcc
	s_cbranch_execz .LBB26_113
; %bb.112:                              ;   in Loop: Header=BB26_107 Depth=2
	v_lshl_add_u32 v8, v20, 5, v17
	ds_add_f64 v8, v[6:7]
	s_xor_b64 s[20:21], exec, -1
.LBB26_113:                             ;   in Loop: Header=BB26_107 Depth=2
	s_or_b64 exec, exec, s[22:23]
	s_andn2_b64 s[16:17], s[16:17], exec
	s_and_b64 s[20:21], s[20:21], exec
	s_or_b64 s[16:17], s[16:17], s[20:21]
.LBB26_114:                             ;   in Loop: Header=BB26_107 Depth=2
	s_or_b64 exec, exec, s[18:19]
	s_and_b64 s[16:17], s[16:17], exec
.LBB26_115:                             ;   in Loop: Header=BB26_107 Depth=2
	s_andn2_saveexec_b64 s[8:9], s[8:9]
	s_cbranch_execz .LBB26_106
; %bb.116:                              ;   in Loop: Header=BB26_107 Depth=2
	v_lshl_add_u32 v8, v20, 5, v17
	ds_add_f64 v8, v[6:7]
	s_andn2_b64 s[16:17], s[16:17], exec
	s_branch .LBB26_106
.LBB26_117:
	s_or_b64 exec, exec, s[0:1]
.LBB26_118:
	s_waitcnt lgkmcnt(0)
	ds_read_b32 v2, v31
	s_waitcnt lgkmcnt(0)
	v_cmp_gt_i32_e32 vcc, s30, v2
	s_and_b64 exec, exec, vcc
	s_cbranch_execz .LBB26_120
; %bb.119:
	v_mov_b32_e32 v3, s15
	v_add_co_u32_e32 v0, vcc, s14, v0
	v_addc_co_u32_e32 v1, vcc, v3, v1, vcc
	global_load_dword v0, v[0:1], off
	ds_read_b128 v[4:7], v30
	ds_read_b128 v[8:11], v30 offset:16
	ds_read_b128 v[12:15], v30 offset:32
	;; [unrolled: 1-line block ×3, first 2 shown]
	v_lshl_add_u32 v3, v28, 5, v29
	s_waitcnt lgkmcnt(3)
	v_cmp_gt_i32_e32 vcc, v2, v4
	v_cndmask_b32_e64 v4, 0, 1, vcc
	v_cmp_gt_i32_e32 vcc, v2, v6
	v_cndmask_b32_e64 v6, 0, 1, vcc
	s_waitcnt lgkmcnt(2)
	v_cmp_gt_i32_e32 vcc, v2, v8
	v_cndmask_b32_e64 v8, 0, 1, vcc
	v_cmp_gt_i32_e32 vcc, v2, v10
	v_cndmask_b32_e64 v10, 0, 1, vcc
	;; [unrolled: 5-line block ×4, first 2 shown]
	v_cmp_gt_i32_e32 vcc, v2, v5
	ds_read2_b64 v[20:23], v3 offset1:3
	s_cmp_eq_u32 s28, 0
	v_lshlrev_b32_e32 v1, 2, v28
	s_cselect_b32 s0, 1, 2
	s_cselect_b32 s1, 2, 1
	v_or_b32_e32 v3, s0, v1
	v_or_b32_e32 v1, s1, v1
	v_lshl_add_u32 v3, v3, 3, v29
	v_lshl_add_u32 v1, v1, 3, v29
	s_waitcnt lgkmcnt(0)
	v_mov_b32_e32 v24, v20
	v_mov_b32_e32 v25, v21
	ds_read_b64 v[26:27], v3
	ds_read_b64 v[20:21], v1
	v_add_u32_e32 v30, s2, v2
	v_mov_b32_e32 v31, s25
	v_mov_b32_e32 v28, s27
	s_waitcnt vmcnt(0)
	v_subrev_u32_e32 v0, s2, v0
	v_addc_co_u32_e32 v0, vcc, v0, v4, vcc
	v_cmp_gt_i32_e32 vcc, v2, v7
	v_addc_co_u32_e32 v0, vcc, v0, v6, vcc
	v_cmp_gt_i32_e32 vcc, v2, v9
	;; [unrolled: 2-line block ×7, first 2 shown]
	v_addc_co_u32_e32 v0, vcc, v0, v18, vcc
	v_ashrrev_i32_e32 v1, 31, v0
	v_lshlrev_b32_e32 v2, 2, v0
	v_lshlrev_b64 v[0:1], 2, v[0:1]
	v_ashrrev_i32_e32 v3, 31, v2
	v_add_co_u32_e32 v0, vcc, s24, v0
	v_addc_co_u32_e32 v1, vcc, v31, v1, vcc
	v_lshlrev_b64 v[2:3], 3, v[2:3]
	global_store_dword v[0:1], v30, off
	v_add_co_u32_e32 v0, vcc, s26, v2
	v_addc_co_u32_e32 v1, vcc, v28, v3, vcc
	s_waitcnt lgkmcnt(1)
	global_store_dwordx4 v[0:1], v[24:27], off
	s_waitcnt lgkmcnt(0)
	global_store_dwordx4 v[0:1], v[20:23], off offset:16
.LBB26_120:
	s_endpgm
	.section	.rodata,"a",@progbits
	.p2align	6, 0x0
	.amdhsa_kernel _ZN9rocsparseL27bsrgemm_fill_wf_per_row_2x2ILj256ELj16ELj16ELj137EiidEEv20rocsparse_direction_T4_S2_PKS2_S4_NS_24const_host_device_scalarIT5_EEPKT3_S4_PKS6_SA_S4_SC_S7_SA_S4_SC_SA_PS2_PS6_21rocsparse_index_base_SF_SF_SF_bbb
		.amdhsa_group_segment_fixed_size 9216
		.amdhsa_private_segment_fixed_size 0
		.amdhsa_kernarg_size 164
		.amdhsa_user_sgpr_count 6
		.amdhsa_user_sgpr_private_segment_buffer 1
		.amdhsa_user_sgpr_dispatch_ptr 0
		.amdhsa_user_sgpr_queue_ptr 0
		.amdhsa_user_sgpr_kernarg_segment_ptr 1
		.amdhsa_user_sgpr_dispatch_id 0
		.amdhsa_user_sgpr_flat_scratch_init 0
		.amdhsa_user_sgpr_kernarg_preload_length 0
		.amdhsa_user_sgpr_kernarg_preload_offset 0
		.amdhsa_user_sgpr_private_segment_size 0
		.amdhsa_uses_dynamic_stack 0
		.amdhsa_system_sgpr_private_segment_wavefront_offset 0
		.amdhsa_system_sgpr_workgroup_id_x 1
		.amdhsa_system_sgpr_workgroup_id_y 0
		.amdhsa_system_sgpr_workgroup_id_z 0
		.amdhsa_system_sgpr_workgroup_info 0
		.amdhsa_system_vgpr_workitem_id 0
		.amdhsa_next_free_vgpr 42
		.amdhsa_next_free_sgpr 54
		.amdhsa_accum_offset 44
		.amdhsa_reserve_vcc 1
		.amdhsa_reserve_flat_scratch 0
		.amdhsa_float_round_mode_32 0
		.amdhsa_float_round_mode_16_64 0
		.amdhsa_float_denorm_mode_32 3
		.amdhsa_float_denorm_mode_16_64 3
		.amdhsa_dx10_clamp 1
		.amdhsa_ieee_mode 1
		.amdhsa_fp16_overflow 0
		.amdhsa_tg_split 0
		.amdhsa_exception_fp_ieee_invalid_op 0
		.amdhsa_exception_fp_denorm_src 0
		.amdhsa_exception_fp_ieee_div_zero 0
		.amdhsa_exception_fp_ieee_overflow 0
		.amdhsa_exception_fp_ieee_underflow 0
		.amdhsa_exception_fp_ieee_inexact 0
		.amdhsa_exception_int_div_zero 0
	.end_amdhsa_kernel
	.section	.text._ZN9rocsparseL27bsrgemm_fill_wf_per_row_2x2ILj256ELj16ELj16ELj137EiidEEv20rocsparse_direction_T4_S2_PKS2_S4_NS_24const_host_device_scalarIT5_EEPKT3_S4_PKS6_SA_S4_SC_S7_SA_S4_SC_SA_PS2_PS6_21rocsparse_index_base_SF_SF_SF_bbb,"axG",@progbits,_ZN9rocsparseL27bsrgemm_fill_wf_per_row_2x2ILj256ELj16ELj16ELj137EiidEEv20rocsparse_direction_T4_S2_PKS2_S4_NS_24const_host_device_scalarIT5_EEPKT3_S4_PKS6_SA_S4_SC_S7_SA_S4_SC_SA_PS2_PS6_21rocsparse_index_base_SF_SF_SF_bbb,comdat
.Lfunc_end26:
	.size	_ZN9rocsparseL27bsrgemm_fill_wf_per_row_2x2ILj256ELj16ELj16ELj137EiidEEv20rocsparse_direction_T4_S2_PKS2_S4_NS_24const_host_device_scalarIT5_EEPKT3_S4_PKS6_SA_S4_SC_S7_SA_S4_SC_SA_PS2_PS6_21rocsparse_index_base_SF_SF_SF_bbb, .Lfunc_end26-_ZN9rocsparseL27bsrgemm_fill_wf_per_row_2x2ILj256ELj16ELj16ELj137EiidEEv20rocsparse_direction_T4_S2_PKS2_S4_NS_24const_host_device_scalarIT5_EEPKT3_S4_PKS6_SA_S4_SC_S7_SA_S4_SC_SA_PS2_PS6_21rocsparse_index_base_SF_SF_SF_bbb
                                        ; -- End function
	.section	.AMDGPU.csdata,"",@progbits
; Kernel info:
; codeLenInByte = 3536
; NumSgprs: 58
; NumVgprs: 42
; NumAgprs: 0
; TotalNumVgprs: 42
; ScratchSize: 0
; MemoryBound: 0
; FloatMode: 240
; IeeeMode: 1
; LDSByteSize: 9216 bytes/workgroup (compile time only)
; SGPRBlocks: 7
; VGPRBlocks: 5
; NumSGPRsForWavesPerEU: 58
; NumVGPRsForWavesPerEU: 42
; AccumOffset: 44
; Occupancy: 7
; WaveLimiterHint : 1
; COMPUTE_PGM_RSRC2:SCRATCH_EN: 0
; COMPUTE_PGM_RSRC2:USER_SGPR: 6
; COMPUTE_PGM_RSRC2:TRAP_HANDLER: 0
; COMPUTE_PGM_RSRC2:TGID_X_EN: 1
; COMPUTE_PGM_RSRC2:TGID_Y_EN: 0
; COMPUTE_PGM_RSRC2:TGID_Z_EN: 0
; COMPUTE_PGM_RSRC2:TIDIG_COMP_CNT: 0
; COMPUTE_PGM_RSRC3_GFX90A:ACCUM_OFFSET: 10
; COMPUTE_PGM_RSRC3_GFX90A:TG_SPLIT: 0
	.section	.text._ZN9rocsparseL27bsrgemm_fill_wf_per_row_2x2ILj256ELj16ELj32ELj137EiidEEv20rocsparse_direction_T4_S2_PKS2_S4_NS_24const_host_device_scalarIT5_EEPKT3_S4_PKS6_SA_S4_SC_S7_SA_S4_SC_SA_PS2_PS6_21rocsparse_index_base_SF_SF_SF_bbb,"axG",@progbits,_ZN9rocsparseL27bsrgemm_fill_wf_per_row_2x2ILj256ELj16ELj32ELj137EiidEEv20rocsparse_direction_T4_S2_PKS2_S4_NS_24const_host_device_scalarIT5_EEPKT3_S4_PKS6_SA_S4_SC_S7_SA_S4_SC_SA_PS2_PS6_21rocsparse_index_base_SF_SF_SF_bbb,comdat
	.globl	_ZN9rocsparseL27bsrgemm_fill_wf_per_row_2x2ILj256ELj16ELj32ELj137EiidEEv20rocsparse_direction_T4_S2_PKS2_S4_NS_24const_host_device_scalarIT5_EEPKT3_S4_PKS6_SA_S4_SC_S7_SA_S4_SC_SA_PS2_PS6_21rocsparse_index_base_SF_SF_SF_bbb ; -- Begin function _ZN9rocsparseL27bsrgemm_fill_wf_per_row_2x2ILj256ELj16ELj32ELj137EiidEEv20rocsparse_direction_T4_S2_PKS2_S4_NS_24const_host_device_scalarIT5_EEPKT3_S4_PKS6_SA_S4_SC_S7_SA_S4_SC_SA_PS2_PS6_21rocsparse_index_base_SF_SF_SF_bbb
	.p2align	8
	.type	_ZN9rocsparseL27bsrgemm_fill_wf_per_row_2x2ILj256ELj16ELj32ELj137EiidEEv20rocsparse_direction_T4_S2_PKS2_S4_NS_24const_host_device_scalarIT5_EEPKT3_S4_PKS6_SA_S4_SC_S7_SA_S4_SC_SA_PS2_PS6_21rocsparse_index_base_SF_SF_SF_bbb,@function
_ZN9rocsparseL27bsrgemm_fill_wf_per_row_2x2ILj256ELj16ELj32ELj137EiidEEv20rocsparse_direction_T4_S2_PKS2_S4_NS_24const_host_device_scalarIT5_EEPKT3_S4_PKS6_SA_S4_SC_S7_SA_S4_SC_SA_PS2_PS6_21rocsparse_index_base_SF_SF_SF_bbb: ; @_ZN9rocsparseL27bsrgemm_fill_wf_per_row_2x2ILj256ELj16ELj32ELj137EiidEEv20rocsparse_direction_T4_S2_PKS2_S4_NS_24const_host_device_scalarIT5_EEPKT3_S4_PKS6_SA_S4_SC_S7_SA_S4_SC_SA_PS2_PS6_21rocsparse_index_base_SF_SF_SF_bbb
; %bb.0:
	s_load_dword s7, s[4:5], 0xa0
	s_load_dwordx4 s[0:3], s[4:5], 0x90
	s_load_dwordx2 s[8:9], s[4:5], 0x20
	s_load_dwordx2 s[28:29], s[4:5], 0x58
	s_waitcnt lgkmcnt(0)
	s_and_b32 s10, 1, s7
	s_bitcmp1_b32 s7, 16
	s_cselect_b64 s[30:31], -1, 0
	s_cmp_eq_u32 s10, 1
	s_cselect_b64 s[44:45], -1, 0
	s_and_b64 s[10:11], s[44:45], exec
	s_cselect_b32 s11, s9, 0
	s_cselect_b32 s10, s8, 0
	s_xor_b64 s[12:13], s[44:45], -1
	s_or_b64 s[12:13], s[12:13], s[30:31]
	s_and_b64 vcc, exec, s[12:13]
	v_pk_mov_b32 v[4:5], s[10:11], s[10:11] op_sel:[0,1]
	s_cbranch_vccnz .LBB27_2
; %bb.1:
	v_pk_mov_b32 v[2:3], s[8:9], s[8:9] op_sel:[0,1]
	flat_load_dwordx2 v[4:5], v[2:3]
.LBB27_2:
	s_load_dwordx4 s[24:27], s[4:5], 0x80
	s_load_dwordx8 s[8:15], s[4:5], 0x60
	s_load_dwordx4 s[36:39], s[4:5], 0x48
	s_load_dwordx4 s[40:43], s[4:5], 0x10
	s_load_dwordx8 s[16:23], s[4:5], 0x28
	s_bitcmp1_b32 s7, 8
	s_cselect_b64 s[34:35], -1, 0
	s_and_b64 s[46:47], s[34:35], exec
	s_cselect_b32 s47, s29, 0
	s_cselect_b32 s46, s28, 0
	s_xor_b64 s[48:49], s[34:35], -1
	s_or_b64 s[30:31], s[48:49], s[30:31]
	s_and_b64 vcc, exec, s[30:31]
	v_pk_mov_b32 v[2:3], s[46:47], s[46:47] op_sel:[0,1]
	s_cbranch_vccnz .LBB27_4
; %bb.3:
	v_pk_mov_b32 v[2:3], s[28:29], s[28:29] op_sel:[0,1]
	flat_load_dwordx2 v[2:3], v[2:3]
.LBB27_4:
	s_load_dwordx4 s[28:31], s[4:5], 0x0
	v_and_b32_e32 v30, 15, v0
	v_lshrrev_b32_e32 v32, 4, v0
	v_mov_b32_e32 v0, 0x4000
	v_lshl_or_b32 v28, v32, 7, v0
	v_lshl_or_b32 v0, v30, 2, v28
	s_waitcnt lgkmcnt(0)
	v_mov_b32_e32 v1, s30
	ds_write2_b32 v0, v1, v1 offset1:16
	v_or_b32_e32 v29, -16, v30
	v_lshlrev_b32_e32 v31, 10, v32
	v_mov_b32_e32 v0, 0
	v_lshl_or_b32 v6, v30, 3, v31
	s_mov_b64 s[4:5], 0
	v_mov_b32_e32 v1, v0
	s_movk_i32 s7, 0x6f
	v_mov_b32_e32 v7, v29
.LBB27_5:                               ; =>This Inner Loop Header: Depth=1
	v_add_u32_e32 v7, 16, v7
	v_cmp_lt_u32_e32 vcc, s7, v7
	ds_write_b64 v6, v[0:1]
	s_or_b64 s[4:5], vcc, s[4:5]
	v_add_u32_e32 v6, 0x80, v6
	s_andn2_b64 exec, exec, s[4:5]
	s_cbranch_execnz .LBB27_5
; %bb.6:
	s_or_b64 exec, exec, s[4:5]
	v_lshl_or_b32 v0, s6, 4, v32
	v_cmp_gt_i32_e32 vcc, s29, v0
	s_waitcnt lgkmcnt(0)
	s_barrier
	s_and_saveexec_b64 s[4:5], vcc
	s_cbranch_execz .LBB27_122
; %bb.7:
	s_cmp_eq_u64 s[42:43], 0
	s_cbranch_scc1 .LBB27_9
; %bb.8:
	s_load_dword s4, s[40:41], 0x0
	v_mov_b32_e32 v6, s43
	s_waitcnt lgkmcnt(0)
	v_add_u32_e32 v0, s4, v0
	v_ashrrev_i32_e32 v1, 31, v0
	v_lshlrev_b64 v[0:1], 2, v[0:1]
	v_add_co_u32_e32 v0, vcc, s42, v0
	v_addc_co_u32_e32 v1, vcc, v6, v1, vcc
	global_load_dword v0, v[0:1], off
.LBB27_9:
	s_waitcnt vmcnt(0)
	v_ashrrev_i32_e32 v1, 31, v0
	s_andn2_b64 vcc, exec, s[44:45]
	v_lshlrev_b64 v[0:1], 2, v[0:1]
	s_cbranch_vccnz .LBB27_65
; %bb.10:
	v_mov_b32_e32 v7, s17
	v_add_co_u32_e32 v6, vcc, s16, v0
	v_addc_co_u32_e32 v7, vcc, v7, v1, vcc
	global_load_dwordx2 v[6:7], v[6:7], off
	v_subrev_u32_e32 v8, s0, v30
	s_waitcnt vmcnt(0)
	v_subrev_u32_e32 v33, s0, v7
	v_add_u32_e32 v6, v6, v8
	v_cmp_lt_i32_e32 vcc, v6, v33
	s_and_saveexec_b64 s[4:5], vcc
	s_cbranch_execz .LBB27_64
; %bb.11:
	s_cmp_eq_u32 s28, 0
	s_cselect_b32 s29, 1, 2
	s_cselect_b32 s31, 2, 1
	v_add_u32_e32 v34, 8, v31
	v_add_u32_e32 v35, 16, v31
	;; [unrolled: 1-line block ×3, first 2 shown]
	s_mov_b64 s[6:7], 0
	v_mov_b32_e32 v37, s19
	v_mov_b32_e32 v38, s23
	s_branch .LBB27_13
.LBB27_12:                              ;   in Loop: Header=BB27_13 Depth=1
	s_or_b64 exec, exec, s[16:17]
	v_add_u32_e32 v6, 16, v6
	v_cmp_ge_i32_e32 vcc, v6, v33
	s_or_b64 s[6:7], vcc, s[6:7]
	s_andn2_b64 exec, exec, s[6:7]
	s_cbranch_execz .LBB27_64
.LBB27_13:                              ; =>This Loop Header: Depth=1
                                        ;     Child Loop BB27_16 Depth 2
                                        ;       Child Loop BB27_18 Depth 3
                                        ;       Child Loop BB27_30 Depth 3
	;; [unrolled: 1-line block ×4, first 2 shown]
	v_ashrrev_i32_e32 v7, 31, v6
	v_lshlrev_b64 v[8:9], 2, v[6:7]
	v_add_co_u32_e32 v8, vcc, s18, v8
	v_addc_co_u32_e32 v9, vcc, v37, v9, vcc
	global_load_dword v7, v[8:9], off
	s_waitcnt vmcnt(0)
	v_subrev_u32_e32 v8, s0, v7
	v_ashrrev_i32_e32 v9, 31, v8
	v_lshlrev_b64 v[8:9], 2, v[8:9]
	v_add_co_u32_e32 v8, vcc, s22, v8
	v_addc_co_u32_e32 v9, vcc, v38, v9, vcc
	global_load_dwordx2 v[8:9], v[8:9], off
	s_waitcnt vmcnt(0)
	v_cmp_lt_i32_e32 vcc, v8, v9
	s_and_saveexec_b64 s[16:17], vcc
	s_cbranch_execz .LBB27_12
; %bb.14:                               ;   in Loop: Header=BB27_13 Depth=1
	v_lshlrev_b32_e32 v10, 2, v6
	v_ashrrev_i32_e32 v11, 31, v10
	v_or_b32_e32 v12, s29, v10
	v_or_b32_e32 v14, s31, v10
	v_lshlrev_b64 v[10:11], 3, v[10:11]
	v_mov_b32_e32 v7, s21
	v_add_co_u32_e32 v10, vcc, s20, v10
	v_ashrrev_i32_e32 v15, 31, v14
	v_addc_co_u32_e32 v11, vcc, v7, v11, vcc
	v_lshlrev_b64 v[14:15], 3, v[14:15]
	v_add_co_u32_e32 v14, vcc, s20, v14
	v_ashrrev_i32_e32 v13, 31, v12
	v_addc_co_u32_e32 v15, vcc, v7, v15, vcc
	v_lshlrev_b64 v[12:13], 3, v[12:13]
	v_add_co_u32_e32 v12, vcc, s20, v12
	v_addc_co_u32_e32 v13, vcc, v7, v13, vcc
	global_load_dwordx2 v[16:17], v[10:11], off offset:24
	global_load_dwordx2 v[18:19], v[14:15], off
	global_load_dwordx2 v[20:21], v[12:13], off
	;; [unrolled: 1-line block ×3, first 2 shown]
	v_subrev_u32_e32 v7, s1, v9
	v_subrev_u32_e32 v8, s1, v8
	s_mov_b64 s[40:41], 0
	s_waitcnt vmcnt(3)
	v_mul_f64 v[10:11], v[4:5], v[16:17]
	s_waitcnt vmcnt(2)
	v_mul_f64 v[12:13], v[4:5], v[18:19]
	;; [unrolled: 2-line block ×4, first 2 shown]
	s_branch .LBB27_16
.LBB27_15:                              ;   in Loop: Header=BB27_16 Depth=2
	s_or_b64 exec, exec, s[42:43]
	v_add_u32_e32 v8, 1, v8
	v_cmp_ge_i32_e32 vcc, v8, v7
	s_or_b64 s[40:41], vcc, s[40:41]
	s_andn2_b64 exec, exec, s[40:41]
	s_cbranch_execz .LBB27_12
.LBB27_16:                              ;   Parent Loop BB27_13 Depth=1
                                        ; =>  This Loop Header: Depth=2
                                        ;       Child Loop BB27_18 Depth 3
                                        ;       Child Loop BB27_30 Depth 3
	;; [unrolled: 1-line block ×4, first 2 shown]
	v_ashrrev_i32_e32 v9, 31, v8
	v_lshlrev_b64 v[18:19], 2, v[8:9]
	v_mov_b32_e32 v9, s37
	v_add_co_u32_e32 v18, vcc, s36, v18
	v_addc_co_u32_e32 v19, vcc, v9, v19, vcc
	global_load_dword v9, v[18:19], off
	v_lshlrev_b32_e32 v18, 2, v8
	v_ashrrev_i32_e32 v19, 31, v18
	v_or_b32_e32 v20, s29, v18
	v_or_b32_e32 v24, s31, v18
	v_lshlrev_b64 v[18:19], 3, v[18:19]
	v_mov_b32_e32 v39, s39
	v_add_co_u32_e32 v26, vcc, s38, v18
	v_ashrrev_i32_e32 v21, 31, v20
	v_ashrrev_i32_e32 v25, 31, v24
	v_addc_co_u32_e32 v27, vcc, v39, v19, vcc
	v_lshlrev_b64 v[18:19], 3, v[20:21]
	v_lshlrev_b64 v[20:21], 3, v[24:25]
	v_add_co_u32_e32 v20, vcc, s38, v20
	v_addc_co_u32_e32 v21, vcc, v39, v21, vcc
	global_load_dwordx2 v[22:23], v[26:27], off
	global_load_dwordx2 v[24:25], v[20:21], off
	v_add_co_u32_e32 v40, vcc, s38, v18
	v_addc_co_u32_e32 v41, vcc, v39, v19, vcc
	global_load_dwordx2 v[18:19], v[40:41], off
	global_load_dwordx2 v[20:21], v[26:27], off offset:24
	s_mov_b64 s[42:43], 0
	s_waitcnt vmcnt(4)
	v_subrev_u32_e32 v9, s1, v9
	v_lshl_add_u32 v39, v9, 3, v9
	v_and_b32_e32 v39, 31, v39
	v_mov_b32_e32 v40, v39
	s_waitcnt vmcnt(2)
	v_mul_f64 v[26:27], v[16:17], v[24:25]
	v_fmac_f64_e32 v[26:27], v[14:15], v[22:23]
	s_branch .LBB27_18
.LBB27_17:                              ;   in Loop: Header=BB27_18 Depth=3
	s_or_b64 exec, exec, s[44:45]
	s_xor_b64 s[44:45], s[46:47], -1
	s_and_b64 s[44:45], exec, s[44:45]
	s_or_b64 s[42:43], s[44:45], s[42:43]
	s_andn2_b64 exec, exec, s[42:43]
	s_cbranch_execz .LBB27_28
.LBB27_18:                              ;   Parent Loop BB27_13 Depth=1
                                        ;     Parent Loop BB27_16 Depth=2
                                        ; =>    This Inner Loop Header: Depth=3
	v_lshl_add_u32 v41, v40, 2, v28
	ds_read_b32 v42, v41
                                        ; implicit-def: $sgpr46_sgpr47
	s_waitcnt lgkmcnt(0)
	v_cmp_ne_u32_e32 vcc, v42, v9
	s_and_saveexec_b64 s[44:45], vcc
	s_xor_b64 s[44:45], exec, s[44:45]
	s_cbranch_execz .LBB27_26
; %bb.19:                               ;   in Loop: Header=BB27_18 Depth=3
	v_cmp_ne_u32_e32 vcc, s30, v42
                                        ; implicit-def: $sgpr46_sgpr47
	s_and_saveexec_b64 s[48:49], vcc
	s_xor_b64 s[48:49], exec, s[48:49]
; %bb.20:                               ;   in Loop: Header=BB27_18 Depth=3
	v_add_u32_e32 v40, 1, v40
	v_and_b32_e32 v40, 31, v40
	s_mov_b64 s[46:47], -1
                                        ; implicit-def: $vgpr41
; %bb.21:                               ;   in Loop: Header=BB27_18 Depth=3
	s_andn2_saveexec_b64 s[48:49], s[48:49]
	s_cbranch_execz .LBB27_25
; %bb.22:                               ;   in Loop: Header=BB27_18 Depth=3
	v_mov_b32_e32 v42, s30
	ds_cmpst_rtn_b32 v41, v41, v42, v9
	s_mov_b64 s[50:51], -1
	s_waitcnt lgkmcnt(0)
	v_cmp_eq_u32_e32 vcc, s30, v41
	s_and_saveexec_b64 s[52:53], vcc
	s_cbranch_execz .LBB27_24
; %bb.23:                               ;   in Loop: Header=BB27_18 Depth=3
	v_lshl_add_u32 v41, v40, 5, v31
	ds_add_f64 v41, v[26:27]
	s_xor_b64 s[50:51], exec, -1
.LBB27_24:                              ;   in Loop: Header=BB27_18 Depth=3
	s_or_b64 exec, exec, s[52:53]
	s_andn2_b64 s[46:47], s[46:47], exec
	s_and_b64 s[50:51], s[50:51], exec
	s_or_b64 s[46:47], s[46:47], s[50:51]
.LBB27_25:                              ;   in Loop: Header=BB27_18 Depth=3
	s_or_b64 exec, exec, s[48:49]
	s_and_b64 s[46:47], s[46:47], exec
.LBB27_26:                              ;   in Loop: Header=BB27_18 Depth=3
	s_andn2_saveexec_b64 s[44:45], s[44:45]
	s_cbranch_execz .LBB27_17
; %bb.27:                               ;   in Loop: Header=BB27_18 Depth=3
	v_lshl_add_u32 v41, v40, 5, v31
	ds_add_f64 v41, v[26:27]
	s_andn2_b64 s[46:47], s[46:47], exec
	s_branch .LBB27_17
.LBB27_28:                              ;   in Loop: Header=BB27_16 Depth=2
	s_or_b64 exec, exec, s[42:43]
	s_waitcnt vmcnt(0)
	v_mul_f64 v[26:27], v[16:17], v[20:21]
	v_fmac_f64_e32 v[26:27], v[14:15], v[18:19]
	s_mov_b64 s[42:43], 0
	v_mov_b32_e32 v40, v39
	s_branch .LBB27_30
.LBB27_29:                              ;   in Loop: Header=BB27_30 Depth=3
	s_or_b64 exec, exec, s[44:45]
	s_xor_b64 s[44:45], s[46:47], -1
	s_and_b64 s[44:45], exec, s[44:45]
	s_or_b64 s[42:43], s[44:45], s[42:43]
	s_andn2_b64 exec, exec, s[42:43]
	s_cbranch_execz .LBB27_40
.LBB27_30:                              ;   Parent Loop BB27_13 Depth=1
                                        ;     Parent Loop BB27_16 Depth=2
                                        ; =>    This Inner Loop Header: Depth=3
	v_lshl_add_u32 v41, v40, 2, v28
	ds_read_b32 v42, v41
                                        ; implicit-def: $sgpr46_sgpr47
	s_waitcnt lgkmcnt(0)
	v_cmp_ne_u32_e32 vcc, v42, v9
	s_and_saveexec_b64 s[44:45], vcc
	s_xor_b64 s[44:45], exec, s[44:45]
	s_cbranch_execz .LBB27_38
; %bb.31:                               ;   in Loop: Header=BB27_30 Depth=3
	v_cmp_ne_u32_e32 vcc, s30, v42
                                        ; implicit-def: $sgpr46_sgpr47
	s_and_saveexec_b64 s[48:49], vcc
	s_xor_b64 s[48:49], exec, s[48:49]
; %bb.32:                               ;   in Loop: Header=BB27_30 Depth=3
	v_add_u32_e32 v40, 1, v40
	v_and_b32_e32 v40, 31, v40
	s_mov_b64 s[46:47], -1
                                        ; implicit-def: $vgpr41
; %bb.33:                               ;   in Loop: Header=BB27_30 Depth=3
	s_andn2_saveexec_b64 s[48:49], s[48:49]
	s_cbranch_execz .LBB27_37
; %bb.34:                               ;   in Loop: Header=BB27_30 Depth=3
	v_mov_b32_e32 v42, s30
	ds_cmpst_rtn_b32 v41, v41, v42, v9
	s_mov_b64 s[50:51], -1
	s_waitcnt lgkmcnt(0)
	v_cmp_eq_u32_e32 vcc, s30, v41
	s_and_saveexec_b64 s[52:53], vcc
	s_cbranch_execz .LBB27_36
; %bb.35:                               ;   in Loop: Header=BB27_30 Depth=3
	v_lshl_add_u32 v41, v40, 5, v34
	ds_add_f64 v41, v[26:27]
	s_xor_b64 s[50:51], exec, -1
.LBB27_36:                              ;   in Loop: Header=BB27_30 Depth=3
	s_or_b64 exec, exec, s[52:53]
	s_andn2_b64 s[46:47], s[46:47], exec
	s_and_b64 s[50:51], s[50:51], exec
	s_or_b64 s[46:47], s[46:47], s[50:51]
.LBB27_37:                              ;   in Loop: Header=BB27_30 Depth=3
	s_or_b64 exec, exec, s[48:49]
	s_and_b64 s[46:47], s[46:47], exec
.LBB27_38:                              ;   in Loop: Header=BB27_30 Depth=3
	s_andn2_saveexec_b64 s[44:45], s[44:45]
	s_cbranch_execz .LBB27_29
; %bb.39:                               ;   in Loop: Header=BB27_30 Depth=3
	v_lshl_add_u32 v41, v40, 5, v34
	ds_add_f64 v41, v[26:27]
	s_andn2_b64 s[46:47], s[46:47], exec
	s_branch .LBB27_29
.LBB27_40:                              ;   in Loop: Header=BB27_16 Depth=2
	s_or_b64 exec, exec, s[42:43]
	v_mul_f64 v[24:25], v[10:11], v[24:25]
	v_fmac_f64_e32 v[24:25], v[12:13], v[22:23]
	s_mov_b64 s[42:43], 0
	v_mov_b32_e32 v22, v39
	s_branch .LBB27_42
.LBB27_41:                              ;   in Loop: Header=BB27_42 Depth=3
	s_or_b64 exec, exec, s[44:45]
	s_xor_b64 s[44:45], s[46:47], -1
	s_and_b64 s[44:45], exec, s[44:45]
	s_or_b64 s[42:43], s[44:45], s[42:43]
	s_andn2_b64 exec, exec, s[42:43]
	s_cbranch_execz .LBB27_52
.LBB27_42:                              ;   Parent Loop BB27_13 Depth=1
                                        ;     Parent Loop BB27_16 Depth=2
                                        ; =>    This Inner Loop Header: Depth=3
	v_lshl_add_u32 v23, v22, 2, v28
	ds_read_b32 v26, v23
                                        ; implicit-def: $sgpr46_sgpr47
	s_waitcnt lgkmcnt(0)
	v_cmp_ne_u32_e32 vcc, v26, v9
	s_and_saveexec_b64 s[44:45], vcc
	s_xor_b64 s[44:45], exec, s[44:45]
	s_cbranch_execz .LBB27_50
; %bb.43:                               ;   in Loop: Header=BB27_42 Depth=3
	v_cmp_ne_u32_e32 vcc, s30, v26
                                        ; implicit-def: $sgpr46_sgpr47
	s_and_saveexec_b64 s[48:49], vcc
	s_xor_b64 s[48:49], exec, s[48:49]
; %bb.44:                               ;   in Loop: Header=BB27_42 Depth=3
	v_add_u32_e32 v22, 1, v22
	v_and_b32_e32 v22, 31, v22
	s_mov_b64 s[46:47], -1
                                        ; implicit-def: $vgpr23
; %bb.45:                               ;   in Loop: Header=BB27_42 Depth=3
	s_andn2_saveexec_b64 s[48:49], s[48:49]
	s_cbranch_execz .LBB27_49
; %bb.46:                               ;   in Loop: Header=BB27_42 Depth=3
	v_mov_b32_e32 v26, s30
	ds_cmpst_rtn_b32 v23, v23, v26, v9
	s_mov_b64 s[50:51], -1
	s_waitcnt lgkmcnt(0)
	v_cmp_eq_u32_e32 vcc, s30, v23
	s_and_saveexec_b64 s[52:53], vcc
	s_cbranch_execz .LBB27_48
; %bb.47:                               ;   in Loop: Header=BB27_42 Depth=3
	v_lshl_add_u32 v23, v22, 5, v35
	ds_add_f64 v23, v[24:25]
	s_xor_b64 s[50:51], exec, -1
.LBB27_48:                              ;   in Loop: Header=BB27_42 Depth=3
	s_or_b64 exec, exec, s[52:53]
	s_andn2_b64 s[46:47], s[46:47], exec
	s_and_b64 s[50:51], s[50:51], exec
	s_or_b64 s[46:47], s[46:47], s[50:51]
.LBB27_49:                              ;   in Loop: Header=BB27_42 Depth=3
	s_or_b64 exec, exec, s[48:49]
	s_and_b64 s[46:47], s[46:47], exec
.LBB27_50:                              ;   in Loop: Header=BB27_42 Depth=3
	s_andn2_saveexec_b64 s[44:45], s[44:45]
	s_cbranch_execz .LBB27_41
; %bb.51:                               ;   in Loop: Header=BB27_42 Depth=3
	v_lshl_add_u32 v23, v22, 5, v35
	ds_add_f64 v23, v[24:25]
	s_andn2_b64 s[46:47], s[46:47], exec
	s_branch .LBB27_41
.LBB27_52:                              ;   in Loop: Header=BB27_16 Depth=2
	s_or_b64 exec, exec, s[42:43]
	v_mul_f64 v[20:21], v[10:11], v[20:21]
	v_fmac_f64_e32 v[20:21], v[12:13], v[18:19]
	s_mov_b64 s[42:43], 0
	s_branch .LBB27_54
.LBB27_53:                              ;   in Loop: Header=BB27_54 Depth=3
	s_or_b64 exec, exec, s[44:45]
	s_xor_b64 s[44:45], s[46:47], -1
	s_and_b64 s[44:45], exec, s[44:45]
	s_or_b64 s[42:43], s[44:45], s[42:43]
	s_andn2_b64 exec, exec, s[42:43]
	s_cbranch_execz .LBB27_15
.LBB27_54:                              ;   Parent Loop BB27_13 Depth=1
                                        ;     Parent Loop BB27_16 Depth=2
                                        ; =>    This Inner Loop Header: Depth=3
	v_lshl_add_u32 v18, v39, 2, v28
	ds_read_b32 v19, v18
                                        ; implicit-def: $sgpr46_sgpr47
	s_waitcnt lgkmcnt(0)
	v_cmp_ne_u32_e32 vcc, v19, v9
	s_and_saveexec_b64 s[44:45], vcc
	s_xor_b64 s[44:45], exec, s[44:45]
	s_cbranch_execz .LBB27_62
; %bb.55:                               ;   in Loop: Header=BB27_54 Depth=3
	v_cmp_ne_u32_e32 vcc, s30, v19
                                        ; implicit-def: $sgpr46_sgpr47
	s_and_saveexec_b64 s[48:49], vcc
	s_xor_b64 s[48:49], exec, s[48:49]
; %bb.56:                               ;   in Loop: Header=BB27_54 Depth=3
	v_add_u32_e32 v18, 1, v39
	v_and_b32_e32 v39, 31, v18
	s_mov_b64 s[46:47], -1
                                        ; implicit-def: $vgpr18
; %bb.57:                               ;   in Loop: Header=BB27_54 Depth=3
	s_andn2_saveexec_b64 s[48:49], s[48:49]
	s_cbranch_execz .LBB27_61
; %bb.58:                               ;   in Loop: Header=BB27_54 Depth=3
	v_mov_b32_e32 v19, s30
	ds_cmpst_rtn_b32 v18, v18, v19, v9
	s_mov_b64 s[50:51], -1
	s_waitcnt lgkmcnt(0)
	v_cmp_eq_u32_e32 vcc, s30, v18
	s_and_saveexec_b64 s[52:53], vcc
	s_cbranch_execz .LBB27_60
; %bb.59:                               ;   in Loop: Header=BB27_54 Depth=3
	v_lshl_add_u32 v18, v39, 5, v36
	ds_add_f64 v18, v[20:21]
	s_xor_b64 s[50:51], exec, -1
.LBB27_60:                              ;   in Loop: Header=BB27_54 Depth=3
	s_or_b64 exec, exec, s[52:53]
	s_andn2_b64 s[46:47], s[46:47], exec
	s_and_b64 s[50:51], s[50:51], exec
	s_or_b64 s[46:47], s[46:47], s[50:51]
.LBB27_61:                              ;   in Loop: Header=BB27_54 Depth=3
	s_or_b64 exec, exec, s[48:49]
	s_and_b64 s[46:47], s[46:47], exec
.LBB27_62:                              ;   in Loop: Header=BB27_54 Depth=3
	s_andn2_saveexec_b64 s[44:45], s[44:45]
	s_cbranch_execz .LBB27_53
; %bb.63:                               ;   in Loop: Header=BB27_54 Depth=3
	v_lshl_add_u32 v18, v39, 5, v36
	ds_add_f64 v18, v[20:21]
	s_andn2_b64 s[46:47], s[46:47], exec
	s_branch .LBB27_53
.LBB27_64:
	s_or_b64 exec, exec, s[4:5]
.LBB27_65:
	v_lshlrev_b32_e32 v14, 7, v32
	s_andn2_b64 vcc, exec, s[34:35]
	s_waitcnt lgkmcnt(0)
	s_cbranch_vccnz .LBB27_118
; %bb.66:
	v_mov_b32_e32 v5, s9
	v_add_co_u32_e32 v4, vcc, s8, v0
	v_addc_co_u32_e32 v5, vcc, v5, v1, vcc
	global_load_dwordx2 v[4:5], v[4:5], off
	v_subrev_u32_e32 v6, s3, v30
	s_waitcnt vmcnt(0)
	v_subrev_u32_e32 v15, s3, v5
	v_add_u32_e32 v4, v4, v6
	v_cmp_lt_i32_e32 vcc, v4, v15
	s_and_saveexec_b64 s[0:1], vcc
	s_cbranch_execz .LBB27_117
; %bb.67:
	s_cmp_eq_u32 s28, 0
	s_cselect_b32 s29, 1, 2
	s_cselect_b32 s31, 2, 1
	v_add_u32_e32 v16, 8, v31
	v_add_u32_e32 v17, 16, v31
	v_add_u32_e32 v18, 24, v31
	s_mov_b64 s[4:5], 0
	v_mov_b32_e32 v19, s13
	v_mov_b32_e32 v20, s11
	s_branch .LBB27_69
.LBB27_68:                              ;   in Loop: Header=BB27_69 Depth=1
	s_or_b64 exec, exec, s[6:7]
	v_add_u32_e32 v4, 16, v4
	v_cmp_ge_i32_e32 vcc, v4, v15
	s_or_b64 s[4:5], vcc, s[4:5]
	s_andn2_b64 exec, exec, s[4:5]
	s_cbranch_execz .LBB27_117
.LBB27_69:                              ; =>This Loop Header: Depth=1
                                        ;     Child Loop BB27_71 Depth 2
                                        ;     Child Loop BB27_83 Depth 2
	;; [unrolled: 1-line block ×4, first 2 shown]
	v_lshlrev_b32_e32 v6, 2, v4
	v_ashrrev_i32_e32 v7, 31, v6
	v_or_b32_e32 v8, s29, v6
	v_or_b32_e32 v10, s31, v6
	v_lshlrev_b64 v[6:7], 3, v[6:7]
	v_add_co_u32_e32 v12, vcc, s12, v6
	v_ashrrev_i32_e32 v9, 31, v8
	v_addc_co_u32_e32 v13, vcc, v19, v7, vcc
	v_lshlrev_b64 v[6:7], 3, v[8:9]
	v_add_co_u32_e32 v24, vcc, s12, v6
	v_ashrrev_i32_e32 v5, 31, v4
	v_addc_co_u32_e32 v25, vcc, v19, v7, vcc
	;; [unrolled: 4-line block ×3, first 2 shown]
	v_lshlrev_b64 v[6:7], 3, v[10:11]
	global_load_dword v5, v[8:9], off
	v_add_co_u32_e32 v26, vcc, s12, v6
	v_addc_co_u32_e32 v27, vcc, v19, v7, vcc
	global_load_dwordx2 v[22:23], v[12:13], off
	global_load_dwordx2 v[8:9], v[26:27], off
	;; [unrolled: 1-line block ×3, first 2 shown]
	global_load_dwordx2 v[6:7], v[12:13], off offset:24
	s_mov_b64 s[6:7], 0
	s_waitcnt vmcnt(4)
	v_subrev_u32_e32 v5, s3, v5
	v_lshl_add_u32 v21, v5, 3, v5
	v_and_b32_e32 v21, 31, v21
	s_waitcnt vmcnt(3)
	v_mul_f64 v[12:13], v[2:3], v[22:23]
	v_mov_b32_e32 v22, v21
	s_branch .LBB27_71
.LBB27_70:                              ;   in Loop: Header=BB27_71 Depth=2
	s_or_b64 exec, exec, s[8:9]
	s_xor_b64 s[8:9], s[16:17], -1
	s_and_b64 s[8:9], exec, s[8:9]
	s_or_b64 s[6:7], s[8:9], s[6:7]
	s_andn2_b64 exec, exec, s[6:7]
	s_cbranch_execz .LBB27_81
.LBB27_71:                              ;   Parent Loop BB27_69 Depth=1
                                        ; =>  This Inner Loop Header: Depth=2
	v_lshl_add_u32 v23, v22, 2, v28
	ds_read_b32 v24, v23
                                        ; implicit-def: $sgpr16_sgpr17
	s_waitcnt lgkmcnt(0)
	v_cmp_ne_u32_e32 vcc, v24, v5
	s_and_saveexec_b64 s[8:9], vcc
	s_xor_b64 s[8:9], exec, s[8:9]
	s_cbranch_execz .LBB27_79
; %bb.72:                               ;   in Loop: Header=BB27_71 Depth=2
	v_cmp_ne_u32_e32 vcc, s30, v24
                                        ; implicit-def: $sgpr16_sgpr17
	s_and_saveexec_b64 s[18:19], vcc
	s_xor_b64 s[18:19], exec, s[18:19]
; %bb.73:                               ;   in Loop: Header=BB27_71 Depth=2
	v_add_u32_e32 v22, 1, v22
	v_and_b32_e32 v22, 31, v22
	s_mov_b64 s[16:17], -1
                                        ; implicit-def: $vgpr23
; %bb.74:                               ;   in Loop: Header=BB27_71 Depth=2
	s_andn2_saveexec_b64 s[18:19], s[18:19]
	s_cbranch_execz .LBB27_78
; %bb.75:                               ;   in Loop: Header=BB27_71 Depth=2
	v_mov_b32_e32 v24, s30
	ds_cmpst_rtn_b32 v23, v23, v24, v5
	s_mov_b64 s[20:21], -1
	s_waitcnt lgkmcnt(0)
	v_cmp_eq_u32_e32 vcc, s30, v23
	s_and_saveexec_b64 s[22:23], vcc
	s_cbranch_execz .LBB27_77
; %bb.76:                               ;   in Loop: Header=BB27_71 Depth=2
	v_lshl_add_u32 v23, v22, 5, v31
	ds_add_f64 v23, v[12:13]
	s_xor_b64 s[20:21], exec, -1
.LBB27_77:                              ;   in Loop: Header=BB27_71 Depth=2
	s_or_b64 exec, exec, s[22:23]
	s_andn2_b64 s[16:17], s[16:17], exec
	s_and_b64 s[20:21], s[20:21], exec
	s_or_b64 s[16:17], s[16:17], s[20:21]
.LBB27_78:                              ;   in Loop: Header=BB27_71 Depth=2
	s_or_b64 exec, exec, s[18:19]
	s_and_b64 s[16:17], s[16:17], exec
.LBB27_79:                              ;   in Loop: Header=BB27_71 Depth=2
	s_andn2_saveexec_b64 s[8:9], s[8:9]
	s_cbranch_execz .LBB27_70
; %bb.80:                               ;   in Loop: Header=BB27_71 Depth=2
	v_lshl_add_u32 v23, v22, 5, v31
	ds_add_f64 v23, v[12:13]
	s_andn2_b64 s[16:17], s[16:17], exec
	s_branch .LBB27_70
.LBB27_81:                              ;   in Loop: Header=BB27_69 Depth=1
	s_or_b64 exec, exec, s[6:7]
	s_waitcnt vmcnt(1)
	v_mul_f64 v[10:11], v[2:3], v[10:11]
	s_mov_b64 s[6:7], 0
	v_mov_b32_e32 v12, v21
	s_branch .LBB27_83
.LBB27_82:                              ;   in Loop: Header=BB27_83 Depth=2
	s_or_b64 exec, exec, s[8:9]
	s_xor_b64 s[8:9], s[16:17], -1
	s_and_b64 s[8:9], exec, s[8:9]
	s_or_b64 s[6:7], s[8:9], s[6:7]
	s_andn2_b64 exec, exec, s[6:7]
	s_cbranch_execz .LBB27_93
.LBB27_83:                              ;   Parent Loop BB27_69 Depth=1
                                        ; =>  This Inner Loop Header: Depth=2
	v_lshl_add_u32 v13, v12, 2, v28
	ds_read_b32 v22, v13
                                        ; implicit-def: $sgpr16_sgpr17
	s_waitcnt lgkmcnt(0)
	v_cmp_ne_u32_e32 vcc, v22, v5
	s_and_saveexec_b64 s[8:9], vcc
	s_xor_b64 s[8:9], exec, s[8:9]
	s_cbranch_execz .LBB27_91
; %bb.84:                               ;   in Loop: Header=BB27_83 Depth=2
	v_cmp_ne_u32_e32 vcc, s30, v22
                                        ; implicit-def: $sgpr16_sgpr17
	s_and_saveexec_b64 s[18:19], vcc
	s_xor_b64 s[18:19], exec, s[18:19]
; %bb.85:                               ;   in Loop: Header=BB27_83 Depth=2
	v_add_u32_e32 v12, 1, v12
	v_and_b32_e32 v12, 31, v12
	s_mov_b64 s[16:17], -1
                                        ; implicit-def: $vgpr13
; %bb.86:                               ;   in Loop: Header=BB27_83 Depth=2
	s_andn2_saveexec_b64 s[18:19], s[18:19]
	s_cbranch_execz .LBB27_90
; %bb.87:                               ;   in Loop: Header=BB27_83 Depth=2
	v_mov_b32_e32 v22, s30
	ds_cmpst_rtn_b32 v13, v13, v22, v5
	s_mov_b64 s[20:21], -1
	s_waitcnt lgkmcnt(0)
	v_cmp_eq_u32_e32 vcc, s30, v13
	s_and_saveexec_b64 s[22:23], vcc
	s_cbranch_execz .LBB27_89
; %bb.88:                               ;   in Loop: Header=BB27_83 Depth=2
	v_lshl_add_u32 v13, v12, 5, v16
	ds_add_f64 v13, v[10:11]
	s_xor_b64 s[20:21], exec, -1
.LBB27_89:                              ;   in Loop: Header=BB27_83 Depth=2
	s_or_b64 exec, exec, s[22:23]
	s_andn2_b64 s[16:17], s[16:17], exec
	s_and_b64 s[20:21], s[20:21], exec
	s_or_b64 s[16:17], s[16:17], s[20:21]
.LBB27_90:                              ;   in Loop: Header=BB27_83 Depth=2
	s_or_b64 exec, exec, s[18:19]
	s_and_b64 s[16:17], s[16:17], exec
.LBB27_91:                              ;   in Loop: Header=BB27_83 Depth=2
	s_andn2_saveexec_b64 s[8:9], s[8:9]
	s_cbranch_execz .LBB27_82
; %bb.92:                               ;   in Loop: Header=BB27_83 Depth=2
	v_lshl_add_u32 v13, v12, 5, v16
	ds_add_f64 v13, v[10:11]
	s_andn2_b64 s[16:17], s[16:17], exec
	s_branch .LBB27_82
.LBB27_93:                              ;   in Loop: Header=BB27_69 Depth=1
	s_or_b64 exec, exec, s[6:7]
	v_mul_f64 v[8:9], v[2:3], v[8:9]
	s_mov_b64 s[6:7], 0
	v_mov_b32_e32 v10, v21
	s_branch .LBB27_95
.LBB27_94:                              ;   in Loop: Header=BB27_95 Depth=2
	s_or_b64 exec, exec, s[8:9]
	s_xor_b64 s[8:9], s[16:17], -1
	s_and_b64 s[8:9], exec, s[8:9]
	s_or_b64 s[6:7], s[8:9], s[6:7]
	s_andn2_b64 exec, exec, s[6:7]
	s_cbranch_execz .LBB27_105
.LBB27_95:                              ;   Parent Loop BB27_69 Depth=1
                                        ; =>  This Inner Loop Header: Depth=2
	v_lshl_add_u32 v11, v10, 2, v28
	ds_read_b32 v12, v11
                                        ; implicit-def: $sgpr16_sgpr17
	s_waitcnt lgkmcnt(0)
	v_cmp_ne_u32_e32 vcc, v12, v5
	s_and_saveexec_b64 s[8:9], vcc
	s_xor_b64 s[8:9], exec, s[8:9]
	s_cbranch_execz .LBB27_103
; %bb.96:                               ;   in Loop: Header=BB27_95 Depth=2
	v_cmp_ne_u32_e32 vcc, s30, v12
                                        ; implicit-def: $sgpr16_sgpr17
	s_and_saveexec_b64 s[18:19], vcc
	s_xor_b64 s[18:19], exec, s[18:19]
; %bb.97:                               ;   in Loop: Header=BB27_95 Depth=2
	v_add_u32_e32 v10, 1, v10
	v_and_b32_e32 v10, 31, v10
	s_mov_b64 s[16:17], -1
                                        ; implicit-def: $vgpr11
; %bb.98:                               ;   in Loop: Header=BB27_95 Depth=2
	s_andn2_saveexec_b64 s[18:19], s[18:19]
	s_cbranch_execz .LBB27_102
; %bb.99:                               ;   in Loop: Header=BB27_95 Depth=2
	v_mov_b32_e32 v12, s30
	ds_cmpst_rtn_b32 v11, v11, v12, v5
	s_mov_b64 s[20:21], -1
	s_waitcnt lgkmcnt(0)
	v_cmp_eq_u32_e32 vcc, s30, v11
	s_and_saveexec_b64 s[22:23], vcc
	s_cbranch_execz .LBB27_101
; %bb.100:                              ;   in Loop: Header=BB27_95 Depth=2
	v_lshl_add_u32 v11, v10, 5, v17
	ds_add_f64 v11, v[8:9]
	s_xor_b64 s[20:21], exec, -1
.LBB27_101:                             ;   in Loop: Header=BB27_95 Depth=2
	s_or_b64 exec, exec, s[22:23]
	s_andn2_b64 s[16:17], s[16:17], exec
	s_and_b64 s[20:21], s[20:21], exec
	s_or_b64 s[16:17], s[16:17], s[20:21]
.LBB27_102:                             ;   in Loop: Header=BB27_95 Depth=2
	s_or_b64 exec, exec, s[18:19]
	s_and_b64 s[16:17], s[16:17], exec
.LBB27_103:                             ;   in Loop: Header=BB27_95 Depth=2
	s_andn2_saveexec_b64 s[8:9], s[8:9]
	s_cbranch_execz .LBB27_94
; %bb.104:                              ;   in Loop: Header=BB27_95 Depth=2
	v_lshl_add_u32 v11, v10, 5, v17
	ds_add_f64 v11, v[8:9]
	s_andn2_b64 s[16:17], s[16:17], exec
	s_branch .LBB27_94
.LBB27_105:                             ;   in Loop: Header=BB27_69 Depth=1
	s_or_b64 exec, exec, s[6:7]
	s_waitcnt vmcnt(0)
	v_mul_f64 v[6:7], v[2:3], v[6:7]
	s_mov_b64 s[6:7], 0
	s_branch .LBB27_107
.LBB27_106:                             ;   in Loop: Header=BB27_107 Depth=2
	s_or_b64 exec, exec, s[8:9]
	s_xor_b64 s[8:9], s[16:17], -1
	s_and_b64 s[8:9], exec, s[8:9]
	s_or_b64 s[6:7], s[8:9], s[6:7]
	s_andn2_b64 exec, exec, s[6:7]
	s_cbranch_execz .LBB27_68
.LBB27_107:                             ;   Parent Loop BB27_69 Depth=1
                                        ; =>  This Inner Loop Header: Depth=2
	v_lshl_add_u32 v8, v21, 2, v28
	ds_read_b32 v9, v8
                                        ; implicit-def: $sgpr16_sgpr17
	s_waitcnt lgkmcnt(0)
	v_cmp_ne_u32_e32 vcc, v9, v5
	s_and_saveexec_b64 s[8:9], vcc
	s_xor_b64 s[8:9], exec, s[8:9]
	s_cbranch_execz .LBB27_115
; %bb.108:                              ;   in Loop: Header=BB27_107 Depth=2
	v_cmp_ne_u32_e32 vcc, s30, v9
                                        ; implicit-def: $sgpr16_sgpr17
	s_and_saveexec_b64 s[18:19], vcc
	s_xor_b64 s[18:19], exec, s[18:19]
; %bb.109:                              ;   in Loop: Header=BB27_107 Depth=2
	v_add_u32_e32 v8, 1, v21
	v_and_b32_e32 v21, 31, v8
	s_mov_b64 s[16:17], -1
                                        ; implicit-def: $vgpr8
; %bb.110:                              ;   in Loop: Header=BB27_107 Depth=2
	s_andn2_saveexec_b64 s[18:19], s[18:19]
	s_cbranch_execz .LBB27_114
; %bb.111:                              ;   in Loop: Header=BB27_107 Depth=2
	v_mov_b32_e32 v9, s30
	ds_cmpst_rtn_b32 v8, v8, v9, v5
	s_mov_b64 s[20:21], -1
	s_waitcnt lgkmcnt(0)
	v_cmp_eq_u32_e32 vcc, s30, v8
	s_and_saveexec_b64 s[22:23], vcc
	s_cbranch_execz .LBB27_113
; %bb.112:                              ;   in Loop: Header=BB27_107 Depth=2
	v_lshl_add_u32 v8, v21, 5, v18
	ds_add_f64 v8, v[6:7]
	s_xor_b64 s[20:21], exec, -1
.LBB27_113:                             ;   in Loop: Header=BB27_107 Depth=2
	s_or_b64 exec, exec, s[22:23]
	s_andn2_b64 s[16:17], s[16:17], exec
	s_and_b64 s[20:21], s[20:21], exec
	s_or_b64 s[16:17], s[16:17], s[20:21]
.LBB27_114:                             ;   in Loop: Header=BB27_107 Depth=2
	s_or_b64 exec, exec, s[18:19]
	s_and_b64 s[16:17], s[16:17], exec
.LBB27_115:                             ;   in Loop: Header=BB27_107 Depth=2
	s_andn2_saveexec_b64 s[8:9], s[8:9]
	s_cbranch_execz .LBB27_106
; %bb.116:                              ;   in Loop: Header=BB27_107 Depth=2
	v_lshl_add_u32 v8, v21, 5, v18
	ds_add_f64 v8, v[6:7]
	s_andn2_b64 s[16:17], s[16:17], exec
	s_branch .LBB27_106
.LBB27_117:
	s_or_b64 exec, exec, s[0:1]
.LBB27_118:
	v_mov_b32_e32 v2, s15
	v_add_co_u32_e32 v0, vcc, s14, v0
	v_addc_co_u32_e32 v1, vcc, v2, v1, vcc
	s_waitcnt lgkmcnt(0)
	global_load_dword v2, v[0:1], off
	s_cmp_eq_u32 s28, 0
	v_lshl_add_u32 v1, v30, 2, v14
	v_lshl_add_u32 v0, v30, 5, v31
	s_cselect_b32 s3, 8, 16
	s_cselect_b32 s6, 16, 8
	v_or_b32_e32 v1, 0x4000, v1
	s_mov_b64 s[0:1], 0
	s_waitcnt vmcnt(0)
	v_subrev_u32_e32 v2, s2, v2
	s_branch .LBB27_120
.LBB27_119:                             ;   in Loop: Header=BB27_120 Depth=1
	s_or_b64 exec, exec, s[4:5]
	v_add_co_u32_e32 v29, vcc, 16, v29
	s_xor_b64 s[4:5], vcc, -1
	s_and_b64 s[4:5], exec, s[4:5]
	v_add_u32_e32 v0, 0x200, v0
	s_or_b64 s[0:1], s[4:5], s[0:1]
	v_add_u32_e32 v1, 64, v1
	s_andn2_b64 exec, exec, s[0:1]
	s_cbranch_execz .LBB27_122
.LBB27_120:                             ; =>This Inner Loop Header: Depth=1
	ds_read_b32 v3, v1
	s_waitcnt lgkmcnt(0)
	v_cmp_gt_i32_e32 vcc, s30, v3
	s_and_saveexec_b64 s[4:5], vcc
	s_cbranch_execz .LBB27_119
; %bb.121:                              ;   in Loop: Header=BB27_120 Depth=1
	ds_read_b128 v[4:7], v28
	ds_read_b128 v[8:11], v28 offset:16
	ds_read_b128 v[12:15], v28 offset:32
	;; [unrolled: 1-line block ×3, first 2 shown]
	s_waitcnt lgkmcnt(3)
	v_cmp_gt_i32_e32 vcc, v3, v4
	v_cndmask_b32_e64 v4, 0, 1, vcc
	v_cmp_gt_i32_e32 vcc, v3, v5
	v_addc_co_u32_e32 v4, vcc, v2, v4, vcc
	v_cmp_gt_i32_e32 vcc, v3, v6
	v_cndmask_b32_e64 v5, 0, 1, vcc
	v_cmp_gt_i32_e32 vcc, v3, v7
	v_addc_co_u32_e32 v4, vcc, v4, v5, vcc
	s_waitcnt lgkmcnt(2)
	v_cmp_gt_i32_e32 vcc, v3, v8
	v_cndmask_b32_e64 v5, 0, 1, vcc
	v_cmp_gt_i32_e32 vcc, v3, v9
	v_addc_co_u32_e32 v4, vcc, v4, v5, vcc
	v_cmp_gt_i32_e32 vcc, v3, v10
	v_cndmask_b32_e64 v5, 0, 1, vcc
	v_cmp_gt_i32_e32 vcc, v3, v11
	v_addc_co_u32_e32 v4, vcc, v4, v5, vcc
	;; [unrolled: 9-line block ×3, first 2 shown]
	s_waitcnt lgkmcnt(0)
	v_cmp_gt_i32_e32 vcc, v3, v16
	v_cndmask_b32_e64 v5, 0, 1, vcc
	v_cmp_gt_i32_e32 vcc, v3, v17
	v_addc_co_u32_e32 v8, vcc, v4, v5, vcc
	ds_read_b128 v[4:7], v28 offset:64
	v_cmp_gt_i32_e32 vcc, v3, v18
	v_cndmask_b32_e64 v9, 0, 1, vcc
	v_cmp_gt_i32_e32 vcc, v3, v19
	v_addc_co_u32_e32 v12, vcc, v8, v9, vcc
	ds_read_b128 v[8:11], v28 offset:80
	s_waitcnt lgkmcnt(1)
	v_cmp_gt_i32_e32 vcc, v3, v4
	v_cndmask_b32_e64 v4, 0, 1, vcc
	v_cmp_gt_i32_e32 vcc, v3, v5
	v_addc_co_u32_e32 v4, vcc, v12, v4, vcc
	v_cmp_gt_i32_e32 vcc, v3, v6
	v_cndmask_b32_e64 v5, 0, 1, vcc
	v_cmp_gt_i32_e32 vcc, v3, v7
	v_addc_co_u32_e32 v4, vcc, v4, v5, vcc
	s_waitcnt lgkmcnt(0)
	v_cmp_gt_i32_e32 vcc, v3, v8
	v_cndmask_b32_e64 v5, 0, 1, vcc
	v_cmp_gt_i32_e32 vcc, v3, v9
	v_addc_co_u32_e32 v8, vcc, v4, v5, vcc
	ds_read_b128 v[4:7], v28 offset:96
	v_cmp_gt_i32_e32 vcc, v3, v10
	v_cndmask_b32_e64 v9, 0, 1, vcc
	v_cmp_gt_i32_e32 vcc, v3, v11
	v_addc_co_u32_e32 v12, vcc, v8, v9, vcc
	ds_read_b128 v[8:11], v28 offset:112
	s_waitcnt lgkmcnt(1)
	v_cmp_gt_i32_e32 vcc, v3, v4
	v_cndmask_b32_e64 v4, 0, 1, vcc
	v_cmp_gt_i32_e32 vcc, v3, v5
	v_addc_co_u32_e32 v4, vcc, v12, v4, vcc
	v_cmp_gt_i32_e32 vcc, v3, v6
	v_cndmask_b32_e64 v5, 0, 1, vcc
	v_cmp_gt_i32_e32 vcc, v3, v7
	v_addc_co_u32_e32 v4, vcc, v4, v5, vcc
	s_waitcnt lgkmcnt(0)
	v_cmp_gt_i32_e32 vcc, v3, v8
	v_cndmask_b32_e64 v5, 0, 1, vcc
	v_cmp_gt_i32_e32 vcc, v3, v9
	v_addc_co_u32_e32 v4, vcc, v4, v5, vcc
	v_cmp_gt_i32_e32 vcc, v3, v10
	v_cndmask_b32_e64 v5, 0, 1, vcc
	v_cmp_gt_i32_e32 vcc, v3, v11
	v_addc_co_u32_e32 v8, vcc, v4, v5, vcc
	v_ashrrev_i32_e32 v9, 31, v8
	v_lshlrev_b64 v[4:5], 2, v[8:9]
	v_mov_b32_e32 v6, s25
	v_add_co_u32_e32 v4, vcc, s24, v4
	v_add_u32_e32 v3, s2, v3
	v_addc_co_u32_e32 v5, vcc, v6, v5, vcc
	global_store_dword v[4:5], v3, off
	ds_read2_b64 v[4:7], v0 offset1:3
	v_lshlrev_b32_e32 v8, 2, v8
	v_ashrrev_i32_e32 v9, 31, v8
	v_lshlrev_b64 v[12:13], 3, v[8:9]
	v_add_u32_e32 v10, s3, v0
	s_waitcnt lgkmcnt(0)
	v_mov_b32_e32 v8, v4
	v_add_u32_e32 v4, s6, v0
	v_mov_b32_e32 v9, v5
	ds_read_b64 v[10:11], v10
	ds_read_b64 v[4:5], v4
	v_mov_b32_e32 v3, s27
	v_add_co_u32_e32 v12, vcc, s26, v12
	v_addc_co_u32_e32 v13, vcc, v3, v13, vcc
	s_waitcnt lgkmcnt(1)
	global_store_dwordx4 v[12:13], v[8:11], off
	s_waitcnt lgkmcnt(0)
	global_store_dwordx4 v[12:13], v[4:7], off offset:16
	s_branch .LBB27_119
.LBB27_122:
	s_endpgm
	.section	.rodata,"a",@progbits
	.p2align	6, 0x0
	.amdhsa_kernel _ZN9rocsparseL27bsrgemm_fill_wf_per_row_2x2ILj256ELj16ELj32ELj137EiidEEv20rocsparse_direction_T4_S2_PKS2_S4_NS_24const_host_device_scalarIT5_EEPKT3_S4_PKS6_SA_S4_SC_S7_SA_S4_SC_SA_PS2_PS6_21rocsparse_index_base_SF_SF_SF_bbb
		.amdhsa_group_segment_fixed_size 18432
		.amdhsa_private_segment_fixed_size 0
		.amdhsa_kernarg_size 164
		.amdhsa_user_sgpr_count 6
		.amdhsa_user_sgpr_private_segment_buffer 1
		.amdhsa_user_sgpr_dispatch_ptr 0
		.amdhsa_user_sgpr_queue_ptr 0
		.amdhsa_user_sgpr_kernarg_segment_ptr 1
		.amdhsa_user_sgpr_dispatch_id 0
		.amdhsa_user_sgpr_flat_scratch_init 0
		.amdhsa_user_sgpr_kernarg_preload_length 0
		.amdhsa_user_sgpr_kernarg_preload_offset 0
		.amdhsa_user_sgpr_private_segment_size 0
		.amdhsa_uses_dynamic_stack 0
		.amdhsa_system_sgpr_private_segment_wavefront_offset 0
		.amdhsa_system_sgpr_workgroup_id_x 1
		.amdhsa_system_sgpr_workgroup_id_y 0
		.amdhsa_system_sgpr_workgroup_id_z 0
		.amdhsa_system_sgpr_workgroup_info 0
		.amdhsa_system_vgpr_workitem_id 0
		.amdhsa_next_free_vgpr 43
		.amdhsa_next_free_sgpr 54
		.amdhsa_accum_offset 44
		.amdhsa_reserve_vcc 1
		.amdhsa_reserve_flat_scratch 0
		.amdhsa_float_round_mode_32 0
		.amdhsa_float_round_mode_16_64 0
		.amdhsa_float_denorm_mode_32 3
		.amdhsa_float_denorm_mode_16_64 3
		.amdhsa_dx10_clamp 1
		.amdhsa_ieee_mode 1
		.amdhsa_fp16_overflow 0
		.amdhsa_tg_split 0
		.amdhsa_exception_fp_ieee_invalid_op 0
		.amdhsa_exception_fp_denorm_src 0
		.amdhsa_exception_fp_ieee_div_zero 0
		.amdhsa_exception_fp_ieee_overflow 0
		.amdhsa_exception_fp_ieee_underflow 0
		.amdhsa_exception_fp_ieee_inexact 0
		.amdhsa_exception_int_div_zero 0
	.end_amdhsa_kernel
	.section	.text._ZN9rocsparseL27bsrgemm_fill_wf_per_row_2x2ILj256ELj16ELj32ELj137EiidEEv20rocsparse_direction_T4_S2_PKS2_S4_NS_24const_host_device_scalarIT5_EEPKT3_S4_PKS6_SA_S4_SC_S7_SA_S4_SC_SA_PS2_PS6_21rocsparse_index_base_SF_SF_SF_bbb,"axG",@progbits,_ZN9rocsparseL27bsrgemm_fill_wf_per_row_2x2ILj256ELj16ELj32ELj137EiidEEv20rocsparse_direction_T4_S2_PKS2_S4_NS_24const_host_device_scalarIT5_EEPKT3_S4_PKS6_SA_S4_SC_S7_SA_S4_SC_SA_PS2_PS6_21rocsparse_index_base_SF_SF_SF_bbb,comdat
.Lfunc_end27:
	.size	_ZN9rocsparseL27bsrgemm_fill_wf_per_row_2x2ILj256ELj16ELj32ELj137EiidEEv20rocsparse_direction_T4_S2_PKS2_S4_NS_24const_host_device_scalarIT5_EEPKT3_S4_PKS6_SA_S4_SC_S7_SA_S4_SC_SA_PS2_PS6_21rocsparse_index_base_SF_SF_SF_bbb, .Lfunc_end27-_ZN9rocsparseL27bsrgemm_fill_wf_per_row_2x2ILj256ELj16ELj32ELj137EiidEEv20rocsparse_direction_T4_S2_PKS2_S4_NS_24const_host_device_scalarIT5_EEPKT3_S4_PKS6_SA_S4_SC_S7_SA_S4_SC_SA_PS2_PS6_21rocsparse_index_base_SF_SF_SF_bbb
                                        ; -- End function
	.section	.AMDGPU.csdata,"",@progbits
; Kernel info:
; codeLenInByte = 3792
; NumSgprs: 58
; NumVgprs: 43
; NumAgprs: 0
; TotalNumVgprs: 43
; ScratchSize: 0
; MemoryBound: 0
; FloatMode: 240
; IeeeMode: 1
; LDSByteSize: 18432 bytes/workgroup (compile time only)
; SGPRBlocks: 7
; VGPRBlocks: 5
; NumSGPRsForWavesPerEU: 58
; NumVGPRsForWavesPerEU: 43
; AccumOffset: 44
; Occupancy: 3
; WaveLimiterHint : 1
; COMPUTE_PGM_RSRC2:SCRATCH_EN: 0
; COMPUTE_PGM_RSRC2:USER_SGPR: 6
; COMPUTE_PGM_RSRC2:TRAP_HANDLER: 0
; COMPUTE_PGM_RSRC2:TGID_X_EN: 1
; COMPUTE_PGM_RSRC2:TGID_Y_EN: 0
; COMPUTE_PGM_RSRC2:TGID_Z_EN: 0
; COMPUTE_PGM_RSRC2:TIDIG_COMP_CNT: 0
; COMPUTE_PGM_RSRC3_GFX90A:ACCUM_OFFSET: 10
; COMPUTE_PGM_RSRC3_GFX90A:TG_SPLIT: 0
	.section	.text._ZN9rocsparseL30bsrgemm_fill_block_per_row_2x2ILj256ELj16ELj64ELj137EiidEEv20rocsparse_direction_T4_S2_PKS2_S4_NS_24const_host_device_scalarIT5_EEPKT3_S4_PKS6_SA_S4_SC_S7_SA_S4_SC_SA_PS2_PS6_21rocsparse_index_base_SF_SF_SF_bbb,"axG",@progbits,_ZN9rocsparseL30bsrgemm_fill_block_per_row_2x2ILj256ELj16ELj64ELj137EiidEEv20rocsparse_direction_T4_S2_PKS2_S4_NS_24const_host_device_scalarIT5_EEPKT3_S4_PKS6_SA_S4_SC_S7_SA_S4_SC_SA_PS2_PS6_21rocsparse_index_base_SF_SF_SF_bbb,comdat
	.globl	_ZN9rocsparseL30bsrgemm_fill_block_per_row_2x2ILj256ELj16ELj64ELj137EiidEEv20rocsparse_direction_T4_S2_PKS2_S4_NS_24const_host_device_scalarIT5_EEPKT3_S4_PKS6_SA_S4_SC_S7_SA_S4_SC_SA_PS2_PS6_21rocsparse_index_base_SF_SF_SF_bbb ; -- Begin function _ZN9rocsparseL30bsrgemm_fill_block_per_row_2x2ILj256ELj16ELj64ELj137EiidEEv20rocsparse_direction_T4_S2_PKS2_S4_NS_24const_host_device_scalarIT5_EEPKT3_S4_PKS6_SA_S4_SC_S7_SA_S4_SC_SA_PS2_PS6_21rocsparse_index_base_SF_SF_SF_bbb
	.p2align	8
	.type	_ZN9rocsparseL30bsrgemm_fill_block_per_row_2x2ILj256ELj16ELj64ELj137EiidEEv20rocsparse_direction_T4_S2_PKS2_S4_NS_24const_host_device_scalarIT5_EEPKT3_S4_PKS6_SA_S4_SC_S7_SA_S4_SC_SA_PS2_PS6_21rocsparse_index_base_SF_SF_SF_bbb,@function
_ZN9rocsparseL30bsrgemm_fill_block_per_row_2x2ILj256ELj16ELj64ELj137EiidEEv20rocsparse_direction_T4_S2_PKS2_S4_NS_24const_host_device_scalarIT5_EEPKT3_S4_PKS6_SA_S4_SC_S7_SA_S4_SC_SA_PS2_PS6_21rocsparse_index_base_SF_SF_SF_bbb: ; @_ZN9rocsparseL30bsrgemm_fill_block_per_row_2x2ILj256ELj16ELj64ELj137EiidEEv20rocsparse_direction_T4_S2_PKS2_S4_NS_24const_host_device_scalarIT5_EEPKT3_S4_PKS6_SA_S4_SC_S7_SA_S4_SC_SA_PS2_PS6_21rocsparse_index_base_SF_SF_SF_bbb
; %bb.0:
	s_load_dword s7, s[4:5], 0xa0
	s_load_dwordx2 s[2:3], s[4:5], 0x20
	s_load_dwordx2 s[0:1], s[4:5], 0x58
	s_waitcnt lgkmcnt(0)
	s_and_b32 s8, 1, s7
	s_bitcmp1_b32 s7, 16
	s_cselect_b64 s[10:11], -1, 0
	s_cmp_eq_u32 s8, 1
	s_cselect_b64 s[8:9], -1, 0
	s_and_b64 s[12:13], s[8:9], exec
	s_cselect_b32 s13, s3, 0
	s_cselect_b32 s12, s2, 0
	s_xor_b64 s[14:15], s[8:9], -1
	s_or_b64 s[14:15], s[14:15], s[10:11]
	s_and_b64 vcc, exec, s[14:15]
	v_pk_mov_b32 v[4:5], s[12:13], s[12:13] op_sel:[0,1]
	s_cbranch_vccnz .LBB28_2
; %bb.1:
	v_pk_mov_b32 v[2:3], s[2:3], s[2:3] op_sel:[0,1]
	flat_load_dwordx2 v[4:5], v[2:3]
.LBB28_2:
	s_bitcmp1_b32 s7, 8
	s_cselect_b64 s[2:3], -1, 0
	s_and_b64 s[12:13], s[2:3], exec
	s_cselect_b32 s13, s1, 0
	s_cselect_b32 s12, s0, 0
	s_xor_b64 s[14:15], s[2:3], -1
	s_or_b64 s[10:11], s[14:15], s[10:11]
	s_and_b64 vcc, exec, s[10:11]
	v_pk_mov_b32 v[2:3], s[12:13], s[12:13] op_sel:[0,1]
	s_cbranch_vccnz .LBB28_4
; %bb.3:
	v_pk_mov_b32 v[2:3], s[0:1], s[0:1] op_sel:[0,1]
	flat_load_dwordx2 v[2:3], v[2:3]
.LBB28_4:
	s_load_dword s33, s[4:5], 0x8
	v_cmp_gt_u32_e64 s[0:1], 64, v0
	v_lshl_add_u32 v1, v0, 2, 0
	s_and_saveexec_b64 s[10:11], s[0:1]
	s_cbranch_execz .LBB28_6
; %bb.5:
	s_waitcnt lgkmcnt(0)
	v_mov_b32_e32 v6, s33
	ds_write_b32 v1, v6
.LBB28_6:
	s_or_b64 exec, exec, s[10:11]
	s_load_dwordx4 s[16:19], s[4:5], 0x90
	s_load_dwordx2 s[10:11], s[4:5], 0x18
	s_movk_i32 s7, 0x100
	v_cmp_gt_u32_e32 vcc, s7, v0
	s_and_saveexec_b64 s[12:13], vcc
	s_cbranch_execz .LBB28_8
; %bb.7:
	v_mov_b32_e32 v6, 0
	v_lshl_add_u32 v8, v0, 3, 0
	v_mov_b32_e32 v7, v6
	ds_write_b64 v8, v[6:7] offset:256
.LBB28_8:
	s_or_b64 exec, exec, s[12:13]
	s_waitcnt lgkmcnt(0)
	s_cmp_eq_u64 s[10:11], 0
	s_barrier
	s_cbranch_scc1 .LBB28_10
; %bb.9:
	s_load_dwordx2 s[12:13], s[4:5], 0x10
	s_waitcnt lgkmcnt(0)
	s_load_dword s7, s[12:13], 0x0
	s_waitcnt lgkmcnt(0)
	s_add_i32 s6, s7, s6
	s_mov_b32 s7, 0
	s_lshl_b64 s[6:7], s[6:7], 2
	s_add_u32 s6, s10, s6
	s_addc_u32 s7, s11, s7
	s_load_dword s6, s[6:7], 0x0
.LBB28_10:
	s_nop 0
	s_load_dword s44, s[4:5], 0x0
	s_andn2_b64 vcc, exec, s[8:9]
	s_waitcnt lgkmcnt(0)
	s_ashr_i32 s7, s6, 31
	s_cbranch_vccnz .LBB28_66
; %bb.11:
	s_load_dwordx2 s[8:9], s[4:5], 0x28
	s_lshl_b64 s[10:11], s[6:7], 2
	v_lshrrev_b32_e32 v6, 4, v0
	v_subrev_u32_e32 v6, s16, v6
	s_waitcnt lgkmcnt(0)
	s_add_u32 s8, s8, s10
	s_addc_u32 s9, s9, s11
	s_load_dwordx2 s[8:9], s[8:9], 0x0
	s_waitcnt lgkmcnt(0)
	s_sub_i32 s45, s9, s16
	v_add_u32_e32 v6, s8, v6
	v_cmp_gt_i32_e32 vcc, s45, v6
	s_and_saveexec_b64 s[20:21], vcc
	s_cbranch_execz .LBB28_65
; %bb.12:
	s_load_dwordx2 s[22:23], s[4:5], 0x50
	s_load_dwordx8 s[8:15], s[4:5], 0x30
	v_and_b32_e32 v7, 15, v0
	s_cmp_eq_u32 s44, 0
	v_subrev_u32_e32 v29, s17, v7
	s_cselect_b32 s46, 1, 2
	s_cselect_b32 s47, 2, 1
	s_mov_b64 s[24:25], 0
	s_waitcnt lgkmcnt(0)
	v_mov_b32_e32 v30, s9
	v_mov_b32_e32 v31, s13
	s_branch .LBB28_14
.LBB28_13:                              ;   in Loop: Header=BB28_14 Depth=1
	s_or_b64 exec, exec, s[26:27]
	v_add_u32_e32 v6, 16, v6
	v_cmp_le_i32_e32 vcc, s45, v6
	s_or_b64 s[24:25], vcc, s[24:25]
	s_andn2_b64 exec, exec, s[24:25]
	s_cbranch_execz .LBB28_65
.LBB28_14:                              ; =>This Loop Header: Depth=1
                                        ;     Child Loop BB28_17 Depth 2
                                        ;       Child Loop BB28_19 Depth 3
                                        ;       Child Loop BB28_31 Depth 3
	;; [unrolled: 1-line block ×4, first 2 shown]
	v_ashrrev_i32_e32 v7, 31, v6
	v_lshlrev_b64 v[8:9], 2, v[6:7]
	v_add_co_u32_e32 v8, vcc, s8, v8
	v_addc_co_u32_e32 v9, vcc, v30, v9, vcc
	global_load_dword v7, v[8:9], off
	s_waitcnt vmcnt(0)
	v_subrev_u32_e32 v8, s16, v7
	v_ashrrev_i32_e32 v9, 31, v8
	v_lshlrev_b64 v[8:9], 2, v[8:9]
	v_add_co_u32_e32 v8, vcc, s12, v8
	v_addc_co_u32_e32 v9, vcc, v31, v9, vcc
	global_load_dwordx2 v[8:9], v[8:9], off
	s_waitcnt vmcnt(0)
	v_subrev_u32_e32 v7, s17, v9
	v_add_u32_e32 v8, v8, v29
	v_cmp_lt_i32_e32 vcc, v8, v7
	s_and_saveexec_b64 s[26:27], vcc
	s_cbranch_execz .LBB28_13
; %bb.15:                               ;   in Loop: Header=BB28_14 Depth=1
	v_lshlrev_b32_e32 v10, 2, v6
	v_ashrrev_i32_e32 v11, 31, v10
	v_or_b32_e32 v12, s46, v10
	v_or_b32_e32 v14, s47, v10
	v_lshlrev_b64 v[10:11], 3, v[10:11]
	v_mov_b32_e32 v9, s11
	v_add_co_u32_e32 v10, vcc, s10, v10
	v_ashrrev_i32_e32 v15, 31, v14
	v_addc_co_u32_e32 v11, vcc, v9, v11, vcc
	v_lshlrev_b64 v[14:15], 3, v[14:15]
	v_add_co_u32_e32 v14, vcc, s10, v14
	v_ashrrev_i32_e32 v13, 31, v12
	v_addc_co_u32_e32 v15, vcc, v9, v15, vcc
	v_lshlrev_b64 v[12:13], 3, v[12:13]
	v_add_co_u32_e32 v12, vcc, s10, v12
	v_addc_co_u32_e32 v13, vcc, v9, v13, vcc
	global_load_dwordx2 v[16:17], v[10:11], off offset:24
	global_load_dwordx2 v[18:19], v[14:15], off
	global_load_dwordx2 v[20:21], v[12:13], off
	global_load_dwordx2 v[22:23], v[10:11], off
	s_mov_b64 s[28:29], 0
	s_waitcnt vmcnt(3)
	v_mul_f64 v[10:11], v[4:5], v[16:17]
	s_waitcnt vmcnt(2)
	v_mul_f64 v[12:13], v[4:5], v[18:19]
	s_waitcnt vmcnt(1)
	v_mul_f64 v[14:15], v[4:5], v[20:21]
	s_waitcnt vmcnt(0)
	v_mul_f64 v[16:17], v[4:5], v[22:23]
	s_branch .LBB28_17
.LBB28_16:                              ;   in Loop: Header=BB28_17 Depth=2
	s_or_b64 exec, exec, s[30:31]
	v_add_u32_e32 v8, 16, v8
	v_cmp_ge_i32_e32 vcc, v8, v7
	s_or_b64 s[28:29], vcc, s[28:29]
	s_andn2_b64 exec, exec, s[28:29]
	s_cbranch_execz .LBB28_13
.LBB28_17:                              ;   Parent Loop BB28_14 Depth=1
                                        ; =>  This Loop Header: Depth=2
                                        ;       Child Loop BB28_19 Depth 3
                                        ;       Child Loop BB28_31 Depth 3
	;; [unrolled: 1-line block ×4, first 2 shown]
	v_ashrrev_i32_e32 v9, 31, v8
	v_lshlrev_b64 v[18:19], 2, v[8:9]
	v_mov_b32_e32 v9, s15
	v_add_co_u32_e32 v18, vcc, s14, v18
	v_addc_co_u32_e32 v19, vcc, v9, v19, vcc
	global_load_dword v9, v[18:19], off
	v_lshlrev_b32_e32 v18, 2, v8
	v_ashrrev_i32_e32 v19, 31, v18
	v_or_b32_e32 v20, s46, v18
	v_or_b32_e32 v24, s47, v18
	v_lshlrev_b64 v[18:19], 3, v[18:19]
	v_mov_b32_e32 v28, s23
	v_add_co_u32_e32 v26, vcc, s22, v18
	v_ashrrev_i32_e32 v21, 31, v20
	v_ashrrev_i32_e32 v25, 31, v24
	v_addc_co_u32_e32 v27, vcc, v28, v19, vcc
	v_lshlrev_b64 v[18:19], 3, v[20:21]
	v_lshlrev_b64 v[20:21], 3, v[24:25]
	v_add_co_u32_e32 v20, vcc, s22, v20
	v_addc_co_u32_e32 v21, vcc, v28, v21, vcc
	global_load_dwordx2 v[22:23], v[26:27], off
	global_load_dwordx2 v[24:25], v[20:21], off
	v_add_co_u32_e32 v32, vcc, s22, v18
	v_addc_co_u32_e32 v33, vcc, v28, v19, vcc
	global_load_dwordx2 v[18:19], v[32:33], off
	global_load_dwordx2 v[20:21], v[26:27], off offset:24
	s_mov_b64 s[30:31], 0
	s_waitcnt vmcnt(4)
	v_subrev_u32_e32 v9, s17, v9
	v_lshl_add_u32 v28, v9, 3, v9
	v_and_b32_e32 v32, 63, v28
	v_mov_b32_e32 v33, v32
	s_waitcnt vmcnt(2)
	v_mul_f64 v[26:27], v[14:15], v[24:25]
	v_fmac_f64_e32 v[26:27], v[16:17], v[22:23]
	s_branch .LBB28_19
.LBB28_18:                              ;   in Loop: Header=BB28_19 Depth=3
	s_or_b64 exec, exec, s[34:35]
	s_xor_b64 s[34:35], s[36:37], -1
	s_and_b64 s[34:35], exec, s[34:35]
	s_or_b64 s[30:31], s[34:35], s[30:31]
	s_andn2_b64 exec, exec, s[30:31]
	s_cbranch_execz .LBB28_29
.LBB28_19:                              ;   Parent Loop BB28_14 Depth=1
                                        ;     Parent Loop BB28_17 Depth=2
                                        ; =>    This Inner Loop Header: Depth=3
	v_lshl_add_u32 v28, v33, 2, 0
	ds_read_b32 v34, v28
                                        ; implicit-def: $sgpr36_sgpr37
	s_waitcnt lgkmcnt(0)
	v_cmp_ne_u32_e32 vcc, v34, v9
	s_and_saveexec_b64 s[34:35], vcc
	s_xor_b64 s[34:35], exec, s[34:35]
	s_cbranch_execz .LBB28_27
; %bb.20:                               ;   in Loop: Header=BB28_19 Depth=3
	v_cmp_ne_u32_e32 vcc, s33, v34
                                        ; implicit-def: $sgpr36_sgpr37
	s_and_saveexec_b64 s[38:39], vcc
	s_xor_b64 s[38:39], exec, s[38:39]
; %bb.21:                               ;   in Loop: Header=BB28_19 Depth=3
	v_add_u32_e32 v28, 1, v33
	v_and_b32_e32 v33, 63, v28
	s_mov_b64 s[36:37], -1
                                        ; implicit-def: $vgpr28
; %bb.22:                               ;   in Loop: Header=BB28_19 Depth=3
	s_andn2_saveexec_b64 s[38:39], s[38:39]
	s_cbranch_execz .LBB28_26
; %bb.23:                               ;   in Loop: Header=BB28_19 Depth=3
	v_mov_b32_e32 v34, s33
	ds_cmpst_rtn_b32 v34, v28, v34, v9
	s_mov_b64 s[40:41], -1
	s_waitcnt lgkmcnt(0)
	v_cmp_eq_u32_e32 vcc, s33, v34
	s_and_saveexec_b64 s[42:43], vcc
	s_cbranch_execz .LBB28_25
; %bb.24:                               ;   in Loop: Header=BB28_19 Depth=3
	v_mad_u64_u32 v[34:35], s[40:41], v33, 28, v[28:29]
	ds_add_f64 v34, v[26:27] offset:256
	s_xor_b64 s[40:41], exec, -1
.LBB28_25:                              ;   in Loop: Header=BB28_19 Depth=3
	s_or_b64 exec, exec, s[42:43]
	s_andn2_b64 s[36:37], s[36:37], exec
	s_and_b64 s[40:41], s[40:41], exec
	s_or_b64 s[36:37], s[36:37], s[40:41]
.LBB28_26:                              ;   in Loop: Header=BB28_19 Depth=3
	s_or_b64 exec, exec, s[38:39]
	s_and_b64 s[36:37], s[36:37], exec
                                        ; implicit-def: $vgpr28
.LBB28_27:                              ;   in Loop: Header=BB28_19 Depth=3
	s_andn2_saveexec_b64 s[34:35], s[34:35]
	s_cbranch_execz .LBB28_18
; %bb.28:                               ;   in Loop: Header=BB28_19 Depth=3
	v_mad_u64_u32 v[34:35], s[38:39], v33, 28, v[28:29]
	ds_add_f64 v34, v[26:27] offset:256
	s_andn2_b64 s[36:37], s[36:37], exec
	s_branch .LBB28_18
.LBB28_29:                              ;   in Loop: Header=BB28_17 Depth=2
	s_or_b64 exec, exec, s[30:31]
	s_waitcnt vmcnt(0)
	v_mul_f64 v[26:27], v[14:15], v[20:21]
	v_fmac_f64_e32 v[26:27], v[16:17], v[18:19]
	s_mov_b64 s[30:31], 0
	v_mov_b32_e32 v33, v32
	s_branch .LBB28_31
.LBB28_30:                              ;   in Loop: Header=BB28_31 Depth=3
	s_or_b64 exec, exec, s[34:35]
	s_xor_b64 s[34:35], s[36:37], -1
	s_and_b64 s[34:35], exec, s[34:35]
	s_or_b64 s[30:31], s[34:35], s[30:31]
	s_andn2_b64 exec, exec, s[30:31]
	s_cbranch_execz .LBB28_41
.LBB28_31:                              ;   Parent Loop BB28_14 Depth=1
                                        ;     Parent Loop BB28_17 Depth=2
                                        ; =>    This Inner Loop Header: Depth=3
	v_lshl_add_u32 v28, v33, 2, 0
	ds_read_b32 v34, v28
                                        ; implicit-def: $sgpr36_sgpr37
	s_waitcnt lgkmcnt(0)
	v_cmp_ne_u32_e32 vcc, v34, v9
	s_and_saveexec_b64 s[34:35], vcc
	s_xor_b64 s[34:35], exec, s[34:35]
	s_cbranch_execz .LBB28_39
; %bb.32:                               ;   in Loop: Header=BB28_31 Depth=3
	v_cmp_ne_u32_e32 vcc, s33, v34
                                        ; implicit-def: $sgpr36_sgpr37
	s_and_saveexec_b64 s[38:39], vcc
	s_xor_b64 s[38:39], exec, s[38:39]
; %bb.33:                               ;   in Loop: Header=BB28_31 Depth=3
	v_add_u32_e32 v28, 1, v33
	v_and_b32_e32 v33, 63, v28
	s_mov_b64 s[36:37], -1
                                        ; implicit-def: $vgpr28
; %bb.34:                               ;   in Loop: Header=BB28_31 Depth=3
	s_andn2_saveexec_b64 s[38:39], s[38:39]
	s_cbranch_execz .LBB28_38
; %bb.35:                               ;   in Loop: Header=BB28_31 Depth=3
	v_mov_b32_e32 v34, s33
	ds_cmpst_rtn_b32 v34, v28, v34, v9
	s_mov_b64 s[40:41], -1
	s_waitcnt lgkmcnt(0)
	v_cmp_eq_u32_e32 vcc, s33, v34
	s_and_saveexec_b64 s[42:43], vcc
	s_cbranch_execz .LBB28_37
; %bb.36:                               ;   in Loop: Header=BB28_31 Depth=3
	v_mad_u64_u32 v[34:35], s[40:41], v33, 28, v[28:29]
	ds_add_f64 v34, v[26:27] offset:264
	s_xor_b64 s[40:41], exec, -1
.LBB28_37:                              ;   in Loop: Header=BB28_31 Depth=3
	s_or_b64 exec, exec, s[42:43]
	s_andn2_b64 s[36:37], s[36:37], exec
	s_and_b64 s[40:41], s[40:41], exec
	s_or_b64 s[36:37], s[36:37], s[40:41]
.LBB28_38:                              ;   in Loop: Header=BB28_31 Depth=3
	s_or_b64 exec, exec, s[38:39]
	s_and_b64 s[36:37], s[36:37], exec
                                        ; implicit-def: $vgpr28
.LBB28_39:                              ;   in Loop: Header=BB28_31 Depth=3
	s_andn2_saveexec_b64 s[34:35], s[34:35]
	s_cbranch_execz .LBB28_30
; %bb.40:                               ;   in Loop: Header=BB28_31 Depth=3
	v_mad_u64_u32 v[34:35], s[38:39], v33, 28, v[28:29]
	ds_add_f64 v34, v[26:27] offset:264
	s_andn2_b64 s[36:37], s[36:37], exec
	s_branch .LBB28_30
.LBB28_41:                              ;   in Loop: Header=BB28_17 Depth=2
	s_or_b64 exec, exec, s[30:31]
	v_mul_f64 v[24:25], v[10:11], v[24:25]
	v_fmac_f64_e32 v[24:25], v[12:13], v[22:23]
	s_mov_b64 s[30:31], 0
	v_mov_b32_e32 v23, v32
	s_branch .LBB28_43
.LBB28_42:                              ;   in Loop: Header=BB28_43 Depth=3
	s_or_b64 exec, exec, s[34:35]
	s_xor_b64 s[34:35], s[36:37], -1
	s_and_b64 s[34:35], exec, s[34:35]
	s_or_b64 s[30:31], s[34:35], s[30:31]
	s_andn2_b64 exec, exec, s[30:31]
	s_cbranch_execz .LBB28_53
.LBB28_43:                              ;   Parent Loop BB28_14 Depth=1
                                        ;     Parent Loop BB28_17 Depth=2
                                        ; =>    This Inner Loop Header: Depth=3
	v_lshl_add_u32 v22, v23, 2, 0
	ds_read_b32 v26, v22
                                        ; implicit-def: $sgpr36_sgpr37
	s_waitcnt lgkmcnt(0)
	v_cmp_ne_u32_e32 vcc, v26, v9
	s_and_saveexec_b64 s[34:35], vcc
	s_xor_b64 s[34:35], exec, s[34:35]
	s_cbranch_execz .LBB28_51
; %bb.44:                               ;   in Loop: Header=BB28_43 Depth=3
	v_cmp_ne_u32_e32 vcc, s33, v26
                                        ; implicit-def: $sgpr36_sgpr37
	s_and_saveexec_b64 s[38:39], vcc
	s_xor_b64 s[38:39], exec, s[38:39]
; %bb.45:                               ;   in Loop: Header=BB28_43 Depth=3
	v_add_u32_e32 v22, 1, v23
	v_and_b32_e32 v23, 63, v22
	s_mov_b64 s[36:37], -1
                                        ; implicit-def: $vgpr22
; %bb.46:                               ;   in Loop: Header=BB28_43 Depth=3
	s_andn2_saveexec_b64 s[38:39], s[38:39]
	s_cbranch_execz .LBB28_50
; %bb.47:                               ;   in Loop: Header=BB28_43 Depth=3
	v_mov_b32_e32 v26, s33
	ds_cmpst_rtn_b32 v26, v22, v26, v9
	s_mov_b64 s[40:41], -1
	s_waitcnt lgkmcnt(0)
	v_cmp_eq_u32_e32 vcc, s33, v26
	s_and_saveexec_b64 s[42:43], vcc
	s_cbranch_execz .LBB28_49
; %bb.48:                               ;   in Loop: Header=BB28_43 Depth=3
	v_mad_u64_u32 v[26:27], s[40:41], v23, 28, v[22:23]
	ds_add_f64 v26, v[24:25] offset:272
	s_xor_b64 s[40:41], exec, -1
.LBB28_49:                              ;   in Loop: Header=BB28_43 Depth=3
	s_or_b64 exec, exec, s[42:43]
	s_andn2_b64 s[36:37], s[36:37], exec
	s_and_b64 s[40:41], s[40:41], exec
	s_or_b64 s[36:37], s[36:37], s[40:41]
.LBB28_50:                              ;   in Loop: Header=BB28_43 Depth=3
	s_or_b64 exec, exec, s[38:39]
	s_and_b64 s[36:37], s[36:37], exec
                                        ; implicit-def: $vgpr22
.LBB28_51:                              ;   in Loop: Header=BB28_43 Depth=3
	s_andn2_saveexec_b64 s[34:35], s[34:35]
	s_cbranch_execz .LBB28_42
; %bb.52:                               ;   in Loop: Header=BB28_43 Depth=3
	v_mad_u64_u32 v[26:27], s[38:39], v23, 28, v[22:23]
	ds_add_f64 v26, v[24:25] offset:272
	s_andn2_b64 s[36:37], s[36:37], exec
	s_branch .LBB28_42
.LBB28_53:                              ;   in Loop: Header=BB28_17 Depth=2
	s_or_b64 exec, exec, s[30:31]
	v_mul_f64 v[20:21], v[10:11], v[20:21]
	v_fmac_f64_e32 v[20:21], v[12:13], v[18:19]
	s_mov_b64 s[30:31], 0
	s_branch .LBB28_55
.LBB28_54:                              ;   in Loop: Header=BB28_55 Depth=3
	s_or_b64 exec, exec, s[34:35]
	s_xor_b64 s[34:35], s[36:37], -1
	s_and_b64 s[34:35], exec, s[34:35]
	s_or_b64 s[30:31], s[34:35], s[30:31]
	s_andn2_b64 exec, exec, s[30:31]
	s_cbranch_execz .LBB28_16
.LBB28_55:                              ;   Parent Loop BB28_14 Depth=1
                                        ;     Parent Loop BB28_17 Depth=2
                                        ; =>    This Inner Loop Header: Depth=3
	v_lshl_add_u32 v18, v32, 2, 0
	ds_read_b32 v19, v18
                                        ; implicit-def: $sgpr36_sgpr37
	s_waitcnt lgkmcnt(0)
	v_cmp_ne_u32_e32 vcc, v19, v9
	s_and_saveexec_b64 s[34:35], vcc
	s_xor_b64 s[34:35], exec, s[34:35]
	s_cbranch_execz .LBB28_63
; %bb.56:                               ;   in Loop: Header=BB28_55 Depth=3
	v_cmp_ne_u32_e32 vcc, s33, v19
                                        ; implicit-def: $sgpr36_sgpr37
	s_and_saveexec_b64 s[38:39], vcc
	s_xor_b64 s[38:39], exec, s[38:39]
; %bb.57:                               ;   in Loop: Header=BB28_55 Depth=3
	v_add_u32_e32 v18, 1, v32
	v_and_b32_e32 v32, 63, v18
	s_mov_b64 s[36:37], -1
                                        ; implicit-def: $vgpr18
; %bb.58:                               ;   in Loop: Header=BB28_55 Depth=3
	s_andn2_saveexec_b64 s[38:39], s[38:39]
	s_cbranch_execz .LBB28_62
; %bb.59:                               ;   in Loop: Header=BB28_55 Depth=3
	v_mov_b32_e32 v19, s33
	ds_cmpst_rtn_b32 v19, v18, v19, v9
	s_mov_b64 s[40:41], -1
	s_waitcnt lgkmcnt(0)
	v_cmp_eq_u32_e32 vcc, s33, v19
	s_and_saveexec_b64 s[42:43], vcc
	s_cbranch_execz .LBB28_61
; %bb.60:                               ;   in Loop: Header=BB28_55 Depth=3
	v_mad_u64_u32 v[18:19], s[40:41], v32, 28, v[18:19]
	ds_add_f64 v18, v[20:21] offset:280
	s_xor_b64 s[40:41], exec, -1
.LBB28_61:                              ;   in Loop: Header=BB28_55 Depth=3
	s_or_b64 exec, exec, s[42:43]
	s_andn2_b64 s[36:37], s[36:37], exec
	s_and_b64 s[40:41], s[40:41], exec
	s_or_b64 s[36:37], s[36:37], s[40:41]
.LBB28_62:                              ;   in Loop: Header=BB28_55 Depth=3
	s_or_b64 exec, exec, s[38:39]
	s_and_b64 s[36:37], s[36:37], exec
                                        ; implicit-def: $vgpr18
.LBB28_63:                              ;   in Loop: Header=BB28_55 Depth=3
	s_andn2_saveexec_b64 s[34:35], s[34:35]
	s_cbranch_execz .LBB28_54
; %bb.64:                               ;   in Loop: Header=BB28_55 Depth=3
	v_mad_u64_u32 v[18:19], s[38:39], v32, 28, v[18:19]
	ds_add_f64 v18, v[20:21] offset:280
	s_andn2_b64 s[36:37], s[36:37], exec
	s_branch .LBB28_54
.LBB28_65:
	s_or_b64 exec, exec, s[20:21]
.LBB28_66:
	s_andn2_b64 vcc, exec, s[2:3]
	s_waitcnt lgkmcnt(0)
	s_barrier
	s_cbranch_vccnz .LBB28_119
; %bb.67:
	s_load_dwordx2 s[2:3], s[4:5], 0x60
	s_lshl_b64 s[8:9], s[6:7], 2
	s_waitcnt vmcnt(0)
	v_subrev_u32_e32 v4, s19, v0
	s_waitcnt lgkmcnt(0)
	s_add_u32 s2, s2, s8
	s_addc_u32 s3, s3, s9
	s_load_dwordx2 s[2:3], s[2:3], 0x0
	s_waitcnt lgkmcnt(0)
	s_sub_i32 s28, s3, s19
	v_add_u32_e32 v4, s2, v4
	v_cmp_gt_i32_e32 vcc, s28, v4
	s_and_saveexec_b64 s[2:3], vcc
	s_cbranch_execz .LBB28_118
; %bb.68:
	s_load_dwordx4 s[8:11], s[4:5], 0x68
	s_cmp_eq_u32 s44, 0
	s_mov_b64 s[12:13], 0
	s_cselect_b32 s29, 1, 2
	s_cselect_b32 s30, 2, 1
	s_waitcnt lgkmcnt(0)
	v_mov_b32_e32 v15, s11
	v_mov_b32_e32 v16, s9
	s_branch .LBB28_70
.LBB28_69:                              ;   in Loop: Header=BB28_70 Depth=1
	s_or_b64 exec, exec, s[14:15]
	v_add_u32_e32 v4, 0x100, v4
	v_cmp_le_i32_e32 vcc, s28, v4
	s_or_b64 s[12:13], vcc, s[12:13]
	s_andn2_b64 exec, exec, s[12:13]
	s_cbranch_execz .LBB28_118
.LBB28_70:                              ; =>This Loop Header: Depth=1
                                        ;     Child Loop BB28_72 Depth 2
                                        ;     Child Loop BB28_84 Depth 2
	;; [unrolled: 1-line block ×4, first 2 shown]
	v_lshlrev_b32_e32 v6, 2, v4
	v_ashrrev_i32_e32 v7, 31, v6
	v_or_b32_e32 v8, s29, v6
	v_or_b32_e32 v10, s30, v6
	v_lshlrev_b64 v[6:7], 3, v[6:7]
	v_add_co_u32_e32 v12, vcc, s10, v6
	v_ashrrev_i32_e32 v9, 31, v8
	v_addc_co_u32_e32 v13, vcc, v15, v7, vcc
	v_lshlrev_b64 v[6:7], 3, v[8:9]
	v_add_co_u32_e32 v20, vcc, s10, v6
	v_ashrrev_i32_e32 v5, 31, v4
	v_addc_co_u32_e32 v21, vcc, v15, v7, vcc
	;; [unrolled: 4-line block ×3, first 2 shown]
	v_lshlrev_b64 v[6:7], 3, v[10:11]
	global_load_dword v5, v[8:9], off
	v_add_co_u32_e32 v22, vcc, s10, v6
	v_addc_co_u32_e32 v23, vcc, v15, v7, vcc
	global_load_dwordx2 v[18:19], v[12:13], off
	global_load_dwordx2 v[8:9], v[22:23], off
	;; [unrolled: 1-line block ×3, first 2 shown]
	global_load_dwordx2 v[6:7], v[12:13], off offset:24
	s_mov_b64 s[14:15], 0
	s_waitcnt vmcnt(4)
	v_subrev_u32_e32 v5, s19, v5
	v_lshl_add_u32 v14, v5, 3, v5
	v_and_b32_e32 v17, 63, v14
	s_waitcnt vmcnt(3)
	v_mul_f64 v[12:13], v[2:3], v[18:19]
	v_mov_b32_e32 v18, v17
	s_branch .LBB28_72
.LBB28_71:                              ;   in Loop: Header=BB28_72 Depth=2
	s_or_b64 exec, exec, s[16:17]
	s_xor_b64 s[16:17], s[20:21], -1
	s_and_b64 s[16:17], exec, s[16:17]
	s_or_b64 s[14:15], s[16:17], s[14:15]
	s_andn2_b64 exec, exec, s[14:15]
	s_cbranch_execz .LBB28_82
.LBB28_72:                              ;   Parent Loop BB28_70 Depth=1
                                        ; =>  This Inner Loop Header: Depth=2
	v_lshl_add_u32 v14, v18, 2, 0
	ds_read_b32 v19, v14
                                        ; implicit-def: $sgpr20_sgpr21
	s_waitcnt lgkmcnt(0)
	v_cmp_ne_u32_e32 vcc, v19, v5
	s_and_saveexec_b64 s[16:17], vcc
	s_xor_b64 s[16:17], exec, s[16:17]
	s_cbranch_execz .LBB28_80
; %bb.73:                               ;   in Loop: Header=BB28_72 Depth=2
	v_cmp_ne_u32_e32 vcc, s33, v19
                                        ; implicit-def: $sgpr20_sgpr21
	s_and_saveexec_b64 s[22:23], vcc
	s_xor_b64 s[22:23], exec, s[22:23]
; %bb.74:                               ;   in Loop: Header=BB28_72 Depth=2
	v_add_u32_e32 v14, 1, v18
	v_and_b32_e32 v18, 63, v14
	s_mov_b64 s[20:21], -1
                                        ; implicit-def: $vgpr14
; %bb.75:                               ;   in Loop: Header=BB28_72 Depth=2
	s_andn2_saveexec_b64 s[22:23], s[22:23]
	s_cbranch_execz .LBB28_79
; %bb.76:                               ;   in Loop: Header=BB28_72 Depth=2
	v_mov_b32_e32 v19, s33
	ds_cmpst_rtn_b32 v19, v14, v19, v5
	s_mov_b64 s[24:25], -1
	s_waitcnt lgkmcnt(0)
	v_cmp_eq_u32_e32 vcc, s33, v19
	s_and_saveexec_b64 s[26:27], vcc
	s_cbranch_execz .LBB28_78
; %bb.77:                               ;   in Loop: Header=BB28_72 Depth=2
	v_mad_u64_u32 v[20:21], s[24:25], v18, 28, v[14:15]
	ds_add_f64 v20, v[12:13] offset:256
	s_xor_b64 s[24:25], exec, -1
.LBB28_78:                              ;   in Loop: Header=BB28_72 Depth=2
	s_or_b64 exec, exec, s[26:27]
	s_andn2_b64 s[20:21], s[20:21], exec
	s_and_b64 s[24:25], s[24:25], exec
	s_or_b64 s[20:21], s[20:21], s[24:25]
.LBB28_79:                              ;   in Loop: Header=BB28_72 Depth=2
	s_or_b64 exec, exec, s[22:23]
	s_and_b64 s[20:21], s[20:21], exec
                                        ; implicit-def: $vgpr14
.LBB28_80:                              ;   in Loop: Header=BB28_72 Depth=2
	s_andn2_saveexec_b64 s[16:17], s[16:17]
	s_cbranch_execz .LBB28_71
; %bb.81:                               ;   in Loop: Header=BB28_72 Depth=2
	v_mad_u64_u32 v[20:21], s[22:23], v18, 28, v[14:15]
	ds_add_f64 v20, v[12:13] offset:256
	s_andn2_b64 s[20:21], s[20:21], exec
	s_branch .LBB28_71
.LBB28_82:                              ;   in Loop: Header=BB28_70 Depth=1
	s_or_b64 exec, exec, s[14:15]
	s_waitcnt vmcnt(1)
	v_mul_f64 v[10:11], v[2:3], v[10:11]
	s_mov_b64 s[14:15], 0
	v_mov_b32_e32 v13, v17
	s_branch .LBB28_84
.LBB28_83:                              ;   in Loop: Header=BB28_84 Depth=2
	s_or_b64 exec, exec, s[16:17]
	s_xor_b64 s[16:17], s[20:21], -1
	s_and_b64 s[16:17], exec, s[16:17]
	s_or_b64 s[14:15], s[16:17], s[14:15]
	s_andn2_b64 exec, exec, s[14:15]
	s_cbranch_execz .LBB28_94
.LBB28_84:                              ;   Parent Loop BB28_70 Depth=1
                                        ; =>  This Inner Loop Header: Depth=2
	v_lshl_add_u32 v12, v13, 2, 0
	ds_read_b32 v14, v12
                                        ; implicit-def: $sgpr20_sgpr21
	s_waitcnt lgkmcnt(0)
	v_cmp_ne_u32_e32 vcc, v14, v5
	s_and_saveexec_b64 s[16:17], vcc
	s_xor_b64 s[16:17], exec, s[16:17]
	s_cbranch_execz .LBB28_92
; %bb.85:                               ;   in Loop: Header=BB28_84 Depth=2
	v_cmp_ne_u32_e32 vcc, s33, v14
                                        ; implicit-def: $sgpr20_sgpr21
	s_and_saveexec_b64 s[22:23], vcc
	s_xor_b64 s[22:23], exec, s[22:23]
; %bb.86:                               ;   in Loop: Header=BB28_84 Depth=2
	v_add_u32_e32 v12, 1, v13
	v_and_b32_e32 v13, 63, v12
	s_mov_b64 s[20:21], -1
                                        ; implicit-def: $vgpr12
; %bb.87:                               ;   in Loop: Header=BB28_84 Depth=2
	s_andn2_saveexec_b64 s[22:23], s[22:23]
	s_cbranch_execz .LBB28_91
; %bb.88:                               ;   in Loop: Header=BB28_84 Depth=2
	v_mov_b32_e32 v14, s33
	ds_cmpst_rtn_b32 v14, v12, v14, v5
	s_mov_b64 s[24:25], -1
	s_waitcnt lgkmcnt(0)
	v_cmp_eq_u32_e32 vcc, s33, v14
	s_and_saveexec_b64 s[26:27], vcc
	s_cbranch_execz .LBB28_90
; %bb.89:                               ;   in Loop: Header=BB28_84 Depth=2
	v_mad_u64_u32 v[18:19], s[24:25], v13, 28, v[12:13]
	ds_add_f64 v18, v[10:11] offset:264
	s_xor_b64 s[24:25], exec, -1
.LBB28_90:                              ;   in Loop: Header=BB28_84 Depth=2
	s_or_b64 exec, exec, s[26:27]
	s_andn2_b64 s[20:21], s[20:21], exec
	s_and_b64 s[24:25], s[24:25], exec
	s_or_b64 s[20:21], s[20:21], s[24:25]
.LBB28_91:                              ;   in Loop: Header=BB28_84 Depth=2
	s_or_b64 exec, exec, s[22:23]
	s_and_b64 s[20:21], s[20:21], exec
                                        ; implicit-def: $vgpr12
.LBB28_92:                              ;   in Loop: Header=BB28_84 Depth=2
	s_andn2_saveexec_b64 s[16:17], s[16:17]
	s_cbranch_execz .LBB28_83
; %bb.93:                               ;   in Loop: Header=BB28_84 Depth=2
	v_mad_u64_u32 v[18:19], s[22:23], v13, 28, v[12:13]
	ds_add_f64 v18, v[10:11] offset:264
	s_andn2_b64 s[20:21], s[20:21], exec
	s_branch .LBB28_83
.LBB28_94:                              ;   in Loop: Header=BB28_70 Depth=1
	s_or_b64 exec, exec, s[14:15]
	v_mul_f64 v[8:9], v[2:3], v[8:9]
	s_mov_b64 s[14:15], 0
	v_mov_b32_e32 v11, v17
	s_branch .LBB28_96
.LBB28_95:                              ;   in Loop: Header=BB28_96 Depth=2
	s_or_b64 exec, exec, s[16:17]
	s_xor_b64 s[16:17], s[20:21], -1
	s_and_b64 s[16:17], exec, s[16:17]
	s_or_b64 s[14:15], s[16:17], s[14:15]
	s_andn2_b64 exec, exec, s[14:15]
	s_cbranch_execz .LBB28_106
.LBB28_96:                              ;   Parent Loop BB28_70 Depth=1
                                        ; =>  This Inner Loop Header: Depth=2
	v_lshl_add_u32 v10, v11, 2, 0
	ds_read_b32 v12, v10
                                        ; implicit-def: $sgpr20_sgpr21
	s_waitcnt lgkmcnt(0)
	v_cmp_ne_u32_e32 vcc, v12, v5
	s_and_saveexec_b64 s[16:17], vcc
	s_xor_b64 s[16:17], exec, s[16:17]
	s_cbranch_execz .LBB28_104
; %bb.97:                               ;   in Loop: Header=BB28_96 Depth=2
	v_cmp_ne_u32_e32 vcc, s33, v12
                                        ; implicit-def: $sgpr20_sgpr21
	s_and_saveexec_b64 s[22:23], vcc
	s_xor_b64 s[22:23], exec, s[22:23]
; %bb.98:                               ;   in Loop: Header=BB28_96 Depth=2
	v_add_u32_e32 v10, 1, v11
	v_and_b32_e32 v11, 63, v10
	s_mov_b64 s[20:21], -1
                                        ; implicit-def: $vgpr10
; %bb.99:                               ;   in Loop: Header=BB28_96 Depth=2
	s_andn2_saveexec_b64 s[22:23], s[22:23]
	s_cbranch_execz .LBB28_103
; %bb.100:                              ;   in Loop: Header=BB28_96 Depth=2
	v_mov_b32_e32 v12, s33
	ds_cmpst_rtn_b32 v12, v10, v12, v5
	s_mov_b64 s[24:25], -1
	s_waitcnt lgkmcnt(0)
	v_cmp_eq_u32_e32 vcc, s33, v12
	s_and_saveexec_b64 s[26:27], vcc
	s_cbranch_execz .LBB28_102
; %bb.101:                              ;   in Loop: Header=BB28_96 Depth=2
	v_mad_u64_u32 v[12:13], s[24:25], v11, 28, v[10:11]
	ds_add_f64 v12, v[8:9] offset:272
	s_xor_b64 s[24:25], exec, -1
.LBB28_102:                             ;   in Loop: Header=BB28_96 Depth=2
	s_or_b64 exec, exec, s[26:27]
	s_andn2_b64 s[20:21], s[20:21], exec
	s_and_b64 s[24:25], s[24:25], exec
	s_or_b64 s[20:21], s[20:21], s[24:25]
.LBB28_103:                             ;   in Loop: Header=BB28_96 Depth=2
	s_or_b64 exec, exec, s[22:23]
	s_and_b64 s[20:21], s[20:21], exec
                                        ; implicit-def: $vgpr10
.LBB28_104:                             ;   in Loop: Header=BB28_96 Depth=2
	s_andn2_saveexec_b64 s[16:17], s[16:17]
	s_cbranch_execz .LBB28_95
; %bb.105:                              ;   in Loop: Header=BB28_96 Depth=2
	v_mad_u64_u32 v[12:13], s[22:23], v11, 28, v[10:11]
	ds_add_f64 v12, v[8:9] offset:272
	s_andn2_b64 s[20:21], s[20:21], exec
	s_branch .LBB28_95
.LBB28_106:                             ;   in Loop: Header=BB28_70 Depth=1
	s_or_b64 exec, exec, s[14:15]
	s_waitcnt vmcnt(0)
	v_mul_f64 v[6:7], v[2:3], v[6:7]
	s_mov_b64 s[14:15], 0
	s_branch .LBB28_108
.LBB28_107:                             ;   in Loop: Header=BB28_108 Depth=2
	s_or_b64 exec, exec, s[16:17]
	s_xor_b64 s[16:17], s[20:21], -1
	s_and_b64 s[16:17], exec, s[16:17]
	s_or_b64 s[14:15], s[16:17], s[14:15]
	s_andn2_b64 exec, exec, s[14:15]
	s_cbranch_execz .LBB28_69
.LBB28_108:                             ;   Parent Loop BB28_70 Depth=1
                                        ; =>  This Inner Loop Header: Depth=2
	v_lshl_add_u32 v8, v17, 2, 0
	ds_read_b32 v9, v8
                                        ; implicit-def: $sgpr20_sgpr21
	s_waitcnt lgkmcnt(0)
	v_cmp_ne_u32_e32 vcc, v9, v5
	s_and_saveexec_b64 s[16:17], vcc
	s_xor_b64 s[16:17], exec, s[16:17]
	s_cbranch_execz .LBB28_116
; %bb.109:                              ;   in Loop: Header=BB28_108 Depth=2
	v_cmp_ne_u32_e32 vcc, s33, v9
                                        ; implicit-def: $sgpr20_sgpr21
	s_and_saveexec_b64 s[22:23], vcc
	s_xor_b64 s[22:23], exec, s[22:23]
; %bb.110:                              ;   in Loop: Header=BB28_108 Depth=2
	v_add_u32_e32 v8, 1, v17
	v_and_b32_e32 v17, 63, v8
	s_mov_b64 s[20:21], -1
                                        ; implicit-def: $vgpr8
; %bb.111:                              ;   in Loop: Header=BB28_108 Depth=2
	s_andn2_saveexec_b64 s[22:23], s[22:23]
	s_cbranch_execz .LBB28_115
; %bb.112:                              ;   in Loop: Header=BB28_108 Depth=2
	v_mov_b32_e32 v9, s33
	ds_cmpst_rtn_b32 v9, v8, v9, v5
	s_mov_b64 s[24:25], -1
	s_waitcnt lgkmcnt(0)
	v_cmp_eq_u32_e32 vcc, s33, v9
	s_and_saveexec_b64 s[26:27], vcc
	s_cbranch_execz .LBB28_114
; %bb.113:                              ;   in Loop: Header=BB28_108 Depth=2
	v_mad_u64_u32 v[8:9], s[24:25], v17, 28, v[8:9]
	ds_add_f64 v8, v[6:7] offset:280
	s_xor_b64 s[24:25], exec, -1
.LBB28_114:                             ;   in Loop: Header=BB28_108 Depth=2
	s_or_b64 exec, exec, s[26:27]
	s_andn2_b64 s[20:21], s[20:21], exec
	s_and_b64 s[24:25], s[24:25], exec
	s_or_b64 s[20:21], s[20:21], s[24:25]
.LBB28_115:                             ;   in Loop: Header=BB28_108 Depth=2
	s_or_b64 exec, exec, s[22:23]
	s_and_b64 s[20:21], s[20:21], exec
                                        ; implicit-def: $vgpr8
.LBB28_116:                             ;   in Loop: Header=BB28_108 Depth=2
	s_andn2_saveexec_b64 s[16:17], s[16:17]
	s_cbranch_execz .LBB28_107
; %bb.117:                              ;   in Loop: Header=BB28_108 Depth=2
	v_mad_u64_u32 v[8:9], s[22:23], v17, 28, v[8:9]
	ds_add_f64 v8, v[6:7] offset:280
	s_andn2_b64 s[20:21], s[20:21], exec
	s_branch .LBB28_107
.LBB28_118:
	s_or_b64 exec, exec, s[2:3]
.LBB28_119:
	s_waitcnt lgkmcnt(0)
	s_barrier
	s_and_saveexec_b64 s[2:3], s[0:1]
	s_cbranch_execz .LBB28_122
; %bb.120:
	ds_read_b32 v1, v1
	s_waitcnt lgkmcnt(0)
	v_cmp_gt_i32_e32 vcc, s33, v1
	s_and_b64 exec, exec, vcc
	s_cbranch_execz .LBB28_122
; %bb.121:
	s_load_dwordx4 s[0:3], s[4:5], 0x78
	s_load_dwordx2 s[8:9], s[4:5], 0x88
	s_lshl_b64 s[4:5], s[6:7], 2
	v_mov_b32_e32 v10, 0
	s_waitcnt lgkmcnt(0)
	s_add_u32 s0, s0, s4
	s_addc_u32 s1, s1, s5
	s_load_dword s1, s[0:1], 0x0
	s_waitcnt vmcnt(0)
	ds_read2_b32 v[2:3], v10 offset1:1
	ds_read2_b32 v[4:5], v10 offset0:2 offset1:3
	ds_read2_b32 v[6:7], v10 offset0:4 offset1:5
	;; [unrolled: 1-line block ×3, first 2 shown]
	s_add_i32 s0, 0, 0x100
	s_waitcnt lgkmcnt(0)
	v_cmp_gt_i32_e32 vcc, v1, v2
	v_cndmask_b32_e64 v2, 0, 1, vcc
	s_sub_i32 s1, s1, s18
	v_mov_b32_e32 v11, s1
	v_cmp_gt_i32_e32 vcc, v1, v3
	v_addc_co_u32_e32 v2, vcc, v11, v2, vcc
	v_cmp_gt_i32_e32 vcc, v1, v4
	v_cndmask_b32_e64 v3, 0, 1, vcc
	v_cmp_gt_i32_e32 vcc, v1, v5
	v_addc_co_u32_e32 v2, vcc, v2, v3, vcc
	v_cmp_gt_i32_e32 vcc, v1, v6
	v_cndmask_b32_e64 v3, 0, 1, vcc
	v_cmp_gt_i32_e32 vcc, v1, v7
	v_addc_co_u32_e32 v4, vcc, v2, v3, vcc
	ds_read2_b32 v[2:3], v10 offset0:8 offset1:9
	v_cmp_gt_i32_e32 vcc, v1, v8
	v_cndmask_b32_e64 v5, 0, 1, vcc
	v_cmp_gt_i32_e32 vcc, v1, v9
	v_addc_co_u32_e32 v11, vcc, v4, v5, vcc
	ds_read2_b32 v[4:5], v10 offset0:10 offset1:11
	ds_read2_b32 v[6:7], v10 offset0:12 offset1:13
	ds_read2_b32 v[8:9], v10 offset0:14 offset1:15
	s_waitcnt lgkmcnt(3)
	v_cmp_gt_i32_e32 vcc, v1, v2
	v_cndmask_b32_e64 v2, 0, 1, vcc
	v_cmp_gt_i32_e32 vcc, v1, v3
	v_addc_co_u32_e32 v2, vcc, v11, v2, vcc
	s_waitcnt lgkmcnt(2)
	v_cmp_gt_i32_e32 vcc, v1, v4
	v_cndmask_b32_e64 v3, 0, 1, vcc
	v_cmp_gt_i32_e32 vcc, v1, v5
	v_addc_co_u32_e32 v2, vcc, v2, v3, vcc
	s_waitcnt lgkmcnt(1)
	v_cmp_gt_i32_e32 vcc, v1, v6
	v_cndmask_b32_e64 v3, 0, 1, vcc
	v_cmp_gt_i32_e32 vcc, v1, v7
	v_addc_co_u32_e32 v4, vcc, v2, v3, vcc
	ds_read2_b32 v[2:3], v10 offset0:16 offset1:17
	s_waitcnt lgkmcnt(1)
	v_cmp_gt_i32_e32 vcc, v1, v8
	v_cndmask_b32_e64 v5, 0, 1, vcc
	v_cmp_gt_i32_e32 vcc, v1, v9
	v_addc_co_u32_e32 v11, vcc, v4, v5, vcc
	ds_read2_b32 v[4:5], v10 offset0:18 offset1:19
	ds_read2_b32 v[6:7], v10 offset0:20 offset1:21
	ds_read2_b32 v[8:9], v10 offset0:22 offset1:23
	s_waitcnt lgkmcnt(3)
	v_cmp_gt_i32_e32 vcc, v1, v2
	v_cndmask_b32_e64 v2, 0, 1, vcc
	v_cmp_gt_i32_e32 vcc, v1, v3
	v_addc_co_u32_e32 v2, vcc, v11, v2, vcc
	s_waitcnt lgkmcnt(2)
	v_cmp_gt_i32_e32 vcc, v1, v4
	v_cndmask_b32_e64 v3, 0, 1, vcc
	v_cmp_gt_i32_e32 vcc, v1, v5
	v_addc_co_u32_e32 v2, vcc, v2, v3, vcc
	s_waitcnt lgkmcnt(1)
	v_cmp_gt_i32_e32 vcc, v1, v6
	v_cndmask_b32_e64 v3, 0, 1, vcc
	v_cmp_gt_i32_e32 vcc, v1, v7
	v_addc_co_u32_e32 v4, vcc, v2, v3, vcc
	ds_read2_b32 v[2:3], v10 offset0:24 offset1:25
	s_waitcnt lgkmcnt(1)
	;; [unrolled: 24-line block ×6, first 2 shown]
	v_cmp_gt_i32_e32 vcc, v1, v8
	v_cndmask_b32_e64 v5, 0, 1, vcc
	v_cmp_gt_i32_e32 vcc, v1, v9
	v_addc_co_u32_e32 v11, vcc, v4, v5, vcc
	ds_read2_b32 v[4:5], v10 offset0:58 offset1:59
	ds_read2_b32 v[6:7], v10 offset0:60 offset1:61
	;; [unrolled: 1-line block ×3, first 2 shown]
	s_waitcnt lgkmcnt(3)
	v_cmp_gt_i32_e32 vcc, v1, v2
	v_cndmask_b32_e64 v2, 0, 1, vcc
	v_cmp_gt_i32_e32 vcc, v1, v3
	v_addc_co_u32_e32 v2, vcc, v11, v2, vcc
	s_waitcnt lgkmcnt(2)
	v_cmp_gt_i32_e32 vcc, v1, v4
	v_cndmask_b32_e64 v3, 0, 1, vcc
	v_cmp_gt_i32_e32 vcc, v1, v5
	v_addc_co_u32_e32 v2, vcc, v2, v3, vcc
	;; [unrolled: 5-line block ×4, first 2 shown]
	v_ashrrev_i32_e32 v3, 31, v2
	v_lshlrev_b64 v[4:5], 2, v[2:3]
	v_mov_b32_e32 v3, s3
	v_add_co_u32_e32 v4, vcc, s2, v4
	v_add_u32_e32 v1, s18, v1
	v_addc_co_u32_e32 v5, vcc, v3, v5, vcc
	s_cmp_eq_u32 s44, 0
	global_store_dword v[4:5], v1, off
	v_lshlrev_b32_e32 v5, 5, v0
	v_lshlrev_b32_e32 v2, 2, v2
	;; [unrolled: 1-line block ×3, first 2 shown]
	v_ashrrev_i32_e32 v3, 31, v2
	v_add_u32_e32 v6, s0, v5
	s_cselect_b32 s0, 1, 2
	s_cselect_b32 s1, 2, 1
	v_lshlrev_b64 v[8:9], 3, v[2:3]
	v_or_b32_e32 v2, s0, v4
	v_or_b32_e32 v3, s1, v4
	v_add_u32_e32 v0, 0, v5
	v_lshl_add_u32 v2, v2, 3, 0
	v_lshl_add_u32 v3, v3, 3, 0
	ds_read_b64 v[0:1], v0 offset:256
	ds_read_b64 v[4:5], v3 offset:256
	;; [unrolled: 1-line block ×4, first 2 shown]
	v_mov_b32_e32 v10, s9
	v_add_co_u32_e32 v8, vcc, s8, v8
	v_addc_co_u32_e32 v9, vcc, v10, v9, vcc
	s_waitcnt lgkmcnt(1)
	global_store_dwordx4 v[8:9], v[0:3], off
	s_waitcnt lgkmcnt(0)
	global_store_dwordx4 v[8:9], v[4:7], off offset:16
.LBB28_122:
	s_endpgm
	.section	.rodata,"a",@progbits
	.p2align	6, 0x0
	.amdhsa_kernel _ZN9rocsparseL30bsrgemm_fill_block_per_row_2x2ILj256ELj16ELj64ELj137EiidEEv20rocsparse_direction_T4_S2_PKS2_S4_NS_24const_host_device_scalarIT5_EEPKT3_S4_PKS6_SA_S4_SC_S7_SA_S4_SC_SA_PS2_PS6_21rocsparse_index_base_SF_SF_SF_bbb
		.amdhsa_group_segment_fixed_size 0
		.amdhsa_private_segment_fixed_size 0
		.amdhsa_kernarg_size 164
		.amdhsa_user_sgpr_count 6
		.amdhsa_user_sgpr_private_segment_buffer 1
		.amdhsa_user_sgpr_dispatch_ptr 0
		.amdhsa_user_sgpr_queue_ptr 0
		.amdhsa_user_sgpr_kernarg_segment_ptr 1
		.amdhsa_user_sgpr_dispatch_id 0
		.amdhsa_user_sgpr_flat_scratch_init 0
		.amdhsa_user_sgpr_kernarg_preload_length 0
		.amdhsa_user_sgpr_kernarg_preload_offset 0
		.amdhsa_user_sgpr_private_segment_size 0
		.amdhsa_uses_dynamic_stack 0
		.amdhsa_system_sgpr_private_segment_wavefront_offset 0
		.amdhsa_system_sgpr_workgroup_id_x 1
		.amdhsa_system_sgpr_workgroup_id_y 0
		.amdhsa_system_sgpr_workgroup_id_z 0
		.amdhsa_system_sgpr_workgroup_info 0
		.amdhsa_system_vgpr_workitem_id 0
		.amdhsa_next_free_vgpr 36
		.amdhsa_next_free_sgpr 48
		.amdhsa_accum_offset 36
		.amdhsa_reserve_vcc 1
		.amdhsa_reserve_flat_scratch 0
		.amdhsa_float_round_mode_32 0
		.amdhsa_float_round_mode_16_64 0
		.amdhsa_float_denorm_mode_32 3
		.amdhsa_float_denorm_mode_16_64 3
		.amdhsa_dx10_clamp 1
		.amdhsa_ieee_mode 1
		.amdhsa_fp16_overflow 0
		.amdhsa_tg_split 0
		.amdhsa_exception_fp_ieee_invalid_op 0
		.amdhsa_exception_fp_denorm_src 0
		.amdhsa_exception_fp_ieee_div_zero 0
		.amdhsa_exception_fp_ieee_overflow 0
		.amdhsa_exception_fp_ieee_underflow 0
		.amdhsa_exception_fp_ieee_inexact 0
		.amdhsa_exception_int_div_zero 0
	.end_amdhsa_kernel
	.section	.text._ZN9rocsparseL30bsrgemm_fill_block_per_row_2x2ILj256ELj16ELj64ELj137EiidEEv20rocsparse_direction_T4_S2_PKS2_S4_NS_24const_host_device_scalarIT5_EEPKT3_S4_PKS6_SA_S4_SC_S7_SA_S4_SC_SA_PS2_PS6_21rocsparse_index_base_SF_SF_SF_bbb,"axG",@progbits,_ZN9rocsparseL30bsrgemm_fill_block_per_row_2x2ILj256ELj16ELj64ELj137EiidEEv20rocsparse_direction_T4_S2_PKS2_S4_NS_24const_host_device_scalarIT5_EEPKT3_S4_PKS6_SA_S4_SC_S7_SA_S4_SC_SA_PS2_PS6_21rocsparse_index_base_SF_SF_SF_bbb,comdat
.Lfunc_end28:
	.size	_ZN9rocsparseL30bsrgemm_fill_block_per_row_2x2ILj256ELj16ELj64ELj137EiidEEv20rocsparse_direction_T4_S2_PKS2_S4_NS_24const_host_device_scalarIT5_EEPKT3_S4_PKS6_SA_S4_SC_S7_SA_S4_SC_SA_PS2_PS6_21rocsparse_index_base_SF_SF_SF_bbb, .Lfunc_end28-_ZN9rocsparseL30bsrgemm_fill_block_per_row_2x2ILj256ELj16ELj64ELj137EiidEEv20rocsparse_direction_T4_S2_PKS2_S4_NS_24const_host_device_scalarIT5_EEPKT3_S4_PKS6_SA_S4_SC_S7_SA_S4_SC_SA_PS2_PS6_21rocsparse_index_base_SF_SF_SF_bbb
                                        ; -- End function
	.section	.AMDGPU.csdata,"",@progbits
; Kernel info:
; codeLenInByte = 4360
; NumSgprs: 52
; NumVgprs: 36
; NumAgprs: 0
; TotalNumVgprs: 36
; ScratchSize: 0
; MemoryBound: 0
; FloatMode: 240
; IeeeMode: 1
; LDSByteSize: 0 bytes/workgroup (compile time only)
; SGPRBlocks: 6
; VGPRBlocks: 4
; NumSGPRsForWavesPerEU: 52
; NumVGPRsForWavesPerEU: 36
; AccumOffset: 36
; Occupancy: 8
; WaveLimiterHint : 1
; COMPUTE_PGM_RSRC2:SCRATCH_EN: 0
; COMPUTE_PGM_RSRC2:USER_SGPR: 6
; COMPUTE_PGM_RSRC2:TRAP_HANDLER: 0
; COMPUTE_PGM_RSRC2:TGID_X_EN: 1
; COMPUTE_PGM_RSRC2:TGID_Y_EN: 0
; COMPUTE_PGM_RSRC2:TGID_Z_EN: 0
; COMPUTE_PGM_RSRC2:TIDIG_COMP_CNT: 0
; COMPUTE_PGM_RSRC3_GFX90A:ACCUM_OFFSET: 8
; COMPUTE_PGM_RSRC3_GFX90A:TG_SPLIT: 0
	.section	.text._ZN9rocsparseL30bsrgemm_fill_block_per_row_2x2ILj256ELj16ELj128ELj137EiidEEv20rocsparse_direction_T4_S2_PKS2_S4_NS_24const_host_device_scalarIT5_EEPKT3_S4_PKS6_SA_S4_SC_S7_SA_S4_SC_SA_PS2_PS6_21rocsparse_index_base_SF_SF_SF_bbb,"axG",@progbits,_ZN9rocsparseL30bsrgemm_fill_block_per_row_2x2ILj256ELj16ELj128ELj137EiidEEv20rocsparse_direction_T4_S2_PKS2_S4_NS_24const_host_device_scalarIT5_EEPKT3_S4_PKS6_SA_S4_SC_S7_SA_S4_SC_SA_PS2_PS6_21rocsparse_index_base_SF_SF_SF_bbb,comdat
	.globl	_ZN9rocsparseL30bsrgemm_fill_block_per_row_2x2ILj256ELj16ELj128ELj137EiidEEv20rocsparse_direction_T4_S2_PKS2_S4_NS_24const_host_device_scalarIT5_EEPKT3_S4_PKS6_SA_S4_SC_S7_SA_S4_SC_SA_PS2_PS6_21rocsparse_index_base_SF_SF_SF_bbb ; -- Begin function _ZN9rocsparseL30bsrgemm_fill_block_per_row_2x2ILj256ELj16ELj128ELj137EiidEEv20rocsparse_direction_T4_S2_PKS2_S4_NS_24const_host_device_scalarIT5_EEPKT3_S4_PKS6_SA_S4_SC_S7_SA_S4_SC_SA_PS2_PS6_21rocsparse_index_base_SF_SF_SF_bbb
	.p2align	8
	.type	_ZN9rocsparseL30bsrgemm_fill_block_per_row_2x2ILj256ELj16ELj128ELj137EiidEEv20rocsparse_direction_T4_S2_PKS2_S4_NS_24const_host_device_scalarIT5_EEPKT3_S4_PKS6_SA_S4_SC_S7_SA_S4_SC_SA_PS2_PS6_21rocsparse_index_base_SF_SF_SF_bbb,@function
_ZN9rocsparseL30bsrgemm_fill_block_per_row_2x2ILj256ELj16ELj128ELj137EiidEEv20rocsparse_direction_T4_S2_PKS2_S4_NS_24const_host_device_scalarIT5_EEPKT3_S4_PKS6_SA_S4_SC_S7_SA_S4_SC_SA_PS2_PS6_21rocsparse_index_base_SF_SF_SF_bbb: ; @_ZN9rocsparseL30bsrgemm_fill_block_per_row_2x2ILj256ELj16ELj128ELj137EiidEEv20rocsparse_direction_T4_S2_PKS2_S4_NS_24const_host_device_scalarIT5_EEPKT3_S4_PKS6_SA_S4_SC_S7_SA_S4_SC_SA_PS2_PS6_21rocsparse_index_base_SF_SF_SF_bbb
; %bb.0:
	s_load_dword s7, s[4:5], 0xa0
	s_load_dwordx2 s[2:3], s[4:5], 0x20
	s_load_dwordx2 s[0:1], s[4:5], 0x58
	s_waitcnt lgkmcnt(0)
	s_and_b32 s10, 1, s7
	s_bitcmp1_b32 s7, 16
	s_cselect_b64 s[8:9], -1, 0
	s_cmp_eq_u32 s10, 1
	s_cselect_b64 s[34:35], -1, 0
	s_and_b64 s[10:11], s[34:35], exec
	s_cselect_b32 s11, s3, 0
	s_cselect_b32 s10, s2, 0
	s_xor_b64 s[12:13], s[34:35], -1
	s_or_b64 s[12:13], s[12:13], s[8:9]
	s_and_b64 vcc, exec, s[12:13]
	v_pk_mov_b32 v[4:5], s[10:11], s[10:11] op_sel:[0,1]
	s_cbranch_vccnz .LBB29_2
; %bb.1:
	v_pk_mov_b32 v[2:3], s[2:3], s[2:3] op_sel:[0,1]
	flat_load_dwordx2 v[4:5], v[2:3]
.LBB29_2:
	s_bitcmp1_b32 s7, 8
	s_cselect_b64 s[2:3], -1, 0
	s_and_b64 s[10:11], s[2:3], exec
	s_cselect_b32 s11, s1, 0
	s_cselect_b32 s10, s0, 0
	s_xor_b64 s[12:13], s[2:3], -1
	s_or_b64 s[8:9], s[12:13], s[8:9]
	s_and_b64 vcc, exec, s[8:9]
	v_pk_mov_b32 v[2:3], s[10:11], s[10:11] op_sel:[0,1]
	s_cbranch_vccnz .LBB29_4
; %bb.3:
	v_pk_mov_b32 v[2:3], s[0:1], s[0:1] op_sel:[0,1]
	flat_load_dwordx2 v[2:3], v[2:3]
.LBB29_4:
	s_load_dwordx4 s[28:31], s[4:5], 0x90
	s_load_dword s33, s[4:5], 0x8
	s_movk_i32 s0, 0x80
	v_cmp_gt_u32_e64 s[0:1], s0, v0
	v_lshl_add_u32 v1, v0, 2, 0
	s_and_saveexec_b64 s[8:9], s[0:1]
	s_cbranch_execz .LBB29_6
; %bb.5:
	s_waitcnt lgkmcnt(0)
	v_mov_b32_e32 v6, s33
	ds_write_b32 v1, v6
.LBB29_6:
	s_or_b64 exec, exec, s[8:9]
	s_load_dwordx4 s[24:27], s[4:5], 0x80
	s_load_dwordx8 s[8:15], s[4:5], 0x60
	s_load_dwordx4 s[36:39], s[4:5], 0x48
	s_load_dwordx4 s[40:43], s[4:5], 0x10
	s_load_dwordx8 s[16:23], s[4:5], 0x28
	s_movk_i32 s7, 0x200
	v_cmp_gt_u32_e32 vcc, s7, v0
	s_and_saveexec_b64 s[44:45], vcc
	s_cbranch_execz .LBB29_9
; %bb.7:
	v_mov_b32_e32 v6, 0
	v_lshl_add_u32 v7, v0, 3, 0
	v_add_u32_e32 v8, 0x200, v7
	v_or_b32_e32 v9, 0xffffff00, v0
	s_mov_b64 s[46:47], 0
	v_mov_b32_e32 v7, v6
.LBB29_8:                               ; =>This Inner Loop Header: Depth=1
	v_add_co_u32_e32 v9, vcc, 0x100, v9
	s_xor_b64 s[48:49], vcc, -1
	s_and_b64 s[48:49], exec, s[48:49]
	ds_write_b64 v8, v[6:7]
	s_or_b64 s[46:47], s[48:49], s[46:47]
	v_add_u32_e32 v8, 0x800, v8
	s_andn2_b64 exec, exec, s[46:47]
	s_cbranch_execnz .LBB29_8
.LBB29_9:
	s_or_b64 exec, exec, s[44:45]
	s_waitcnt lgkmcnt(0)
	s_cmp_lg_u64 s[42:43], 0
	s_barrier
	s_cbranch_scc0 .LBB29_11
; %bb.10:
	s_load_dword s7, s[40:41], 0x0
	s_waitcnt lgkmcnt(0)
	s_add_i32 s6, s7, s6
	s_mov_b32 s7, 0
	s_lshl_b64 s[6:7], s[6:7], 2
	s_add_u32 s6, s42, s6
	s_addc_u32 s7, s43, s7
	s_load_dword s6, s[6:7], 0x0
.LBB29_11:
	s_nop 0
	s_load_dword s54, s[4:5], 0x0
	s_andn2_b64 vcc, exec, s[34:35]
	s_waitcnt lgkmcnt(0)
	s_ashr_i32 s7, s6, 31
	s_cbranch_vccnz .LBB29_67
; %bb.12:
	s_lshl_b64 s[4:5], s[6:7], 2
	s_add_u32 s4, s16, s4
	s_addc_u32 s5, s17, s5
	s_load_dwordx2 s[4:5], s[4:5], 0x0
	v_lshrrev_b32_e32 v6, 4, v0
	v_subrev_u32_e32 v6, s28, v6
	s_waitcnt lgkmcnt(0)
	s_sub_i32 s55, s5, s28
	v_add_u32_e32 v6, s4, v6
	v_cmp_gt_i32_e32 vcc, s55, v6
	s_and_saveexec_b64 s[4:5], vcc
	s_cbranch_execz .LBB29_66
; %bb.13:
	v_and_b32_e32 v7, 15, v0
	s_cmp_eq_u32 s54, 0
	v_subrev_u32_e32 v29, s29, v7
	s_cselect_b32 s56, 1, 2
	s_cselect_b32 s57, 2, 1
	s_mov_b64 s[16:17], 0
	v_mov_b32_e32 v30, s19
	v_mov_b32_e32 v31, s23
	s_branch .LBB29_15
.LBB29_14:                              ;   in Loop: Header=BB29_15 Depth=1
	s_or_b64 exec, exec, s[34:35]
	v_add_u32_e32 v6, 16, v6
	v_cmp_le_i32_e32 vcc, s55, v6
	s_or_b64 s[16:17], vcc, s[16:17]
	s_andn2_b64 exec, exec, s[16:17]
	s_cbranch_execz .LBB29_66
.LBB29_15:                              ; =>This Loop Header: Depth=1
                                        ;     Child Loop BB29_18 Depth 2
                                        ;       Child Loop BB29_20 Depth 3
                                        ;       Child Loop BB29_32 Depth 3
	;; [unrolled: 1-line block ×4, first 2 shown]
	v_ashrrev_i32_e32 v7, 31, v6
	v_lshlrev_b64 v[8:9], 2, v[6:7]
	v_add_co_u32_e32 v8, vcc, s18, v8
	v_addc_co_u32_e32 v9, vcc, v30, v9, vcc
	global_load_dword v7, v[8:9], off
	s_waitcnt vmcnt(0)
	v_subrev_u32_e32 v8, s28, v7
	v_ashrrev_i32_e32 v9, 31, v8
	v_lshlrev_b64 v[8:9], 2, v[8:9]
	v_add_co_u32_e32 v8, vcc, s22, v8
	v_addc_co_u32_e32 v9, vcc, v31, v9, vcc
	global_load_dwordx2 v[8:9], v[8:9], off
	s_waitcnt vmcnt(0)
	v_subrev_u32_e32 v7, s29, v9
	v_add_u32_e32 v8, v8, v29
	v_cmp_lt_i32_e32 vcc, v8, v7
	s_and_saveexec_b64 s[34:35], vcc
	s_cbranch_execz .LBB29_14
; %bb.16:                               ;   in Loop: Header=BB29_15 Depth=1
	v_lshlrev_b32_e32 v10, 2, v6
	v_ashrrev_i32_e32 v11, 31, v10
	v_or_b32_e32 v12, s56, v10
	v_or_b32_e32 v14, s57, v10
	v_lshlrev_b64 v[10:11], 3, v[10:11]
	v_mov_b32_e32 v9, s21
	v_add_co_u32_e32 v10, vcc, s20, v10
	v_ashrrev_i32_e32 v15, 31, v14
	v_addc_co_u32_e32 v11, vcc, v9, v11, vcc
	v_lshlrev_b64 v[14:15], 3, v[14:15]
	v_add_co_u32_e32 v14, vcc, s20, v14
	v_ashrrev_i32_e32 v13, 31, v12
	v_addc_co_u32_e32 v15, vcc, v9, v15, vcc
	v_lshlrev_b64 v[12:13], 3, v[12:13]
	v_add_co_u32_e32 v12, vcc, s20, v12
	v_addc_co_u32_e32 v13, vcc, v9, v13, vcc
	global_load_dwordx2 v[16:17], v[10:11], off offset:24
	global_load_dwordx2 v[18:19], v[14:15], off
	global_load_dwordx2 v[20:21], v[12:13], off
	;; [unrolled: 1-line block ×3, first 2 shown]
	s_mov_b64 s[40:41], 0
	s_waitcnt vmcnt(3)
	v_mul_f64 v[10:11], v[4:5], v[16:17]
	s_waitcnt vmcnt(2)
	v_mul_f64 v[12:13], v[4:5], v[18:19]
	;; [unrolled: 2-line block ×4, first 2 shown]
	s_branch .LBB29_18
.LBB29_17:                              ;   in Loop: Header=BB29_18 Depth=2
	s_or_b64 exec, exec, s[42:43]
	v_add_u32_e32 v8, 16, v8
	v_cmp_ge_i32_e32 vcc, v8, v7
	s_or_b64 s[40:41], vcc, s[40:41]
	s_andn2_b64 exec, exec, s[40:41]
	s_cbranch_execz .LBB29_14
.LBB29_18:                              ;   Parent Loop BB29_15 Depth=1
                                        ; =>  This Loop Header: Depth=2
                                        ;       Child Loop BB29_20 Depth 3
                                        ;       Child Loop BB29_32 Depth 3
	;; [unrolled: 1-line block ×4, first 2 shown]
	v_ashrrev_i32_e32 v9, 31, v8
	v_lshlrev_b64 v[18:19], 2, v[8:9]
	v_mov_b32_e32 v9, s37
	v_add_co_u32_e32 v18, vcc, s36, v18
	v_addc_co_u32_e32 v19, vcc, v9, v19, vcc
	global_load_dword v9, v[18:19], off
	v_lshlrev_b32_e32 v18, 2, v8
	v_ashrrev_i32_e32 v19, 31, v18
	v_or_b32_e32 v20, s56, v18
	v_or_b32_e32 v24, s57, v18
	v_lshlrev_b64 v[18:19], 3, v[18:19]
	v_mov_b32_e32 v28, s39
	v_add_co_u32_e32 v26, vcc, s38, v18
	v_ashrrev_i32_e32 v21, 31, v20
	v_ashrrev_i32_e32 v25, 31, v24
	v_addc_co_u32_e32 v27, vcc, v28, v19, vcc
	v_lshlrev_b64 v[18:19], 3, v[20:21]
	v_lshlrev_b64 v[20:21], 3, v[24:25]
	v_add_co_u32_e32 v20, vcc, s38, v20
	v_addc_co_u32_e32 v21, vcc, v28, v21, vcc
	global_load_dwordx2 v[22:23], v[26:27], off
	global_load_dwordx2 v[24:25], v[20:21], off
	v_add_co_u32_e32 v32, vcc, s38, v18
	v_addc_co_u32_e32 v33, vcc, v28, v19, vcc
	global_load_dwordx2 v[18:19], v[32:33], off
	global_load_dwordx2 v[20:21], v[26:27], off offset:24
	s_mov_b64 s[42:43], 0
	s_waitcnt vmcnt(4)
	v_subrev_u32_e32 v9, s29, v9
	v_lshl_add_u32 v28, v9, 3, v9
	v_and_b32_e32 v32, 0x7f, v28
	v_mov_b32_e32 v33, v32
	s_waitcnt vmcnt(2)
	v_mul_f64 v[26:27], v[14:15], v[24:25]
	v_fmac_f64_e32 v[26:27], v[16:17], v[22:23]
	s_branch .LBB29_20
.LBB29_19:                              ;   in Loop: Header=BB29_20 Depth=3
	s_or_b64 exec, exec, s[44:45]
	s_xor_b64 s[44:45], s[46:47], -1
	s_and_b64 s[44:45], exec, s[44:45]
	s_or_b64 s[42:43], s[44:45], s[42:43]
	s_andn2_b64 exec, exec, s[42:43]
	s_cbranch_execz .LBB29_30
.LBB29_20:                              ;   Parent Loop BB29_15 Depth=1
                                        ;     Parent Loop BB29_18 Depth=2
                                        ; =>    This Inner Loop Header: Depth=3
	v_lshl_add_u32 v28, v33, 2, 0
	ds_read_b32 v34, v28
                                        ; implicit-def: $sgpr46_sgpr47
	s_waitcnt lgkmcnt(0)
	v_cmp_ne_u32_e32 vcc, v34, v9
	s_and_saveexec_b64 s[44:45], vcc
	s_xor_b64 s[44:45], exec, s[44:45]
	s_cbranch_execz .LBB29_28
; %bb.21:                               ;   in Loop: Header=BB29_20 Depth=3
	v_cmp_ne_u32_e32 vcc, s33, v34
                                        ; implicit-def: $sgpr46_sgpr47
	s_and_saveexec_b64 s[48:49], vcc
	s_xor_b64 s[48:49], exec, s[48:49]
; %bb.22:                               ;   in Loop: Header=BB29_20 Depth=3
	v_add_u32_e32 v28, 1, v33
	v_and_b32_e32 v33, 0x7f, v28
	s_mov_b64 s[46:47], -1
                                        ; implicit-def: $vgpr28
; %bb.23:                               ;   in Loop: Header=BB29_20 Depth=3
	s_andn2_saveexec_b64 s[48:49], s[48:49]
	s_cbranch_execz .LBB29_27
; %bb.24:                               ;   in Loop: Header=BB29_20 Depth=3
	v_mov_b32_e32 v34, s33
	ds_cmpst_rtn_b32 v34, v28, v34, v9
	s_mov_b64 s[50:51], -1
	s_waitcnt lgkmcnt(0)
	v_cmp_eq_u32_e32 vcc, s33, v34
	s_and_saveexec_b64 s[52:53], vcc
	s_cbranch_execz .LBB29_26
; %bb.25:                               ;   in Loop: Header=BB29_20 Depth=3
	v_mad_u64_u32 v[34:35], s[50:51], v33, 28, v[28:29]
	ds_add_f64 v34, v[26:27] offset:512
	s_xor_b64 s[50:51], exec, -1
.LBB29_26:                              ;   in Loop: Header=BB29_20 Depth=3
	s_or_b64 exec, exec, s[52:53]
	s_andn2_b64 s[46:47], s[46:47], exec
	s_and_b64 s[50:51], s[50:51], exec
	s_or_b64 s[46:47], s[46:47], s[50:51]
.LBB29_27:                              ;   in Loop: Header=BB29_20 Depth=3
	s_or_b64 exec, exec, s[48:49]
	s_and_b64 s[46:47], s[46:47], exec
                                        ; implicit-def: $vgpr28
.LBB29_28:                              ;   in Loop: Header=BB29_20 Depth=3
	s_andn2_saveexec_b64 s[44:45], s[44:45]
	s_cbranch_execz .LBB29_19
; %bb.29:                               ;   in Loop: Header=BB29_20 Depth=3
	v_mad_u64_u32 v[34:35], s[48:49], v33, 28, v[28:29]
	ds_add_f64 v34, v[26:27] offset:512
	s_andn2_b64 s[46:47], s[46:47], exec
	s_branch .LBB29_19
.LBB29_30:                              ;   in Loop: Header=BB29_18 Depth=2
	s_or_b64 exec, exec, s[42:43]
	s_waitcnt vmcnt(0)
	v_mul_f64 v[26:27], v[14:15], v[20:21]
	v_fmac_f64_e32 v[26:27], v[16:17], v[18:19]
	s_mov_b64 s[42:43], 0
	v_mov_b32_e32 v33, v32
	s_branch .LBB29_32
.LBB29_31:                              ;   in Loop: Header=BB29_32 Depth=3
	s_or_b64 exec, exec, s[44:45]
	s_xor_b64 s[44:45], s[46:47], -1
	s_and_b64 s[44:45], exec, s[44:45]
	s_or_b64 s[42:43], s[44:45], s[42:43]
	s_andn2_b64 exec, exec, s[42:43]
	s_cbranch_execz .LBB29_42
.LBB29_32:                              ;   Parent Loop BB29_15 Depth=1
                                        ;     Parent Loop BB29_18 Depth=2
                                        ; =>    This Inner Loop Header: Depth=3
	v_lshl_add_u32 v28, v33, 2, 0
	ds_read_b32 v34, v28
                                        ; implicit-def: $sgpr46_sgpr47
	s_waitcnt lgkmcnt(0)
	v_cmp_ne_u32_e32 vcc, v34, v9
	s_and_saveexec_b64 s[44:45], vcc
	s_xor_b64 s[44:45], exec, s[44:45]
	s_cbranch_execz .LBB29_40
; %bb.33:                               ;   in Loop: Header=BB29_32 Depth=3
	v_cmp_ne_u32_e32 vcc, s33, v34
                                        ; implicit-def: $sgpr46_sgpr47
	s_and_saveexec_b64 s[48:49], vcc
	s_xor_b64 s[48:49], exec, s[48:49]
; %bb.34:                               ;   in Loop: Header=BB29_32 Depth=3
	v_add_u32_e32 v28, 1, v33
	v_and_b32_e32 v33, 0x7f, v28
	s_mov_b64 s[46:47], -1
                                        ; implicit-def: $vgpr28
; %bb.35:                               ;   in Loop: Header=BB29_32 Depth=3
	s_andn2_saveexec_b64 s[48:49], s[48:49]
	s_cbranch_execz .LBB29_39
; %bb.36:                               ;   in Loop: Header=BB29_32 Depth=3
	v_mov_b32_e32 v34, s33
	ds_cmpst_rtn_b32 v34, v28, v34, v9
	s_mov_b64 s[50:51], -1
	s_waitcnt lgkmcnt(0)
	v_cmp_eq_u32_e32 vcc, s33, v34
	s_and_saveexec_b64 s[52:53], vcc
	s_cbranch_execz .LBB29_38
; %bb.37:                               ;   in Loop: Header=BB29_32 Depth=3
	v_mad_u64_u32 v[34:35], s[50:51], v33, 28, v[28:29]
	ds_add_f64 v34, v[26:27] offset:520
	s_xor_b64 s[50:51], exec, -1
.LBB29_38:                              ;   in Loop: Header=BB29_32 Depth=3
	s_or_b64 exec, exec, s[52:53]
	s_andn2_b64 s[46:47], s[46:47], exec
	s_and_b64 s[50:51], s[50:51], exec
	s_or_b64 s[46:47], s[46:47], s[50:51]
.LBB29_39:                              ;   in Loop: Header=BB29_32 Depth=3
	s_or_b64 exec, exec, s[48:49]
	s_and_b64 s[46:47], s[46:47], exec
                                        ; implicit-def: $vgpr28
.LBB29_40:                              ;   in Loop: Header=BB29_32 Depth=3
	s_andn2_saveexec_b64 s[44:45], s[44:45]
	s_cbranch_execz .LBB29_31
; %bb.41:                               ;   in Loop: Header=BB29_32 Depth=3
	v_mad_u64_u32 v[34:35], s[48:49], v33, 28, v[28:29]
	ds_add_f64 v34, v[26:27] offset:520
	s_andn2_b64 s[46:47], s[46:47], exec
	s_branch .LBB29_31
.LBB29_42:                              ;   in Loop: Header=BB29_18 Depth=2
	s_or_b64 exec, exec, s[42:43]
	v_mul_f64 v[24:25], v[10:11], v[24:25]
	v_fmac_f64_e32 v[24:25], v[12:13], v[22:23]
	s_mov_b64 s[42:43], 0
	v_mov_b32_e32 v23, v32
	s_branch .LBB29_44
.LBB29_43:                              ;   in Loop: Header=BB29_44 Depth=3
	s_or_b64 exec, exec, s[44:45]
	s_xor_b64 s[44:45], s[46:47], -1
	s_and_b64 s[44:45], exec, s[44:45]
	s_or_b64 s[42:43], s[44:45], s[42:43]
	s_andn2_b64 exec, exec, s[42:43]
	s_cbranch_execz .LBB29_54
.LBB29_44:                              ;   Parent Loop BB29_15 Depth=1
                                        ;     Parent Loop BB29_18 Depth=2
                                        ; =>    This Inner Loop Header: Depth=3
	v_lshl_add_u32 v22, v23, 2, 0
	ds_read_b32 v26, v22
                                        ; implicit-def: $sgpr46_sgpr47
	s_waitcnt lgkmcnt(0)
	v_cmp_ne_u32_e32 vcc, v26, v9
	s_and_saveexec_b64 s[44:45], vcc
	s_xor_b64 s[44:45], exec, s[44:45]
	s_cbranch_execz .LBB29_52
; %bb.45:                               ;   in Loop: Header=BB29_44 Depth=3
	v_cmp_ne_u32_e32 vcc, s33, v26
                                        ; implicit-def: $sgpr46_sgpr47
	s_and_saveexec_b64 s[48:49], vcc
	s_xor_b64 s[48:49], exec, s[48:49]
; %bb.46:                               ;   in Loop: Header=BB29_44 Depth=3
	v_add_u32_e32 v22, 1, v23
	v_and_b32_e32 v23, 0x7f, v22
	s_mov_b64 s[46:47], -1
                                        ; implicit-def: $vgpr22
; %bb.47:                               ;   in Loop: Header=BB29_44 Depth=3
	s_andn2_saveexec_b64 s[48:49], s[48:49]
	s_cbranch_execz .LBB29_51
; %bb.48:                               ;   in Loop: Header=BB29_44 Depth=3
	v_mov_b32_e32 v26, s33
	ds_cmpst_rtn_b32 v26, v22, v26, v9
	s_mov_b64 s[50:51], -1
	s_waitcnt lgkmcnt(0)
	v_cmp_eq_u32_e32 vcc, s33, v26
	s_and_saveexec_b64 s[52:53], vcc
	s_cbranch_execz .LBB29_50
; %bb.49:                               ;   in Loop: Header=BB29_44 Depth=3
	v_mad_u64_u32 v[26:27], s[50:51], v23, 28, v[22:23]
	ds_add_f64 v26, v[24:25] offset:528
	s_xor_b64 s[50:51], exec, -1
.LBB29_50:                              ;   in Loop: Header=BB29_44 Depth=3
	s_or_b64 exec, exec, s[52:53]
	s_andn2_b64 s[46:47], s[46:47], exec
	s_and_b64 s[50:51], s[50:51], exec
	s_or_b64 s[46:47], s[46:47], s[50:51]
.LBB29_51:                              ;   in Loop: Header=BB29_44 Depth=3
	s_or_b64 exec, exec, s[48:49]
	s_and_b64 s[46:47], s[46:47], exec
                                        ; implicit-def: $vgpr22
.LBB29_52:                              ;   in Loop: Header=BB29_44 Depth=3
	s_andn2_saveexec_b64 s[44:45], s[44:45]
	s_cbranch_execz .LBB29_43
; %bb.53:                               ;   in Loop: Header=BB29_44 Depth=3
	v_mad_u64_u32 v[26:27], s[48:49], v23, 28, v[22:23]
	ds_add_f64 v26, v[24:25] offset:528
	s_andn2_b64 s[46:47], s[46:47], exec
	s_branch .LBB29_43
.LBB29_54:                              ;   in Loop: Header=BB29_18 Depth=2
	s_or_b64 exec, exec, s[42:43]
	v_mul_f64 v[20:21], v[10:11], v[20:21]
	v_fmac_f64_e32 v[20:21], v[12:13], v[18:19]
	s_mov_b64 s[42:43], 0
	s_branch .LBB29_56
.LBB29_55:                              ;   in Loop: Header=BB29_56 Depth=3
	s_or_b64 exec, exec, s[44:45]
	s_xor_b64 s[44:45], s[46:47], -1
	s_and_b64 s[44:45], exec, s[44:45]
	s_or_b64 s[42:43], s[44:45], s[42:43]
	s_andn2_b64 exec, exec, s[42:43]
	s_cbranch_execz .LBB29_17
.LBB29_56:                              ;   Parent Loop BB29_15 Depth=1
                                        ;     Parent Loop BB29_18 Depth=2
                                        ; =>    This Inner Loop Header: Depth=3
	v_lshl_add_u32 v18, v32, 2, 0
	ds_read_b32 v19, v18
                                        ; implicit-def: $sgpr46_sgpr47
	s_waitcnt lgkmcnt(0)
	v_cmp_ne_u32_e32 vcc, v19, v9
	s_and_saveexec_b64 s[44:45], vcc
	s_xor_b64 s[44:45], exec, s[44:45]
	s_cbranch_execz .LBB29_64
; %bb.57:                               ;   in Loop: Header=BB29_56 Depth=3
	v_cmp_ne_u32_e32 vcc, s33, v19
                                        ; implicit-def: $sgpr46_sgpr47
	s_and_saveexec_b64 s[48:49], vcc
	s_xor_b64 s[48:49], exec, s[48:49]
; %bb.58:                               ;   in Loop: Header=BB29_56 Depth=3
	v_add_u32_e32 v18, 1, v32
	v_and_b32_e32 v32, 0x7f, v18
	s_mov_b64 s[46:47], -1
                                        ; implicit-def: $vgpr18
; %bb.59:                               ;   in Loop: Header=BB29_56 Depth=3
	s_andn2_saveexec_b64 s[48:49], s[48:49]
	s_cbranch_execz .LBB29_63
; %bb.60:                               ;   in Loop: Header=BB29_56 Depth=3
	v_mov_b32_e32 v19, s33
	ds_cmpst_rtn_b32 v19, v18, v19, v9
	s_mov_b64 s[50:51], -1
	s_waitcnt lgkmcnt(0)
	v_cmp_eq_u32_e32 vcc, s33, v19
	s_and_saveexec_b64 s[52:53], vcc
	s_cbranch_execz .LBB29_62
; %bb.61:                               ;   in Loop: Header=BB29_56 Depth=3
	v_mad_u64_u32 v[18:19], s[50:51], v32, 28, v[18:19]
	ds_add_f64 v18, v[20:21] offset:536
	s_xor_b64 s[50:51], exec, -1
.LBB29_62:                              ;   in Loop: Header=BB29_56 Depth=3
	s_or_b64 exec, exec, s[52:53]
	s_andn2_b64 s[46:47], s[46:47], exec
	s_and_b64 s[50:51], s[50:51], exec
	s_or_b64 s[46:47], s[46:47], s[50:51]
.LBB29_63:                              ;   in Loop: Header=BB29_56 Depth=3
	s_or_b64 exec, exec, s[48:49]
	s_and_b64 s[46:47], s[46:47], exec
                                        ; implicit-def: $vgpr18
.LBB29_64:                              ;   in Loop: Header=BB29_56 Depth=3
	s_andn2_saveexec_b64 s[44:45], s[44:45]
	s_cbranch_execz .LBB29_55
; %bb.65:                               ;   in Loop: Header=BB29_56 Depth=3
	v_mad_u64_u32 v[18:19], s[48:49], v32, 28, v[18:19]
	ds_add_f64 v18, v[20:21] offset:536
	s_andn2_b64 s[46:47], s[46:47], exec
	s_branch .LBB29_55
.LBB29_66:
	s_or_b64 exec, exec, s[4:5]
.LBB29_67:
	s_andn2_b64 vcc, exec, s[2:3]
	s_waitcnt lgkmcnt(0)
	s_barrier
	s_cbranch_vccnz .LBB29_120
; %bb.68:
	s_lshl_b64 s[2:3], s[6:7], 2
	s_add_u32 s2, s8, s2
	s_addc_u32 s3, s9, s3
	s_load_dwordx2 s[2:3], s[2:3], 0x0
	s_waitcnt vmcnt(0)
	v_subrev_u32_e32 v4, s31, v0
	s_waitcnt lgkmcnt(0)
	s_sub_i32 s34, s3, s31
	v_add_u32_e32 v4, s2, v4
	v_cmp_gt_i32_e32 vcc, s34, v4
	s_and_saveexec_b64 s[2:3], vcc
	s_cbranch_execz .LBB29_119
; %bb.69:
	s_cmp_eq_u32 s54, 0
	s_cselect_b32 s35, 1, 2
	s_cselect_b32 s36, 2, 1
	s_mov_b64 s[4:5], 0
	v_mov_b32_e32 v15, s13
	v_mov_b32_e32 v16, s11
	s_branch .LBB29_71
.LBB29_70:                              ;   in Loop: Header=BB29_71 Depth=1
	s_or_b64 exec, exec, s[8:9]
	v_add_u32_e32 v4, 0x100, v4
	v_cmp_le_i32_e32 vcc, s34, v4
	s_or_b64 s[4:5], vcc, s[4:5]
	s_andn2_b64 exec, exec, s[4:5]
	s_cbranch_execz .LBB29_119
.LBB29_71:                              ; =>This Loop Header: Depth=1
                                        ;     Child Loop BB29_73 Depth 2
                                        ;     Child Loop BB29_85 Depth 2
	;; [unrolled: 1-line block ×4, first 2 shown]
	v_lshlrev_b32_e32 v6, 2, v4
	v_ashrrev_i32_e32 v7, 31, v6
	v_or_b32_e32 v8, s35, v6
	v_or_b32_e32 v10, s36, v6
	v_lshlrev_b64 v[6:7], 3, v[6:7]
	v_add_co_u32_e32 v12, vcc, s12, v6
	v_ashrrev_i32_e32 v9, 31, v8
	v_addc_co_u32_e32 v13, vcc, v15, v7, vcc
	v_lshlrev_b64 v[6:7], 3, v[8:9]
	v_add_co_u32_e32 v20, vcc, s12, v6
	v_ashrrev_i32_e32 v5, 31, v4
	v_addc_co_u32_e32 v21, vcc, v15, v7, vcc
	;; [unrolled: 4-line block ×3, first 2 shown]
	v_lshlrev_b64 v[6:7], 3, v[10:11]
	global_load_dword v5, v[8:9], off
	v_add_co_u32_e32 v22, vcc, s12, v6
	v_addc_co_u32_e32 v23, vcc, v15, v7, vcc
	global_load_dwordx2 v[18:19], v[12:13], off
	global_load_dwordx2 v[8:9], v[22:23], off
	;; [unrolled: 1-line block ×3, first 2 shown]
	global_load_dwordx2 v[6:7], v[12:13], off offset:24
	s_mov_b64 s[8:9], 0
	s_waitcnt vmcnt(4)
	v_subrev_u32_e32 v5, s31, v5
	v_lshl_add_u32 v14, v5, 3, v5
	v_and_b32_e32 v17, 0x7f, v14
	s_waitcnt vmcnt(3)
	v_mul_f64 v[12:13], v[2:3], v[18:19]
	v_mov_b32_e32 v18, v17
	s_branch .LBB29_73
.LBB29_72:                              ;   in Loop: Header=BB29_73 Depth=2
	s_or_b64 exec, exec, s[16:17]
	s_xor_b64 s[16:17], s[18:19], -1
	s_and_b64 s[16:17], exec, s[16:17]
	s_or_b64 s[8:9], s[16:17], s[8:9]
	s_andn2_b64 exec, exec, s[8:9]
	s_cbranch_execz .LBB29_83
.LBB29_73:                              ;   Parent Loop BB29_71 Depth=1
                                        ; =>  This Inner Loop Header: Depth=2
	v_lshl_add_u32 v14, v18, 2, 0
	ds_read_b32 v19, v14
                                        ; implicit-def: $sgpr18_sgpr19
	s_waitcnt lgkmcnt(0)
	v_cmp_ne_u32_e32 vcc, v19, v5
	s_and_saveexec_b64 s[16:17], vcc
	s_xor_b64 s[16:17], exec, s[16:17]
	s_cbranch_execz .LBB29_81
; %bb.74:                               ;   in Loop: Header=BB29_73 Depth=2
	v_cmp_ne_u32_e32 vcc, s33, v19
                                        ; implicit-def: $sgpr18_sgpr19
	s_and_saveexec_b64 s[20:21], vcc
	s_xor_b64 s[20:21], exec, s[20:21]
; %bb.75:                               ;   in Loop: Header=BB29_73 Depth=2
	v_add_u32_e32 v14, 1, v18
	v_and_b32_e32 v18, 0x7f, v14
	s_mov_b64 s[18:19], -1
                                        ; implicit-def: $vgpr14
; %bb.76:                               ;   in Loop: Header=BB29_73 Depth=2
	s_andn2_saveexec_b64 s[20:21], s[20:21]
	s_cbranch_execz .LBB29_80
; %bb.77:                               ;   in Loop: Header=BB29_73 Depth=2
	v_mov_b32_e32 v19, s33
	ds_cmpst_rtn_b32 v19, v14, v19, v5
	s_mov_b64 s[22:23], -1
	s_waitcnt lgkmcnt(0)
	v_cmp_eq_u32_e32 vcc, s33, v19
	s_and_saveexec_b64 s[28:29], vcc
	s_cbranch_execz .LBB29_79
; %bb.78:                               ;   in Loop: Header=BB29_73 Depth=2
	v_mad_u64_u32 v[20:21], s[22:23], v18, 28, v[14:15]
	ds_add_f64 v20, v[12:13] offset:512
	s_xor_b64 s[22:23], exec, -1
.LBB29_79:                              ;   in Loop: Header=BB29_73 Depth=2
	s_or_b64 exec, exec, s[28:29]
	s_andn2_b64 s[18:19], s[18:19], exec
	s_and_b64 s[22:23], s[22:23], exec
	s_or_b64 s[18:19], s[18:19], s[22:23]
.LBB29_80:                              ;   in Loop: Header=BB29_73 Depth=2
	s_or_b64 exec, exec, s[20:21]
	s_and_b64 s[18:19], s[18:19], exec
                                        ; implicit-def: $vgpr14
.LBB29_81:                              ;   in Loop: Header=BB29_73 Depth=2
	s_andn2_saveexec_b64 s[16:17], s[16:17]
	s_cbranch_execz .LBB29_72
; %bb.82:                               ;   in Loop: Header=BB29_73 Depth=2
	v_mad_u64_u32 v[20:21], s[20:21], v18, 28, v[14:15]
	ds_add_f64 v20, v[12:13] offset:512
	s_andn2_b64 s[18:19], s[18:19], exec
	s_branch .LBB29_72
.LBB29_83:                              ;   in Loop: Header=BB29_71 Depth=1
	s_or_b64 exec, exec, s[8:9]
	s_waitcnt vmcnt(1)
	v_mul_f64 v[10:11], v[2:3], v[10:11]
	s_mov_b64 s[8:9], 0
	v_mov_b32_e32 v13, v17
	s_branch .LBB29_85
.LBB29_84:                              ;   in Loop: Header=BB29_85 Depth=2
	s_or_b64 exec, exec, s[16:17]
	s_xor_b64 s[16:17], s[18:19], -1
	s_and_b64 s[16:17], exec, s[16:17]
	s_or_b64 s[8:9], s[16:17], s[8:9]
	s_andn2_b64 exec, exec, s[8:9]
	s_cbranch_execz .LBB29_95
.LBB29_85:                              ;   Parent Loop BB29_71 Depth=1
                                        ; =>  This Inner Loop Header: Depth=2
	v_lshl_add_u32 v12, v13, 2, 0
	ds_read_b32 v14, v12
                                        ; implicit-def: $sgpr18_sgpr19
	s_waitcnt lgkmcnt(0)
	v_cmp_ne_u32_e32 vcc, v14, v5
	s_and_saveexec_b64 s[16:17], vcc
	s_xor_b64 s[16:17], exec, s[16:17]
	s_cbranch_execz .LBB29_93
; %bb.86:                               ;   in Loop: Header=BB29_85 Depth=2
	v_cmp_ne_u32_e32 vcc, s33, v14
                                        ; implicit-def: $sgpr18_sgpr19
	s_and_saveexec_b64 s[20:21], vcc
	s_xor_b64 s[20:21], exec, s[20:21]
; %bb.87:                               ;   in Loop: Header=BB29_85 Depth=2
	v_add_u32_e32 v12, 1, v13
	v_and_b32_e32 v13, 0x7f, v12
	s_mov_b64 s[18:19], -1
                                        ; implicit-def: $vgpr12
; %bb.88:                               ;   in Loop: Header=BB29_85 Depth=2
	s_andn2_saveexec_b64 s[20:21], s[20:21]
	s_cbranch_execz .LBB29_92
; %bb.89:                               ;   in Loop: Header=BB29_85 Depth=2
	v_mov_b32_e32 v14, s33
	ds_cmpst_rtn_b32 v14, v12, v14, v5
	s_mov_b64 s[22:23], -1
	s_waitcnt lgkmcnt(0)
	v_cmp_eq_u32_e32 vcc, s33, v14
	s_and_saveexec_b64 s[28:29], vcc
	s_cbranch_execz .LBB29_91
; %bb.90:                               ;   in Loop: Header=BB29_85 Depth=2
	v_mad_u64_u32 v[18:19], s[22:23], v13, 28, v[12:13]
	ds_add_f64 v18, v[10:11] offset:520
	s_xor_b64 s[22:23], exec, -1
.LBB29_91:                              ;   in Loop: Header=BB29_85 Depth=2
	s_or_b64 exec, exec, s[28:29]
	s_andn2_b64 s[18:19], s[18:19], exec
	s_and_b64 s[22:23], s[22:23], exec
	s_or_b64 s[18:19], s[18:19], s[22:23]
.LBB29_92:                              ;   in Loop: Header=BB29_85 Depth=2
	s_or_b64 exec, exec, s[20:21]
	s_and_b64 s[18:19], s[18:19], exec
                                        ; implicit-def: $vgpr12
.LBB29_93:                              ;   in Loop: Header=BB29_85 Depth=2
	s_andn2_saveexec_b64 s[16:17], s[16:17]
	s_cbranch_execz .LBB29_84
; %bb.94:                               ;   in Loop: Header=BB29_85 Depth=2
	v_mad_u64_u32 v[18:19], s[20:21], v13, 28, v[12:13]
	ds_add_f64 v18, v[10:11] offset:520
	s_andn2_b64 s[18:19], s[18:19], exec
	s_branch .LBB29_84
.LBB29_95:                              ;   in Loop: Header=BB29_71 Depth=1
	s_or_b64 exec, exec, s[8:9]
	v_mul_f64 v[8:9], v[2:3], v[8:9]
	s_mov_b64 s[8:9], 0
	v_mov_b32_e32 v11, v17
	s_branch .LBB29_97
.LBB29_96:                              ;   in Loop: Header=BB29_97 Depth=2
	s_or_b64 exec, exec, s[16:17]
	s_xor_b64 s[16:17], s[18:19], -1
	s_and_b64 s[16:17], exec, s[16:17]
	s_or_b64 s[8:9], s[16:17], s[8:9]
	s_andn2_b64 exec, exec, s[8:9]
	s_cbranch_execz .LBB29_107
.LBB29_97:                              ;   Parent Loop BB29_71 Depth=1
                                        ; =>  This Inner Loop Header: Depth=2
	v_lshl_add_u32 v10, v11, 2, 0
	ds_read_b32 v12, v10
                                        ; implicit-def: $sgpr18_sgpr19
	s_waitcnt lgkmcnt(0)
	v_cmp_ne_u32_e32 vcc, v12, v5
	s_and_saveexec_b64 s[16:17], vcc
	s_xor_b64 s[16:17], exec, s[16:17]
	s_cbranch_execz .LBB29_105
; %bb.98:                               ;   in Loop: Header=BB29_97 Depth=2
	v_cmp_ne_u32_e32 vcc, s33, v12
                                        ; implicit-def: $sgpr18_sgpr19
	s_and_saveexec_b64 s[20:21], vcc
	s_xor_b64 s[20:21], exec, s[20:21]
; %bb.99:                               ;   in Loop: Header=BB29_97 Depth=2
	v_add_u32_e32 v10, 1, v11
	v_and_b32_e32 v11, 0x7f, v10
	s_mov_b64 s[18:19], -1
                                        ; implicit-def: $vgpr10
; %bb.100:                              ;   in Loop: Header=BB29_97 Depth=2
	s_andn2_saveexec_b64 s[20:21], s[20:21]
	s_cbranch_execz .LBB29_104
; %bb.101:                              ;   in Loop: Header=BB29_97 Depth=2
	v_mov_b32_e32 v12, s33
	ds_cmpst_rtn_b32 v12, v10, v12, v5
	s_mov_b64 s[22:23], -1
	s_waitcnt lgkmcnt(0)
	v_cmp_eq_u32_e32 vcc, s33, v12
	s_and_saveexec_b64 s[28:29], vcc
	s_cbranch_execz .LBB29_103
; %bb.102:                              ;   in Loop: Header=BB29_97 Depth=2
	v_mad_u64_u32 v[12:13], s[22:23], v11, 28, v[10:11]
	ds_add_f64 v12, v[8:9] offset:528
	s_xor_b64 s[22:23], exec, -1
.LBB29_103:                             ;   in Loop: Header=BB29_97 Depth=2
	s_or_b64 exec, exec, s[28:29]
	s_andn2_b64 s[18:19], s[18:19], exec
	s_and_b64 s[22:23], s[22:23], exec
	s_or_b64 s[18:19], s[18:19], s[22:23]
.LBB29_104:                             ;   in Loop: Header=BB29_97 Depth=2
	s_or_b64 exec, exec, s[20:21]
	s_and_b64 s[18:19], s[18:19], exec
                                        ; implicit-def: $vgpr10
.LBB29_105:                             ;   in Loop: Header=BB29_97 Depth=2
	s_andn2_saveexec_b64 s[16:17], s[16:17]
	s_cbranch_execz .LBB29_96
; %bb.106:                              ;   in Loop: Header=BB29_97 Depth=2
	v_mad_u64_u32 v[12:13], s[20:21], v11, 28, v[10:11]
	ds_add_f64 v12, v[8:9] offset:528
	s_andn2_b64 s[18:19], s[18:19], exec
	s_branch .LBB29_96
.LBB29_107:                             ;   in Loop: Header=BB29_71 Depth=1
	s_or_b64 exec, exec, s[8:9]
	s_waitcnt vmcnt(0)
	v_mul_f64 v[6:7], v[2:3], v[6:7]
	s_mov_b64 s[8:9], 0
	s_branch .LBB29_109
.LBB29_108:                             ;   in Loop: Header=BB29_109 Depth=2
	s_or_b64 exec, exec, s[16:17]
	s_xor_b64 s[16:17], s[18:19], -1
	s_and_b64 s[16:17], exec, s[16:17]
	s_or_b64 s[8:9], s[16:17], s[8:9]
	s_andn2_b64 exec, exec, s[8:9]
	s_cbranch_execz .LBB29_70
.LBB29_109:                             ;   Parent Loop BB29_71 Depth=1
                                        ; =>  This Inner Loop Header: Depth=2
	v_lshl_add_u32 v8, v17, 2, 0
	ds_read_b32 v9, v8
                                        ; implicit-def: $sgpr18_sgpr19
	s_waitcnt lgkmcnt(0)
	v_cmp_ne_u32_e32 vcc, v9, v5
	s_and_saveexec_b64 s[16:17], vcc
	s_xor_b64 s[16:17], exec, s[16:17]
	s_cbranch_execz .LBB29_117
; %bb.110:                              ;   in Loop: Header=BB29_109 Depth=2
	v_cmp_ne_u32_e32 vcc, s33, v9
                                        ; implicit-def: $sgpr18_sgpr19
	s_and_saveexec_b64 s[20:21], vcc
	s_xor_b64 s[20:21], exec, s[20:21]
; %bb.111:                              ;   in Loop: Header=BB29_109 Depth=2
	v_add_u32_e32 v8, 1, v17
	v_and_b32_e32 v17, 0x7f, v8
	s_mov_b64 s[18:19], -1
                                        ; implicit-def: $vgpr8
; %bb.112:                              ;   in Loop: Header=BB29_109 Depth=2
	s_andn2_saveexec_b64 s[20:21], s[20:21]
	s_cbranch_execz .LBB29_116
; %bb.113:                              ;   in Loop: Header=BB29_109 Depth=2
	v_mov_b32_e32 v9, s33
	ds_cmpst_rtn_b32 v9, v8, v9, v5
	s_mov_b64 s[22:23], -1
	s_waitcnt lgkmcnt(0)
	v_cmp_eq_u32_e32 vcc, s33, v9
	s_and_saveexec_b64 s[28:29], vcc
	s_cbranch_execz .LBB29_115
; %bb.114:                              ;   in Loop: Header=BB29_109 Depth=2
	v_mad_u64_u32 v[8:9], s[22:23], v17, 28, v[8:9]
	ds_add_f64 v8, v[6:7] offset:536
	s_xor_b64 s[22:23], exec, -1
.LBB29_115:                             ;   in Loop: Header=BB29_109 Depth=2
	s_or_b64 exec, exec, s[28:29]
	s_andn2_b64 s[18:19], s[18:19], exec
	s_and_b64 s[22:23], s[22:23], exec
	s_or_b64 s[18:19], s[18:19], s[22:23]
.LBB29_116:                             ;   in Loop: Header=BB29_109 Depth=2
	s_or_b64 exec, exec, s[20:21]
	s_and_b64 s[18:19], s[18:19], exec
                                        ; implicit-def: $vgpr8
.LBB29_117:                             ;   in Loop: Header=BB29_109 Depth=2
	s_andn2_saveexec_b64 s[16:17], s[16:17]
	s_cbranch_execz .LBB29_108
; %bb.118:                              ;   in Loop: Header=BB29_109 Depth=2
	v_mad_u64_u32 v[8:9], s[20:21], v17, 28, v[8:9]
	ds_add_f64 v8, v[6:7] offset:536
	s_andn2_b64 s[18:19], s[18:19], exec
	s_branch .LBB29_108
.LBB29_119:
	s_or_b64 exec, exec, s[2:3]
.LBB29_120:
	s_waitcnt lgkmcnt(0)
	s_barrier
	s_and_saveexec_b64 s[2:3], s[0:1]
	s_cbranch_execz .LBB29_123
; %bb.121:
	ds_read_b32 v1, v1
	s_waitcnt lgkmcnt(0)
	v_cmp_gt_i32_e32 vcc, s33, v1
	s_and_b64 exec, exec, vcc
	s_cbranch_execz .LBB29_123
; %bb.122:
	s_lshl_b64 s[0:1], s[6:7], 2
	s_add_u32 s0, s14, s0
	s_addc_u32 s1, s15, s1
	s_waitcnt vmcnt(0)
	v_mov_b32_e32 v2, 0
	s_load_dword s1, s[0:1], 0x0
	ds_read2_b32 v[4:5], v2 offset1:1
	ds_read2_b32 v[6:7], v2 offset0:2 offset1:3
	ds_read2_b32 v[8:9], v2 offset0:4 offset1:5
	;; [unrolled: 1-line block ×3, first 2 shown]
	s_add_i32 s0, 0, 0x200
	s_waitcnt lgkmcnt(0)
	s_sub_i32 s1, s1, s30
	v_cmp_gt_i32_e32 vcc, v1, v4
	v_cndmask_b32_e64 v3, 0, 1, vcc
	v_mov_b32_e32 v4, s1
	v_cmp_gt_i32_e32 vcc, v1, v5
	v_addc_co_u32_e32 v3, vcc, v4, v3, vcc
	v_cmp_gt_i32_e32 vcc, v1, v6
	v_cndmask_b32_e64 v4, 0, 1, vcc
	v_cmp_gt_i32_e32 vcc, v1, v7
	v_addc_co_u32_e32 v3, vcc, v3, v4, vcc
	v_cmp_gt_i32_e32 vcc, v1, v8
	v_cndmask_b32_e64 v4, 0, 1, vcc
	v_cmp_gt_i32_e32 vcc, v1, v9
	v_addc_co_u32_e32 v3, vcc, v3, v4, vcc
	ds_read2_b32 v[4:5], v2 offset0:8 offset1:9
	v_cmp_gt_i32_e32 vcc, v1, v10
	v_cndmask_b32_e64 v6, 0, 1, vcc
	v_cmp_gt_i32_e32 vcc, v1, v11
	v_addc_co_u32_e32 v3, vcc, v3, v6, vcc
	ds_read2_b32 v[6:7], v2 offset0:10 offset1:11
	ds_read2_b32 v[8:9], v2 offset0:12 offset1:13
	ds_read2_b32 v[10:11], v2 offset0:14 offset1:15
	s_waitcnt lgkmcnt(3)
	v_cmp_gt_i32_e32 vcc, v1, v4
	v_cndmask_b32_e64 v4, 0, 1, vcc
	v_cmp_gt_i32_e32 vcc, v1, v5
	v_addc_co_u32_e32 v3, vcc, v3, v4, vcc
	s_waitcnt lgkmcnt(2)
	v_cmp_gt_i32_e32 vcc, v1, v6
	v_cndmask_b32_e64 v4, 0, 1, vcc
	v_cmp_gt_i32_e32 vcc, v1, v7
	v_addc_co_u32_e32 v3, vcc, v3, v4, vcc
	s_waitcnt lgkmcnt(1)
	v_cmp_gt_i32_e32 vcc, v1, v8
	v_cndmask_b32_e64 v4, 0, 1, vcc
	v_cmp_gt_i32_e32 vcc, v1, v9
	v_addc_co_u32_e32 v3, vcc, v3, v4, vcc
	ds_read2_b32 v[4:5], v2 offset0:16 offset1:17
	s_waitcnt lgkmcnt(1)
	v_cmp_gt_i32_e32 vcc, v1, v10
	v_cndmask_b32_e64 v6, 0, 1, vcc
	v_cmp_gt_i32_e32 vcc, v1, v11
	v_addc_co_u32_e32 v3, vcc, v3, v6, vcc
	ds_read2_b32 v[6:7], v2 offset0:18 offset1:19
	ds_read2_b32 v[8:9], v2 offset0:20 offset1:21
	ds_read2_b32 v[10:11], v2 offset0:22 offset1:23
	s_waitcnt lgkmcnt(3)
	v_cmp_gt_i32_e32 vcc, v1, v4
	v_cndmask_b32_e64 v4, 0, 1, vcc
	v_cmp_gt_i32_e32 vcc, v1, v5
	v_addc_co_u32_e32 v3, vcc, v3, v4, vcc
	s_waitcnt lgkmcnt(2)
	v_cmp_gt_i32_e32 vcc, v1, v6
	v_cndmask_b32_e64 v4, 0, 1, vcc
	v_cmp_gt_i32_e32 vcc, v1, v7
	v_addc_co_u32_e32 v3, vcc, v3, v4, vcc
	s_waitcnt lgkmcnt(1)
	v_cmp_gt_i32_e32 vcc, v1, v8
	v_cndmask_b32_e64 v4, 0, 1, vcc
	v_cmp_gt_i32_e32 vcc, v1, v9
	v_addc_co_u32_e32 v3, vcc, v3, v4, vcc
	ds_read2_b32 v[4:5], v2 offset0:24 offset1:25
	s_waitcnt lgkmcnt(1)
	;; [unrolled: 24-line block ×14, first 2 shown]
	v_cmp_gt_i32_e32 vcc, v1, v10
	v_cndmask_b32_e64 v6, 0, 1, vcc
	v_cmp_gt_i32_e32 vcc, v1, v11
	v_addc_co_u32_e32 v10, vcc, v3, v6, vcc
	ds_read2_b32 v[6:7], v2 offset0:122 offset1:123
	ds_read2_b32 v[8:9], v2 offset0:124 offset1:125
	;; [unrolled: 1-line block ×3, first 2 shown]
	s_waitcnt lgkmcnt(3)
	v_cmp_gt_i32_e32 vcc, v1, v4
	v_cndmask_b32_e64 v4, 0, 1, vcc
	v_cmp_gt_i32_e32 vcc, v1, v5
	v_addc_co_u32_e32 v4, vcc, v10, v4, vcc
	s_waitcnt lgkmcnt(2)
	v_cmp_gt_i32_e32 vcc, v1, v6
	v_cndmask_b32_e64 v5, 0, 1, vcc
	v_cmp_gt_i32_e32 vcc, v1, v7
	v_addc_co_u32_e32 v4, vcc, v4, v5, vcc
	;; [unrolled: 5-line block ×4, first 2 shown]
	v_ashrrev_i32_e32 v3, 31, v2
	v_lshlrev_b64 v[4:5], 2, v[2:3]
	v_mov_b32_e32 v3, s25
	v_add_co_u32_e32 v4, vcc, s24, v4
	v_add_u32_e32 v1, s30, v1
	v_addc_co_u32_e32 v5, vcc, v3, v5, vcc
	s_cmp_eq_u32 s54, 0
	global_store_dword v[4:5], v1, off
	v_lshlrev_b32_e32 v5, 5, v0
	v_lshlrev_b32_e32 v2, 2, v2
	;; [unrolled: 1-line block ×3, first 2 shown]
	v_ashrrev_i32_e32 v3, 31, v2
	v_add_u32_e32 v6, s0, v5
	s_cselect_b32 s0, 1, 2
	s_cselect_b32 s1, 2, 1
	v_lshlrev_b64 v[8:9], 3, v[2:3]
	v_or_b32_e32 v2, s0, v4
	v_or_b32_e32 v3, s1, v4
	v_add_u32_e32 v0, 0, v5
	v_lshl_add_u32 v2, v2, 3, 0
	v_lshl_add_u32 v3, v3, 3, 0
	ds_read_b64 v[0:1], v0 offset:512
	ds_read_b64 v[4:5], v3 offset:512
	;; [unrolled: 1-line block ×4, first 2 shown]
	v_mov_b32_e32 v10, s27
	v_add_co_u32_e32 v8, vcc, s26, v8
	v_addc_co_u32_e32 v9, vcc, v10, v9, vcc
	s_waitcnt lgkmcnt(1)
	global_store_dwordx4 v[8:9], v[0:3], off
	s_waitcnt lgkmcnt(0)
	global_store_dwordx4 v[8:9], v[4:7], off offset:16
.LBB29_123:
	s_endpgm
	.section	.rodata,"a",@progbits
	.p2align	6, 0x0
	.amdhsa_kernel _ZN9rocsparseL30bsrgemm_fill_block_per_row_2x2ILj256ELj16ELj128ELj137EiidEEv20rocsparse_direction_T4_S2_PKS2_S4_NS_24const_host_device_scalarIT5_EEPKT3_S4_PKS6_SA_S4_SC_S7_SA_S4_SC_SA_PS2_PS6_21rocsparse_index_base_SF_SF_SF_bbb
		.amdhsa_group_segment_fixed_size 0
		.amdhsa_private_segment_fixed_size 0
		.amdhsa_kernarg_size 164
		.amdhsa_user_sgpr_count 6
		.amdhsa_user_sgpr_private_segment_buffer 1
		.amdhsa_user_sgpr_dispatch_ptr 0
		.amdhsa_user_sgpr_queue_ptr 0
		.amdhsa_user_sgpr_kernarg_segment_ptr 1
		.amdhsa_user_sgpr_dispatch_id 0
		.amdhsa_user_sgpr_flat_scratch_init 0
		.amdhsa_user_sgpr_kernarg_preload_length 0
		.amdhsa_user_sgpr_kernarg_preload_offset 0
		.amdhsa_user_sgpr_private_segment_size 0
		.amdhsa_uses_dynamic_stack 0
		.amdhsa_system_sgpr_private_segment_wavefront_offset 0
		.amdhsa_system_sgpr_workgroup_id_x 1
		.amdhsa_system_sgpr_workgroup_id_y 0
		.amdhsa_system_sgpr_workgroup_id_z 0
		.amdhsa_system_sgpr_workgroup_info 0
		.amdhsa_system_vgpr_workitem_id 0
		.amdhsa_next_free_vgpr 36
		.amdhsa_next_free_sgpr 58
		.amdhsa_accum_offset 36
		.amdhsa_reserve_vcc 1
		.amdhsa_reserve_flat_scratch 0
		.amdhsa_float_round_mode_32 0
		.amdhsa_float_round_mode_16_64 0
		.amdhsa_float_denorm_mode_32 3
		.amdhsa_float_denorm_mode_16_64 3
		.amdhsa_dx10_clamp 1
		.amdhsa_ieee_mode 1
		.amdhsa_fp16_overflow 0
		.amdhsa_tg_split 0
		.amdhsa_exception_fp_ieee_invalid_op 0
		.amdhsa_exception_fp_denorm_src 0
		.amdhsa_exception_fp_ieee_div_zero 0
		.amdhsa_exception_fp_ieee_overflow 0
		.amdhsa_exception_fp_ieee_underflow 0
		.amdhsa_exception_fp_ieee_inexact 0
		.amdhsa_exception_int_div_zero 0
	.end_amdhsa_kernel
	.section	.text._ZN9rocsparseL30bsrgemm_fill_block_per_row_2x2ILj256ELj16ELj128ELj137EiidEEv20rocsparse_direction_T4_S2_PKS2_S4_NS_24const_host_device_scalarIT5_EEPKT3_S4_PKS6_SA_S4_SC_S7_SA_S4_SC_SA_PS2_PS6_21rocsparse_index_base_SF_SF_SF_bbb,"axG",@progbits,_ZN9rocsparseL30bsrgemm_fill_block_per_row_2x2ILj256ELj16ELj128ELj137EiidEEv20rocsparse_direction_T4_S2_PKS2_S4_NS_24const_host_device_scalarIT5_EEPKT3_S4_PKS6_SA_S4_SC_S7_SA_S4_SC_SA_PS2_PS6_21rocsparse_index_base_SF_SF_SF_bbb,comdat
.Lfunc_end29:
	.size	_ZN9rocsparseL30bsrgemm_fill_block_per_row_2x2ILj256ELj16ELj128ELj137EiidEEv20rocsparse_direction_T4_S2_PKS2_S4_NS_24const_host_device_scalarIT5_EEPKT3_S4_PKS6_SA_S4_SC_S7_SA_S4_SC_SA_PS2_PS6_21rocsparse_index_base_SF_SF_SF_bbb, .Lfunc_end29-_ZN9rocsparseL30bsrgemm_fill_block_per_row_2x2ILj256ELj16ELj128ELj137EiidEEv20rocsparse_direction_T4_S2_PKS2_S4_NS_24const_host_device_scalarIT5_EEPKT3_S4_PKS6_SA_S4_SC_S7_SA_S4_SC_SA_PS2_PS6_21rocsparse_index_base_SF_SF_SF_bbb
                                        ; -- End function
	.section	.AMDGPU.csdata,"",@progbits
; Kernel info:
; codeLenInByte = 5428
; NumSgprs: 62
; NumVgprs: 36
; NumAgprs: 0
; TotalNumVgprs: 36
; ScratchSize: 0
; MemoryBound: 0
; FloatMode: 240
; IeeeMode: 1
; LDSByteSize: 0 bytes/workgroup (compile time only)
; SGPRBlocks: 7
; VGPRBlocks: 4
; NumSGPRsForWavesPerEU: 62
; NumVGPRsForWavesPerEU: 36
; AccumOffset: 36
; Occupancy: 8
; WaveLimiterHint : 1
; COMPUTE_PGM_RSRC2:SCRATCH_EN: 0
; COMPUTE_PGM_RSRC2:USER_SGPR: 6
; COMPUTE_PGM_RSRC2:TRAP_HANDLER: 0
; COMPUTE_PGM_RSRC2:TGID_X_EN: 1
; COMPUTE_PGM_RSRC2:TGID_Y_EN: 0
; COMPUTE_PGM_RSRC2:TGID_Z_EN: 0
; COMPUTE_PGM_RSRC2:TIDIG_COMP_CNT: 0
; COMPUTE_PGM_RSRC3_GFX90A:ACCUM_OFFSET: 8
; COMPUTE_PGM_RSRC3_GFX90A:TG_SPLIT: 0
	.section	.text._ZN9rocsparseL30bsrgemm_fill_block_per_row_2x2ILj256ELj16ELj256ELj137EiidEEv20rocsparse_direction_T4_S2_PKS2_S4_NS_24const_host_device_scalarIT5_EEPKT3_S4_PKS6_SA_S4_SC_S7_SA_S4_SC_SA_PS2_PS6_21rocsparse_index_base_SF_SF_SF_bbb,"axG",@progbits,_ZN9rocsparseL30bsrgemm_fill_block_per_row_2x2ILj256ELj16ELj256ELj137EiidEEv20rocsparse_direction_T4_S2_PKS2_S4_NS_24const_host_device_scalarIT5_EEPKT3_S4_PKS6_SA_S4_SC_S7_SA_S4_SC_SA_PS2_PS6_21rocsparse_index_base_SF_SF_SF_bbb,comdat
	.globl	_ZN9rocsparseL30bsrgemm_fill_block_per_row_2x2ILj256ELj16ELj256ELj137EiidEEv20rocsparse_direction_T4_S2_PKS2_S4_NS_24const_host_device_scalarIT5_EEPKT3_S4_PKS6_SA_S4_SC_S7_SA_S4_SC_SA_PS2_PS6_21rocsparse_index_base_SF_SF_SF_bbb ; -- Begin function _ZN9rocsparseL30bsrgemm_fill_block_per_row_2x2ILj256ELj16ELj256ELj137EiidEEv20rocsparse_direction_T4_S2_PKS2_S4_NS_24const_host_device_scalarIT5_EEPKT3_S4_PKS6_SA_S4_SC_S7_SA_S4_SC_SA_PS2_PS6_21rocsparse_index_base_SF_SF_SF_bbb
	.p2align	8
	.type	_ZN9rocsparseL30bsrgemm_fill_block_per_row_2x2ILj256ELj16ELj256ELj137EiidEEv20rocsparse_direction_T4_S2_PKS2_S4_NS_24const_host_device_scalarIT5_EEPKT3_S4_PKS6_SA_S4_SC_S7_SA_S4_SC_SA_PS2_PS6_21rocsparse_index_base_SF_SF_SF_bbb,@function
_ZN9rocsparseL30bsrgemm_fill_block_per_row_2x2ILj256ELj16ELj256ELj137EiidEEv20rocsparse_direction_T4_S2_PKS2_S4_NS_24const_host_device_scalarIT5_EEPKT3_S4_PKS6_SA_S4_SC_S7_SA_S4_SC_SA_PS2_PS6_21rocsparse_index_base_SF_SF_SF_bbb: ; @_ZN9rocsparseL30bsrgemm_fill_block_per_row_2x2ILj256ELj16ELj256ELj137EiidEEv20rocsparse_direction_T4_S2_PKS2_S4_NS_24const_host_device_scalarIT5_EEPKT3_S4_PKS6_SA_S4_SC_S7_SA_S4_SC_SA_PS2_PS6_21rocsparse_index_base_SF_SF_SF_bbb
; %bb.0:
	s_load_dword s7, s[4:5], 0xa0
	s_load_dwordx2 s[2:3], s[4:5], 0x20
	s_load_dwordx2 s[0:1], s[4:5], 0x58
	s_waitcnt lgkmcnt(0)
	s_and_b32 s10, 1, s7
	s_bitcmp1_b32 s7, 16
	s_cselect_b64 s[8:9], -1, 0
	s_cmp_eq_u32 s10, 1
	s_cselect_b64 s[34:35], -1, 0
	s_and_b64 s[10:11], s[34:35], exec
	s_cselect_b32 s11, s3, 0
	s_cselect_b32 s10, s2, 0
	s_xor_b64 s[12:13], s[34:35], -1
	s_or_b64 s[12:13], s[12:13], s[8:9]
	s_and_b64 vcc, exec, s[12:13]
	v_pk_mov_b32 v[4:5], s[10:11], s[10:11] op_sel:[0,1]
	s_cbranch_vccnz .LBB30_2
; %bb.1:
	v_pk_mov_b32 v[2:3], s[2:3], s[2:3] op_sel:[0,1]
	flat_load_dwordx2 v[4:5], v[2:3]
.LBB30_2:
	s_bitcmp1_b32 s7, 8
	s_load_dwordx4 s[28:31], s[4:5], 0x90
	s_cselect_b64 s[2:3], -1, 0
	s_and_b64 s[10:11], s[2:3], exec
	s_cselect_b32 s11, s1, 0
	s_cselect_b32 s10, s0, 0
	s_xor_b64 s[12:13], s[2:3], -1
	s_or_b64 s[8:9], s[12:13], s[8:9]
	s_and_b64 vcc, exec, s[8:9]
	v_pk_mov_b32 v[2:3], s[10:11], s[10:11] op_sel:[0,1]
	s_cbranch_vccnz .LBB30_4
; %bb.3:
	v_pk_mov_b32 v[2:3], s[0:1], s[0:1] op_sel:[0,1]
	flat_load_dwordx2 v[2:3], v[2:3]
.LBB30_4:
	s_load_dwordx4 s[24:27], s[4:5], 0x80
	s_load_dwordx8 s[8:15], s[4:5], 0x60
	s_load_dwordx4 s[36:39], s[4:5], 0x48
	s_load_dwordx8 s[16:23], s[4:5], 0x28
	s_load_dwordx4 s[40:43], s[4:5], 0x10
	s_load_dword s54, s[4:5], 0x8
	s_movk_i32 s0, 0x100
	v_cmp_gt_u32_e64 s[0:1], s0, v0
	v_lshl_add_u32 v29, v0, 2, 0
	s_and_saveexec_b64 s[44:45], s[0:1]
	s_cbranch_execz .LBB30_6
; %bb.5:
	s_waitcnt lgkmcnt(0)
	v_mov_b32_e32 v1, s54
	ds_write_b32 v29, v1
.LBB30_6:
	s_or_b64 exec, exec, s[44:45]
	v_mov_b32_e32 v6, 0
	v_lshl_add_u32 v1, v0, 3, 0
	v_add_u32_e32 v1, 0x400, v1
	v_or_b32_e32 v8, 0xffffff00, v0
	s_mov_b64 s[44:45], 0
	v_mov_b32_e32 v7, v6
	s_movk_i32 s7, 0x2ff
.LBB30_7:                               ; =>This Inner Loop Header: Depth=1
	v_add_u32_e32 v8, 0x100, v8
	v_cmp_lt_u32_e32 vcc, s7, v8
	ds_write_b64 v1, v[6:7]
	s_or_b64 s[44:45], vcc, s[44:45]
	v_add_u32_e32 v1, 0x800, v1
	s_andn2_b64 exec, exec, s[44:45]
	s_cbranch_execnz .LBB30_7
; %bb.8:
	s_or_b64 exec, exec, s[44:45]
	s_waitcnt lgkmcnt(0)
	s_cmp_lg_u64 s[42:43], 0
	s_barrier
	s_cbranch_scc0 .LBB30_10
; %bb.9:
	s_load_dword s7, s[40:41], 0x0
	s_waitcnt lgkmcnt(0)
	s_add_i32 s6, s7, s6
	s_mov_b32 s7, 0
	s_lshl_b64 s[6:7], s[6:7], 2
	s_add_u32 s6, s42, s6
	s_addc_u32 s7, s43, s7
	s_load_dword s6, s[6:7], 0x0
.LBB30_10:
	s_nop 0
	s_load_dword s33, s[4:5], 0x0
	s_andn2_b64 vcc, exec, s[34:35]
	s_waitcnt lgkmcnt(0)
	s_ashr_i32 s7, s6, 31
	s_cbranch_vccnz .LBB30_66
; %bb.11:
	s_lshl_b64 s[4:5], s[6:7], 2
	s_add_u32 s4, s16, s4
	s_addc_u32 s5, s17, s5
	s_load_dwordx2 s[4:5], s[4:5], 0x0
	v_lshrrev_b32_e32 v1, 4, v0
	v_subrev_u32_e32 v1, s28, v1
	s_waitcnt lgkmcnt(0)
	s_sub_i32 s55, s5, s28
	v_add_u32_e32 v6, s4, v1
	v_cmp_gt_i32_e32 vcc, s55, v6
	s_and_saveexec_b64 s[4:5], vcc
	s_cbranch_execz .LBB30_65
; %bb.12:
	v_and_b32_e32 v1, 15, v0
	s_cmp_eq_u32 s33, 0
	v_subrev_u32_e32 v1, s29, v1
	s_cselect_b32 s56, 1, 2
	s_cselect_b32 s57, 2, 1
	s_mov_b64 s[16:17], 0
	v_mov_b32_e32 v30, s19
	v_mov_b32_e32 v31, s23
	s_movk_i32 s19, 0x89
	s_branch .LBB30_14
.LBB30_13:                              ;   in Loop: Header=BB30_14 Depth=1
	s_or_b64 exec, exec, s[34:35]
	v_add_u32_e32 v6, 16, v6
	v_cmp_le_i32_e32 vcc, s55, v6
	s_or_b64 s[16:17], vcc, s[16:17]
	s_andn2_b64 exec, exec, s[16:17]
	s_cbranch_execz .LBB30_65
.LBB30_14:                              ; =>This Loop Header: Depth=1
                                        ;     Child Loop BB30_17 Depth 2
                                        ;       Child Loop BB30_19 Depth 3
                                        ;       Child Loop BB30_31 Depth 3
	;; [unrolled: 1-line block ×4, first 2 shown]
	v_ashrrev_i32_e32 v7, 31, v6
	v_lshlrev_b64 v[8:9], 2, v[6:7]
	v_add_co_u32_e32 v8, vcc, s18, v8
	v_addc_co_u32_e32 v9, vcc, v30, v9, vcc
	global_load_dword v7, v[8:9], off
	s_waitcnt vmcnt(0)
	v_subrev_u32_e32 v8, s28, v7
	v_ashrrev_i32_e32 v9, 31, v8
	v_lshlrev_b64 v[8:9], 2, v[8:9]
	v_add_co_u32_e32 v8, vcc, s22, v8
	v_addc_co_u32_e32 v9, vcc, v31, v9, vcc
	global_load_dwordx2 v[8:9], v[8:9], off
	s_waitcnt vmcnt(0)
	v_subrev_u32_e32 v7, s29, v9
	v_add_u32_e32 v8, v8, v1
	v_cmp_lt_i32_e32 vcc, v8, v7
	s_and_saveexec_b64 s[34:35], vcc
	s_cbranch_execz .LBB30_13
; %bb.15:                               ;   in Loop: Header=BB30_14 Depth=1
	v_lshlrev_b32_e32 v10, 2, v6
	v_ashrrev_i32_e32 v11, 31, v10
	v_or_b32_e32 v12, s56, v10
	v_or_b32_e32 v14, s57, v10
	v_lshlrev_b64 v[10:11], 3, v[10:11]
	v_mov_b32_e32 v9, s21
	v_add_co_u32_e32 v10, vcc, s20, v10
	v_ashrrev_i32_e32 v15, 31, v14
	v_addc_co_u32_e32 v11, vcc, v9, v11, vcc
	v_lshlrev_b64 v[14:15], 3, v[14:15]
	v_add_co_u32_e32 v14, vcc, s20, v14
	v_ashrrev_i32_e32 v13, 31, v12
	v_addc_co_u32_e32 v15, vcc, v9, v15, vcc
	v_lshlrev_b64 v[12:13], 3, v[12:13]
	v_add_co_u32_e32 v12, vcc, s20, v12
	v_addc_co_u32_e32 v13, vcc, v9, v13, vcc
	global_load_dwordx2 v[16:17], v[10:11], off offset:24
	global_load_dwordx2 v[18:19], v[14:15], off
	global_load_dwordx2 v[20:21], v[12:13], off
	;; [unrolled: 1-line block ×3, first 2 shown]
	s_mov_b64 s[40:41], 0
	s_waitcnt vmcnt(3)
	v_mul_f64 v[10:11], v[4:5], v[16:17]
	s_waitcnt vmcnt(2)
	v_mul_f64 v[12:13], v[4:5], v[18:19]
	;; [unrolled: 2-line block ×4, first 2 shown]
	s_branch .LBB30_17
.LBB30_16:                              ;   in Loop: Header=BB30_17 Depth=2
	s_or_b64 exec, exec, s[42:43]
	v_add_u32_e32 v8, 16, v8
	v_cmp_ge_i32_e32 vcc, v8, v7
	s_or_b64 s[40:41], vcc, s[40:41]
	s_andn2_b64 exec, exec, s[40:41]
	s_cbranch_execz .LBB30_13
.LBB30_17:                              ;   Parent Loop BB30_14 Depth=1
                                        ; =>  This Loop Header: Depth=2
                                        ;       Child Loop BB30_19 Depth 3
                                        ;       Child Loop BB30_31 Depth 3
	;; [unrolled: 1-line block ×4, first 2 shown]
	v_ashrrev_i32_e32 v9, 31, v8
	v_lshlrev_b64 v[18:19], 2, v[8:9]
	v_mov_b32_e32 v9, s37
	v_add_co_u32_e32 v18, vcc, s36, v18
	v_addc_co_u32_e32 v19, vcc, v9, v19, vcc
	global_load_dword v9, v[18:19], off
	v_lshlrev_b32_e32 v18, 2, v8
	v_ashrrev_i32_e32 v19, 31, v18
	v_or_b32_e32 v20, s56, v18
	v_or_b32_e32 v24, s57, v18
	v_lshlrev_b64 v[18:19], 3, v[18:19]
	v_mov_b32_e32 v28, s39
	v_add_co_u32_e32 v26, vcc, s38, v18
	v_ashrrev_i32_e32 v21, 31, v20
	v_ashrrev_i32_e32 v25, 31, v24
	v_addc_co_u32_e32 v27, vcc, v28, v19, vcc
	v_lshlrev_b64 v[18:19], 3, v[20:21]
	v_lshlrev_b64 v[20:21], 3, v[24:25]
	v_add_co_u32_e32 v20, vcc, s38, v20
	v_addc_co_u32_e32 v21, vcc, v28, v21, vcc
	global_load_dwordx2 v[22:23], v[26:27], off
	global_load_dwordx2 v[24:25], v[20:21], off
	v_add_co_u32_e32 v18, vcc, s38, v18
	v_addc_co_u32_e32 v19, vcc, v28, v19, vcc
	global_load_dwordx2 v[18:19], v[18:19], off
	s_nop 0
	global_load_dwordx2 v[20:21], v[26:27], off offset:24
	s_mov_b64 s[42:43], 0
	s_waitcnt vmcnt(4)
	v_subrev_u32_e32 v9, s29, v9
	v_mul_lo_u32 v28, v9, s19
	v_and_b32_e32 v32, 0xff, v28
	v_mov_b32_e32 v33, v32
	s_waitcnt vmcnt(2)
	v_mul_f64 v[26:27], v[14:15], v[24:25]
	v_fmac_f64_e32 v[26:27], v[16:17], v[22:23]
	s_branch .LBB30_19
.LBB30_18:                              ;   in Loop: Header=BB30_19 Depth=3
	s_or_b64 exec, exec, s[44:45]
	s_xor_b64 s[44:45], s[46:47], -1
	s_and_b64 s[44:45], exec, s[44:45]
	s_or_b64 s[42:43], s[44:45], s[42:43]
	s_andn2_b64 exec, exec, s[42:43]
	s_cbranch_execz .LBB30_29
.LBB30_19:                              ;   Parent Loop BB30_14 Depth=1
                                        ;     Parent Loop BB30_17 Depth=2
                                        ; =>    This Inner Loop Header: Depth=3
	v_lshl_add_u32 v28, v33, 2, 0
	ds_read_b32 v34, v28
                                        ; implicit-def: $sgpr46_sgpr47
	s_waitcnt lgkmcnt(0)
	v_cmp_ne_u32_e32 vcc, v34, v9
	s_and_saveexec_b64 s[44:45], vcc
	s_xor_b64 s[44:45], exec, s[44:45]
	s_cbranch_execz .LBB30_27
; %bb.20:                               ;   in Loop: Header=BB30_19 Depth=3
	v_cmp_ne_u32_e32 vcc, s54, v34
                                        ; implicit-def: $sgpr46_sgpr47
	s_and_saveexec_b64 s[48:49], vcc
	s_xor_b64 s[48:49], exec, s[48:49]
; %bb.21:                               ;   in Loop: Header=BB30_19 Depth=3
	v_add_u32_e32 v28, 1, v33
	v_and_b32_e32 v33, 0xff, v28
	s_mov_b64 s[46:47], -1
                                        ; implicit-def: $vgpr28
; %bb.22:                               ;   in Loop: Header=BB30_19 Depth=3
	s_andn2_saveexec_b64 s[48:49], s[48:49]
	s_cbranch_execz .LBB30_26
; %bb.23:                               ;   in Loop: Header=BB30_19 Depth=3
	v_mov_b32_e32 v34, s54
	ds_cmpst_rtn_b32 v34, v28, v34, v9
	s_mov_b64 s[50:51], -1
	s_waitcnt lgkmcnt(0)
	v_cmp_eq_u32_e32 vcc, s54, v34
	s_and_saveexec_b64 s[52:53], vcc
	s_cbranch_execz .LBB30_25
; %bb.24:                               ;   in Loop: Header=BB30_19 Depth=3
	v_mad_u64_u32 v[34:35], s[50:51], v33, 28, v[28:29]
	ds_add_f64 v34, v[26:27] offset:1024
	s_xor_b64 s[50:51], exec, -1
.LBB30_25:                              ;   in Loop: Header=BB30_19 Depth=3
	s_or_b64 exec, exec, s[52:53]
	s_andn2_b64 s[46:47], s[46:47], exec
	s_and_b64 s[50:51], s[50:51], exec
	s_or_b64 s[46:47], s[46:47], s[50:51]
.LBB30_26:                              ;   in Loop: Header=BB30_19 Depth=3
	s_or_b64 exec, exec, s[48:49]
	s_and_b64 s[46:47], s[46:47], exec
                                        ; implicit-def: $vgpr28
.LBB30_27:                              ;   in Loop: Header=BB30_19 Depth=3
	s_andn2_saveexec_b64 s[44:45], s[44:45]
	s_cbranch_execz .LBB30_18
; %bb.28:                               ;   in Loop: Header=BB30_19 Depth=3
	v_mad_u64_u32 v[34:35], s[48:49], v33, 28, v[28:29]
	ds_add_f64 v34, v[26:27] offset:1024
	s_andn2_b64 s[46:47], s[46:47], exec
	s_branch .LBB30_18
.LBB30_29:                              ;   in Loop: Header=BB30_17 Depth=2
	s_or_b64 exec, exec, s[42:43]
	s_waitcnt vmcnt(0)
	v_mul_f64 v[26:27], v[14:15], v[20:21]
	v_fmac_f64_e32 v[26:27], v[16:17], v[18:19]
	s_mov_b64 s[42:43], 0
	v_mov_b32_e32 v33, v32
	s_branch .LBB30_31
.LBB30_30:                              ;   in Loop: Header=BB30_31 Depth=3
	s_or_b64 exec, exec, s[44:45]
	s_xor_b64 s[44:45], s[46:47], -1
	s_and_b64 s[44:45], exec, s[44:45]
	s_or_b64 s[42:43], s[44:45], s[42:43]
	s_andn2_b64 exec, exec, s[42:43]
	s_cbranch_execz .LBB30_41
.LBB30_31:                              ;   Parent Loop BB30_14 Depth=1
                                        ;     Parent Loop BB30_17 Depth=2
                                        ; =>    This Inner Loop Header: Depth=3
	v_lshl_add_u32 v28, v33, 2, 0
	ds_read_b32 v34, v28
                                        ; implicit-def: $sgpr46_sgpr47
	s_waitcnt lgkmcnt(0)
	v_cmp_ne_u32_e32 vcc, v34, v9
	s_and_saveexec_b64 s[44:45], vcc
	s_xor_b64 s[44:45], exec, s[44:45]
	s_cbranch_execz .LBB30_39
; %bb.32:                               ;   in Loop: Header=BB30_31 Depth=3
	v_cmp_ne_u32_e32 vcc, s54, v34
                                        ; implicit-def: $sgpr46_sgpr47
	s_and_saveexec_b64 s[48:49], vcc
	s_xor_b64 s[48:49], exec, s[48:49]
; %bb.33:                               ;   in Loop: Header=BB30_31 Depth=3
	v_add_u32_e32 v28, 1, v33
	v_and_b32_e32 v33, 0xff, v28
	s_mov_b64 s[46:47], -1
                                        ; implicit-def: $vgpr28
; %bb.34:                               ;   in Loop: Header=BB30_31 Depth=3
	s_andn2_saveexec_b64 s[48:49], s[48:49]
	s_cbranch_execz .LBB30_38
; %bb.35:                               ;   in Loop: Header=BB30_31 Depth=3
	v_mov_b32_e32 v34, s54
	ds_cmpst_rtn_b32 v34, v28, v34, v9
	s_mov_b64 s[50:51], -1
	s_waitcnt lgkmcnt(0)
	v_cmp_eq_u32_e32 vcc, s54, v34
	s_and_saveexec_b64 s[52:53], vcc
	s_cbranch_execz .LBB30_37
; %bb.36:                               ;   in Loop: Header=BB30_31 Depth=3
	v_mad_u64_u32 v[34:35], s[50:51], v33, 28, v[28:29]
	ds_add_f64 v34, v[26:27] offset:1032
	s_xor_b64 s[50:51], exec, -1
.LBB30_37:                              ;   in Loop: Header=BB30_31 Depth=3
	s_or_b64 exec, exec, s[52:53]
	s_andn2_b64 s[46:47], s[46:47], exec
	s_and_b64 s[50:51], s[50:51], exec
	s_or_b64 s[46:47], s[46:47], s[50:51]
.LBB30_38:                              ;   in Loop: Header=BB30_31 Depth=3
	s_or_b64 exec, exec, s[48:49]
	s_and_b64 s[46:47], s[46:47], exec
                                        ; implicit-def: $vgpr28
.LBB30_39:                              ;   in Loop: Header=BB30_31 Depth=3
	s_andn2_saveexec_b64 s[44:45], s[44:45]
	s_cbranch_execz .LBB30_30
; %bb.40:                               ;   in Loop: Header=BB30_31 Depth=3
	v_mad_u64_u32 v[34:35], s[48:49], v33, 28, v[28:29]
	ds_add_f64 v34, v[26:27] offset:1032
	s_andn2_b64 s[46:47], s[46:47], exec
	s_branch .LBB30_30
.LBB30_41:                              ;   in Loop: Header=BB30_17 Depth=2
	s_or_b64 exec, exec, s[42:43]
	v_mul_f64 v[24:25], v[10:11], v[24:25]
	v_fmac_f64_e32 v[24:25], v[12:13], v[22:23]
	s_mov_b64 s[42:43], 0
	v_mov_b32_e32 v23, v32
	s_branch .LBB30_43
.LBB30_42:                              ;   in Loop: Header=BB30_43 Depth=3
	s_or_b64 exec, exec, s[44:45]
	s_xor_b64 s[44:45], s[46:47], -1
	s_and_b64 s[44:45], exec, s[44:45]
	s_or_b64 s[42:43], s[44:45], s[42:43]
	s_andn2_b64 exec, exec, s[42:43]
	s_cbranch_execz .LBB30_53
.LBB30_43:                              ;   Parent Loop BB30_14 Depth=1
                                        ;     Parent Loop BB30_17 Depth=2
                                        ; =>    This Inner Loop Header: Depth=3
	v_lshl_add_u32 v22, v23, 2, 0
	ds_read_b32 v26, v22
                                        ; implicit-def: $sgpr46_sgpr47
	s_waitcnt lgkmcnt(0)
	v_cmp_ne_u32_e32 vcc, v26, v9
	s_and_saveexec_b64 s[44:45], vcc
	s_xor_b64 s[44:45], exec, s[44:45]
	s_cbranch_execz .LBB30_51
; %bb.44:                               ;   in Loop: Header=BB30_43 Depth=3
	v_cmp_ne_u32_e32 vcc, s54, v26
                                        ; implicit-def: $sgpr46_sgpr47
	s_and_saveexec_b64 s[48:49], vcc
	s_xor_b64 s[48:49], exec, s[48:49]
; %bb.45:                               ;   in Loop: Header=BB30_43 Depth=3
	v_add_u32_e32 v22, 1, v23
	v_and_b32_e32 v23, 0xff, v22
	s_mov_b64 s[46:47], -1
                                        ; implicit-def: $vgpr22
; %bb.46:                               ;   in Loop: Header=BB30_43 Depth=3
	s_andn2_saveexec_b64 s[48:49], s[48:49]
	s_cbranch_execz .LBB30_50
; %bb.47:                               ;   in Loop: Header=BB30_43 Depth=3
	v_mov_b32_e32 v26, s54
	ds_cmpst_rtn_b32 v26, v22, v26, v9
	s_mov_b64 s[50:51], -1
	s_waitcnt lgkmcnt(0)
	v_cmp_eq_u32_e32 vcc, s54, v26
	s_and_saveexec_b64 s[52:53], vcc
	s_cbranch_execz .LBB30_49
; %bb.48:                               ;   in Loop: Header=BB30_43 Depth=3
	v_mad_u64_u32 v[26:27], s[50:51], v23, 28, v[22:23]
	ds_add_f64 v26, v[24:25] offset:1040
	s_xor_b64 s[50:51], exec, -1
.LBB30_49:                              ;   in Loop: Header=BB30_43 Depth=3
	s_or_b64 exec, exec, s[52:53]
	s_andn2_b64 s[46:47], s[46:47], exec
	s_and_b64 s[50:51], s[50:51], exec
	s_or_b64 s[46:47], s[46:47], s[50:51]
.LBB30_50:                              ;   in Loop: Header=BB30_43 Depth=3
	s_or_b64 exec, exec, s[48:49]
	s_and_b64 s[46:47], s[46:47], exec
                                        ; implicit-def: $vgpr22
.LBB30_51:                              ;   in Loop: Header=BB30_43 Depth=3
	s_andn2_saveexec_b64 s[44:45], s[44:45]
	s_cbranch_execz .LBB30_42
; %bb.52:                               ;   in Loop: Header=BB30_43 Depth=3
	v_mad_u64_u32 v[26:27], s[48:49], v23, 28, v[22:23]
	ds_add_f64 v26, v[24:25] offset:1040
	s_andn2_b64 s[46:47], s[46:47], exec
	s_branch .LBB30_42
.LBB30_53:                              ;   in Loop: Header=BB30_17 Depth=2
	s_or_b64 exec, exec, s[42:43]
	v_mul_f64 v[20:21], v[10:11], v[20:21]
	v_fmac_f64_e32 v[20:21], v[12:13], v[18:19]
	s_mov_b64 s[42:43], 0
	s_branch .LBB30_55
.LBB30_54:                              ;   in Loop: Header=BB30_55 Depth=3
	s_or_b64 exec, exec, s[44:45]
	s_xor_b64 s[44:45], s[46:47], -1
	s_and_b64 s[44:45], exec, s[44:45]
	s_or_b64 s[42:43], s[44:45], s[42:43]
	s_andn2_b64 exec, exec, s[42:43]
	s_cbranch_execz .LBB30_16
.LBB30_55:                              ;   Parent Loop BB30_14 Depth=1
                                        ;     Parent Loop BB30_17 Depth=2
                                        ; =>    This Inner Loop Header: Depth=3
	v_lshl_add_u32 v18, v32, 2, 0
	ds_read_b32 v19, v18
                                        ; implicit-def: $sgpr46_sgpr47
	s_waitcnt lgkmcnt(0)
	v_cmp_ne_u32_e32 vcc, v19, v9
	s_and_saveexec_b64 s[44:45], vcc
	s_xor_b64 s[44:45], exec, s[44:45]
	s_cbranch_execz .LBB30_63
; %bb.56:                               ;   in Loop: Header=BB30_55 Depth=3
	v_cmp_ne_u32_e32 vcc, s54, v19
                                        ; implicit-def: $sgpr46_sgpr47
	s_and_saveexec_b64 s[48:49], vcc
	s_xor_b64 s[48:49], exec, s[48:49]
; %bb.57:                               ;   in Loop: Header=BB30_55 Depth=3
	v_add_u32_e32 v18, 1, v32
	v_and_b32_e32 v32, 0xff, v18
	s_mov_b64 s[46:47], -1
                                        ; implicit-def: $vgpr18
; %bb.58:                               ;   in Loop: Header=BB30_55 Depth=3
	s_andn2_saveexec_b64 s[48:49], s[48:49]
	s_cbranch_execz .LBB30_62
; %bb.59:                               ;   in Loop: Header=BB30_55 Depth=3
	v_mov_b32_e32 v19, s54
	ds_cmpst_rtn_b32 v19, v18, v19, v9
	s_mov_b64 s[50:51], -1
	s_waitcnt lgkmcnt(0)
	v_cmp_eq_u32_e32 vcc, s54, v19
	s_and_saveexec_b64 s[52:53], vcc
	s_cbranch_execz .LBB30_61
; %bb.60:                               ;   in Loop: Header=BB30_55 Depth=3
	v_mad_u64_u32 v[18:19], s[50:51], v32, 28, v[18:19]
	ds_add_f64 v18, v[20:21] offset:1048
	s_xor_b64 s[50:51], exec, -1
.LBB30_61:                              ;   in Loop: Header=BB30_55 Depth=3
	s_or_b64 exec, exec, s[52:53]
	s_andn2_b64 s[46:47], s[46:47], exec
	s_and_b64 s[50:51], s[50:51], exec
	s_or_b64 s[46:47], s[46:47], s[50:51]
.LBB30_62:                              ;   in Loop: Header=BB30_55 Depth=3
	s_or_b64 exec, exec, s[48:49]
	s_and_b64 s[46:47], s[46:47], exec
                                        ; implicit-def: $vgpr18
.LBB30_63:                              ;   in Loop: Header=BB30_55 Depth=3
	s_andn2_saveexec_b64 s[44:45], s[44:45]
	s_cbranch_execz .LBB30_54
; %bb.64:                               ;   in Loop: Header=BB30_55 Depth=3
	v_mad_u64_u32 v[18:19], s[48:49], v32, 28, v[18:19]
	ds_add_f64 v18, v[20:21] offset:1048
	s_andn2_b64 s[46:47], s[46:47], exec
	s_branch .LBB30_54
.LBB30_65:
	s_or_b64 exec, exec, s[4:5]
.LBB30_66:
	s_andn2_b64 vcc, exec, s[2:3]
	s_waitcnt lgkmcnt(0)
	s_barrier
	s_cbranch_vccnz .LBB30_119
; %bb.67:
	s_lshl_b64 s[2:3], s[6:7], 2
	s_add_u32 s2, s8, s2
	s_addc_u32 s3, s9, s3
	s_load_dwordx2 s[2:3], s[2:3], 0x0
	v_subrev_u32_e32 v1, s31, v0
	s_waitcnt lgkmcnt(0)
	s_sub_i32 s34, s3, s31
	s_waitcnt vmcnt(0)
	v_add_u32_e32 v4, s2, v1
	v_cmp_gt_i32_e32 vcc, s34, v4
	s_and_saveexec_b64 s[2:3], vcc
	s_cbranch_execz .LBB30_118
; %bb.68:
	s_cmp_eq_u32 s33, 0
	s_cselect_b32 s35, 1, 2
	s_cselect_b32 s36, 2, 1
	s_mov_b64 s[4:5], 0
	v_mov_b32_e32 v1, s13
	v_mov_b32_e32 v15, s11
	s_movk_i32 s11, 0x89
	s_branch .LBB30_70
.LBB30_69:                              ;   in Loop: Header=BB30_70 Depth=1
	s_or_b64 exec, exec, s[8:9]
	v_add_u32_e32 v4, 0x100, v4
	v_cmp_le_i32_e32 vcc, s34, v4
	s_or_b64 s[4:5], vcc, s[4:5]
	s_andn2_b64 exec, exec, s[4:5]
	s_cbranch_execz .LBB30_118
.LBB30_70:                              ; =>This Loop Header: Depth=1
                                        ;     Child Loop BB30_72 Depth 2
                                        ;     Child Loop BB30_84 Depth 2
	;; [unrolled: 1-line block ×4, first 2 shown]
	v_lshlrev_b32_e32 v6, 2, v4
	v_ashrrev_i32_e32 v7, 31, v6
	v_or_b32_e32 v8, s35, v6
	v_or_b32_e32 v10, s36, v6
	v_lshlrev_b64 v[6:7], 3, v[6:7]
	v_add_co_u32_e32 v12, vcc, s12, v6
	v_ashrrev_i32_e32 v9, 31, v8
	v_addc_co_u32_e32 v13, vcc, v1, v7, vcc
	v_lshlrev_b64 v[6:7], 3, v[8:9]
	v_add_co_u32_e32 v18, vcc, s12, v6
	v_ashrrev_i32_e32 v5, 31, v4
	v_addc_co_u32_e32 v19, vcc, v1, v7, vcc
	;; [unrolled: 4-line block ×3, first 2 shown]
	v_lshlrev_b64 v[6:7], 3, v[10:11]
	global_load_dword v5, v[8:9], off
	v_add_co_u32_e32 v20, vcc, s12, v6
	global_load_dwordx2 v[16:17], v[12:13], off
	v_addc_co_u32_e32 v21, vcc, v1, v7, vcc
	global_load_dwordx2 v[8:9], v[20:21], off
	global_load_dwordx2 v[10:11], v[18:19], off
	global_load_dwordx2 v[6:7], v[12:13], off offset:24
	s_mov_b64 s[8:9], 0
	s_waitcnt vmcnt(4)
	v_subrev_u32_e32 v5, s31, v5
	v_mul_lo_u32 v14, v5, s11
	s_waitcnt vmcnt(3)
	v_mul_f64 v[12:13], v[2:3], v[16:17]
	v_and_b32_e32 v16, 0xff, v14
	v_mov_b32_e32 v17, v16
	s_branch .LBB30_72
.LBB30_71:                              ;   in Loop: Header=BB30_72 Depth=2
	s_or_b64 exec, exec, s[16:17]
	s_xor_b64 s[16:17], s[18:19], -1
	s_and_b64 s[16:17], exec, s[16:17]
	s_or_b64 s[8:9], s[16:17], s[8:9]
	s_andn2_b64 exec, exec, s[8:9]
	s_cbranch_execz .LBB30_82
.LBB30_72:                              ;   Parent Loop BB30_70 Depth=1
                                        ; =>  This Inner Loop Header: Depth=2
	v_lshl_add_u32 v14, v17, 2, 0
	ds_read_b32 v18, v14
                                        ; implicit-def: $sgpr18_sgpr19
	s_waitcnt lgkmcnt(0)
	v_cmp_ne_u32_e32 vcc, v18, v5
	s_and_saveexec_b64 s[16:17], vcc
	s_xor_b64 s[16:17], exec, s[16:17]
	s_cbranch_execz .LBB30_80
; %bb.73:                               ;   in Loop: Header=BB30_72 Depth=2
	v_cmp_ne_u32_e32 vcc, s54, v18
                                        ; implicit-def: $sgpr18_sgpr19
	s_and_saveexec_b64 s[20:21], vcc
	s_xor_b64 s[20:21], exec, s[20:21]
; %bb.74:                               ;   in Loop: Header=BB30_72 Depth=2
	v_add_u32_e32 v14, 1, v17
	v_and_b32_e32 v17, 0xff, v14
	s_mov_b64 s[18:19], -1
                                        ; implicit-def: $vgpr14
; %bb.75:                               ;   in Loop: Header=BB30_72 Depth=2
	s_andn2_saveexec_b64 s[20:21], s[20:21]
	s_cbranch_execz .LBB30_79
; %bb.76:                               ;   in Loop: Header=BB30_72 Depth=2
	v_mov_b32_e32 v18, s54
	ds_cmpst_rtn_b32 v18, v14, v18, v5
	s_mov_b64 s[22:23], -1
	s_waitcnt lgkmcnt(0)
	v_cmp_eq_u32_e32 vcc, s54, v18
	s_and_saveexec_b64 s[28:29], vcc
	s_cbranch_execz .LBB30_78
; %bb.77:                               ;   in Loop: Header=BB30_72 Depth=2
	v_mad_u64_u32 v[18:19], s[22:23], v17, 28, v[14:15]
	ds_add_f64 v18, v[12:13] offset:1024
	s_xor_b64 s[22:23], exec, -1
.LBB30_78:                              ;   in Loop: Header=BB30_72 Depth=2
	s_or_b64 exec, exec, s[28:29]
	s_andn2_b64 s[18:19], s[18:19], exec
	s_and_b64 s[22:23], s[22:23], exec
	s_or_b64 s[18:19], s[18:19], s[22:23]
.LBB30_79:                              ;   in Loop: Header=BB30_72 Depth=2
	s_or_b64 exec, exec, s[20:21]
	s_and_b64 s[18:19], s[18:19], exec
                                        ; implicit-def: $vgpr14
.LBB30_80:                              ;   in Loop: Header=BB30_72 Depth=2
	s_andn2_saveexec_b64 s[16:17], s[16:17]
	s_cbranch_execz .LBB30_71
; %bb.81:                               ;   in Loop: Header=BB30_72 Depth=2
	v_mad_u64_u32 v[18:19], s[20:21], v17, 28, v[14:15]
	ds_add_f64 v18, v[12:13] offset:1024
	s_andn2_b64 s[18:19], s[18:19], exec
	s_branch .LBB30_71
.LBB30_82:                              ;   in Loop: Header=BB30_70 Depth=1
	s_or_b64 exec, exec, s[8:9]
	s_waitcnt vmcnt(1)
	v_mul_f64 v[10:11], v[2:3], v[10:11]
	s_mov_b64 s[8:9], 0
	v_mov_b32_e32 v13, v16
	s_branch .LBB30_84
.LBB30_83:                              ;   in Loop: Header=BB30_84 Depth=2
	s_or_b64 exec, exec, s[16:17]
	s_xor_b64 s[16:17], s[18:19], -1
	s_and_b64 s[16:17], exec, s[16:17]
	s_or_b64 s[8:9], s[16:17], s[8:9]
	s_andn2_b64 exec, exec, s[8:9]
	s_cbranch_execz .LBB30_94
.LBB30_84:                              ;   Parent Loop BB30_70 Depth=1
                                        ; =>  This Inner Loop Header: Depth=2
	v_lshl_add_u32 v12, v13, 2, 0
	ds_read_b32 v14, v12
                                        ; implicit-def: $sgpr18_sgpr19
	s_waitcnt lgkmcnt(0)
	v_cmp_ne_u32_e32 vcc, v14, v5
	s_and_saveexec_b64 s[16:17], vcc
	s_xor_b64 s[16:17], exec, s[16:17]
	s_cbranch_execz .LBB30_92
; %bb.85:                               ;   in Loop: Header=BB30_84 Depth=2
	v_cmp_ne_u32_e32 vcc, s54, v14
                                        ; implicit-def: $sgpr18_sgpr19
	s_and_saveexec_b64 s[20:21], vcc
	s_xor_b64 s[20:21], exec, s[20:21]
; %bb.86:                               ;   in Loop: Header=BB30_84 Depth=2
	v_add_u32_e32 v12, 1, v13
	v_and_b32_e32 v13, 0xff, v12
	s_mov_b64 s[18:19], -1
                                        ; implicit-def: $vgpr12
; %bb.87:                               ;   in Loop: Header=BB30_84 Depth=2
	s_andn2_saveexec_b64 s[20:21], s[20:21]
	s_cbranch_execz .LBB30_91
; %bb.88:                               ;   in Loop: Header=BB30_84 Depth=2
	v_mov_b32_e32 v14, s54
	ds_cmpst_rtn_b32 v14, v12, v14, v5
	s_mov_b64 s[22:23], -1
	s_waitcnt lgkmcnt(0)
	v_cmp_eq_u32_e32 vcc, s54, v14
	s_and_saveexec_b64 s[28:29], vcc
	s_cbranch_execz .LBB30_90
; %bb.89:                               ;   in Loop: Header=BB30_84 Depth=2
	v_mad_u64_u32 v[18:19], s[22:23], v13, 28, v[12:13]
	ds_add_f64 v18, v[10:11] offset:1032
	s_xor_b64 s[22:23], exec, -1
.LBB30_90:                              ;   in Loop: Header=BB30_84 Depth=2
	s_or_b64 exec, exec, s[28:29]
	s_andn2_b64 s[18:19], s[18:19], exec
	s_and_b64 s[22:23], s[22:23], exec
	s_or_b64 s[18:19], s[18:19], s[22:23]
.LBB30_91:                              ;   in Loop: Header=BB30_84 Depth=2
	s_or_b64 exec, exec, s[20:21]
	s_and_b64 s[18:19], s[18:19], exec
                                        ; implicit-def: $vgpr12
.LBB30_92:                              ;   in Loop: Header=BB30_84 Depth=2
	s_andn2_saveexec_b64 s[16:17], s[16:17]
	s_cbranch_execz .LBB30_83
; %bb.93:                               ;   in Loop: Header=BB30_84 Depth=2
	v_mad_u64_u32 v[18:19], s[20:21], v13, 28, v[12:13]
	ds_add_f64 v18, v[10:11] offset:1032
	s_andn2_b64 s[18:19], s[18:19], exec
	s_branch .LBB30_83
.LBB30_94:                              ;   in Loop: Header=BB30_70 Depth=1
	s_or_b64 exec, exec, s[8:9]
	v_mul_f64 v[8:9], v[2:3], v[8:9]
	s_mov_b64 s[8:9], 0
	v_mov_b32_e32 v11, v16
	s_branch .LBB30_96
.LBB30_95:                              ;   in Loop: Header=BB30_96 Depth=2
	s_or_b64 exec, exec, s[16:17]
	s_xor_b64 s[16:17], s[18:19], -1
	s_and_b64 s[16:17], exec, s[16:17]
	s_or_b64 s[8:9], s[16:17], s[8:9]
	s_andn2_b64 exec, exec, s[8:9]
	s_cbranch_execz .LBB30_106
.LBB30_96:                              ;   Parent Loop BB30_70 Depth=1
                                        ; =>  This Inner Loop Header: Depth=2
	v_lshl_add_u32 v10, v11, 2, 0
	ds_read_b32 v12, v10
                                        ; implicit-def: $sgpr18_sgpr19
	s_waitcnt lgkmcnt(0)
	v_cmp_ne_u32_e32 vcc, v12, v5
	s_and_saveexec_b64 s[16:17], vcc
	s_xor_b64 s[16:17], exec, s[16:17]
	s_cbranch_execz .LBB30_104
; %bb.97:                               ;   in Loop: Header=BB30_96 Depth=2
	v_cmp_ne_u32_e32 vcc, s54, v12
                                        ; implicit-def: $sgpr18_sgpr19
	s_and_saveexec_b64 s[20:21], vcc
	s_xor_b64 s[20:21], exec, s[20:21]
; %bb.98:                               ;   in Loop: Header=BB30_96 Depth=2
	v_add_u32_e32 v10, 1, v11
	v_and_b32_e32 v11, 0xff, v10
	s_mov_b64 s[18:19], -1
                                        ; implicit-def: $vgpr10
; %bb.99:                               ;   in Loop: Header=BB30_96 Depth=2
	s_andn2_saveexec_b64 s[20:21], s[20:21]
	s_cbranch_execz .LBB30_103
; %bb.100:                              ;   in Loop: Header=BB30_96 Depth=2
	v_mov_b32_e32 v12, s54
	ds_cmpst_rtn_b32 v12, v10, v12, v5
	s_mov_b64 s[22:23], -1
	s_waitcnt lgkmcnt(0)
	v_cmp_eq_u32_e32 vcc, s54, v12
	s_and_saveexec_b64 s[28:29], vcc
	s_cbranch_execz .LBB30_102
; %bb.101:                              ;   in Loop: Header=BB30_96 Depth=2
	v_mad_u64_u32 v[12:13], s[22:23], v11, 28, v[10:11]
	ds_add_f64 v12, v[8:9] offset:1040
	s_xor_b64 s[22:23], exec, -1
.LBB30_102:                             ;   in Loop: Header=BB30_96 Depth=2
	s_or_b64 exec, exec, s[28:29]
	s_andn2_b64 s[18:19], s[18:19], exec
	s_and_b64 s[22:23], s[22:23], exec
	s_or_b64 s[18:19], s[18:19], s[22:23]
.LBB30_103:                             ;   in Loop: Header=BB30_96 Depth=2
	s_or_b64 exec, exec, s[20:21]
	s_and_b64 s[18:19], s[18:19], exec
                                        ; implicit-def: $vgpr10
.LBB30_104:                             ;   in Loop: Header=BB30_96 Depth=2
	s_andn2_saveexec_b64 s[16:17], s[16:17]
	s_cbranch_execz .LBB30_95
; %bb.105:                              ;   in Loop: Header=BB30_96 Depth=2
	v_mad_u64_u32 v[12:13], s[20:21], v11, 28, v[10:11]
	ds_add_f64 v12, v[8:9] offset:1040
	s_andn2_b64 s[18:19], s[18:19], exec
	s_branch .LBB30_95
.LBB30_106:                             ;   in Loop: Header=BB30_70 Depth=1
	s_or_b64 exec, exec, s[8:9]
	s_waitcnt vmcnt(0)
	v_mul_f64 v[6:7], v[2:3], v[6:7]
	s_mov_b64 s[8:9], 0
	s_branch .LBB30_108
.LBB30_107:                             ;   in Loop: Header=BB30_108 Depth=2
	s_or_b64 exec, exec, s[16:17]
	s_xor_b64 s[16:17], s[18:19], -1
	s_and_b64 s[16:17], exec, s[16:17]
	s_or_b64 s[8:9], s[16:17], s[8:9]
	s_andn2_b64 exec, exec, s[8:9]
	s_cbranch_execz .LBB30_69
.LBB30_108:                             ;   Parent Loop BB30_70 Depth=1
                                        ; =>  This Inner Loop Header: Depth=2
	v_lshl_add_u32 v8, v16, 2, 0
	ds_read_b32 v9, v8
                                        ; implicit-def: $sgpr18_sgpr19
	s_waitcnt lgkmcnt(0)
	v_cmp_ne_u32_e32 vcc, v9, v5
	s_and_saveexec_b64 s[16:17], vcc
	s_xor_b64 s[16:17], exec, s[16:17]
	s_cbranch_execz .LBB30_116
; %bb.109:                              ;   in Loop: Header=BB30_108 Depth=2
	v_cmp_ne_u32_e32 vcc, s54, v9
                                        ; implicit-def: $sgpr18_sgpr19
	s_and_saveexec_b64 s[20:21], vcc
	s_xor_b64 s[20:21], exec, s[20:21]
; %bb.110:                              ;   in Loop: Header=BB30_108 Depth=2
	v_add_u32_e32 v8, 1, v16
	v_and_b32_e32 v16, 0xff, v8
	s_mov_b64 s[18:19], -1
                                        ; implicit-def: $vgpr8
; %bb.111:                              ;   in Loop: Header=BB30_108 Depth=2
	s_andn2_saveexec_b64 s[20:21], s[20:21]
	s_cbranch_execz .LBB30_115
; %bb.112:                              ;   in Loop: Header=BB30_108 Depth=2
	v_mov_b32_e32 v9, s54
	ds_cmpst_rtn_b32 v9, v8, v9, v5
	s_mov_b64 s[22:23], -1
	s_waitcnt lgkmcnt(0)
	v_cmp_eq_u32_e32 vcc, s54, v9
	s_and_saveexec_b64 s[28:29], vcc
	s_cbranch_execz .LBB30_114
; %bb.113:                              ;   in Loop: Header=BB30_108 Depth=2
	v_mad_u64_u32 v[8:9], s[22:23], v16, 28, v[8:9]
	ds_add_f64 v8, v[6:7] offset:1048
	s_xor_b64 s[22:23], exec, -1
.LBB30_114:                             ;   in Loop: Header=BB30_108 Depth=2
	s_or_b64 exec, exec, s[28:29]
	s_andn2_b64 s[18:19], s[18:19], exec
	s_and_b64 s[22:23], s[22:23], exec
	s_or_b64 s[18:19], s[18:19], s[22:23]
.LBB30_115:                             ;   in Loop: Header=BB30_108 Depth=2
	s_or_b64 exec, exec, s[20:21]
	s_and_b64 s[18:19], s[18:19], exec
                                        ; implicit-def: $vgpr8
.LBB30_116:                             ;   in Loop: Header=BB30_108 Depth=2
	s_andn2_saveexec_b64 s[16:17], s[16:17]
	s_cbranch_execz .LBB30_107
; %bb.117:                              ;   in Loop: Header=BB30_108 Depth=2
	v_mad_u64_u32 v[8:9], s[20:21], v16, 28, v[8:9]
	ds_add_f64 v8, v[6:7] offset:1048
	s_andn2_b64 s[18:19], s[18:19], exec
	s_branch .LBB30_107
.LBB30_118:
	s_or_b64 exec, exec, s[2:3]
.LBB30_119:
	s_waitcnt lgkmcnt(0)
	s_barrier
	s_and_saveexec_b64 s[2:3], s[0:1]
	s_cbranch_execz .LBB30_124
; %bb.120:
	s_waitcnt vmcnt(0)
	ds_read_b32 v2, v29
	s_mov_b32 s2, 0
	s_waitcnt lgkmcnt(0)
	v_cmp_gt_i32_e32 vcc, s54, v2
	s_and_b64 exec, exec, vcc
	s_cbranch_execz .LBB30_124
; %bb.121:
	s_lshl_b64 s[0:1], s[6:7], 2
	s_add_u32 s0, s14, s0
	s_addc_u32 s1, s15, s1
	s_load_dword s0, s[0:1], 0x0
	v_mov_b32_e32 v1, v2
	v_mov_b32_e32 v3, 0
	s_waitcnt lgkmcnt(0)
	s_sub_i32 s0, s0, s30
	v_mov_b32_e32 v4, s0
.LBB30_122:                             ; =>This Inner Loop Header: Depth=1
	s_add_i32 s0, s2, 0
	v_mov_b32_e32 v5, s0
	ds_read2_b32 v[6:7], v5 offset1:1
	ds_read2_b32 v[8:9], v5 offset0:2 offset1:3
	ds_read2_b32 v[10:11], v5 offset0:4 offset1:5
	;; [unrolled: 1-line block ×15, first 2 shown]
	s_waitcnt lgkmcnt(14)
	v_cmp_gt_i32_e32 vcc, v1, v7
	s_waitcnt lgkmcnt(13)
	v_cmp_gt_i32_e64 s[0:1], v2, v10
	v_cndmask_b32_e64 v5, 0, 1, vcc
	v_cmp_gt_i32_e32 vcc, v2, v6
	v_cndmask_b32_e64 v7, 0, 1, s[0:1]
	v_cmp_gt_i32_e64 s[0:1], v1, v11
	v_cndmask_b32_e64 v6, 0, 1, vcc
	v_cmp_gt_i32_e32 vcc, v1, v9
	v_cndmask_b32_e64 v9, 0, 1, s[0:1]
	s_waitcnt lgkmcnt(11)
	v_cmp_gt_i32_e64 s[0:1], v1, v15
	v_cndmask_b32_e64 v10, 0, 1, s[0:1]
	v_cmp_gt_i32_e64 s[0:1], v2, v14
	v_cndmask_b32_e64 v11, 0, 1, s[0:1]
	s_waitcnt lgkmcnt(9)
	v_cmp_gt_i32_e64 s[0:1], v2, v18
	v_cndmask_b32_e64 v14, 0, 1, s[0:1]
	v_cmp_gt_i32_e64 s[0:1], v1, v19
	;; [unrolled: 5-line block ×6, first 2 shown]
	v_cndmask_b32_e64 v32, 0, 1, s[0:1]
	v_cmp_gt_i32_e64 s[0:1], v2, v8
	v_addc_co_u32_e64 v4, s[0:1], v4, v6, s[0:1]
	v_addc_co_u32_e32 v3, vcc, v3, v5, vcc
	v_cmp_gt_i32_e32 vcc, v2, v12
	v_cmp_gt_i32_e64 s[0:1], v1, v13
	v_addc_co_u32_e64 v3, s[0:1], v3, v9, s[0:1]
	v_addc_co_u32_e32 v4, vcc, v4, v7, vcc
	v_cmp_gt_i32_e32 vcc, v1, v17
	;; [unrolled: 4-line block ×6, first 2 shown]
	v_cmp_gt_i32_e64 s[0:1], v2, v34
	v_addc_co_u32_e64 v4, s[0:1], v4, v27, s[0:1]
	v_addc_co_u32_e32 v3, vcc, v3, v26, vcc
	s_addk_i32 s2, 0x80
	s_waitcnt lgkmcnt(0)
	v_cmp_gt_i32_e32 vcc, v2, v38
	v_cmp_gt_i32_e64 s[0:1], v1, v39
	s_cmpk_lg_i32 s2, 0x400
	v_addc_co_u32_e64 v3, s[0:1], v3, v32, s[0:1]
	v_addc_co_u32_e32 v4, vcc, v4, v28, vcc
	s_cbranch_scc1 .LBB30_122
; %bb.123:
	v_add_u32_e32 v4, v4, v3
	v_ashrrev_i32_e32 v5, 31, v4
	v_add_u32_e32 v1, s30, v2
	v_lshlrev_b64 v[2:3], 2, v[4:5]
	s_add_i32 s0, 0, 0x400
	v_mov_b32_e32 v5, s25
	v_add_co_u32_e32 v2, vcc, s24, v2
	s_cmp_eq_u32 s33, 0
	v_addc_co_u32_e32 v3, vcc, v5, v3, vcc
	v_lshlrev_b32_e32 v4, 2, v4
	global_store_dword v[2:3], v1, off
	v_lshlrev_b32_e32 v1, 2, v0
	v_mad_u32_u24 v2, v0, 28, v29
	v_ashrrev_i32_e32 v5, 31, v4
	v_lshl_add_u32 v0, v0, 5, s0
	s_cselect_b32 s0, 1, 2
	s_cselect_b32 s1, 2, 1
	v_lshlrev_b64 v[10:11], 3, v[4:5]
	v_or_b32_e32 v4, s0, v1
	v_or_b32_e32 v1, s1, v1
	v_lshl_add_u32 v4, v4, 3, 0
	v_lshl_add_u32 v1, v1, 3, 0
	ds_read_b64 v[2:3], v2 offset:1024
	ds_read_b64 v[6:7], v1 offset:1024
	;; [unrolled: 1-line block ×4, first 2 shown]
	v_mov_b32_e32 v12, s27
	v_add_co_u32_e32 v0, vcc, s26, v10
	v_addc_co_u32_e32 v1, vcc, v12, v11, vcc
	s_waitcnt lgkmcnt(1)
	global_store_dwordx4 v[0:1], v[2:5], off
	s_waitcnt lgkmcnt(0)
	global_store_dwordx4 v[0:1], v[6:9], off offset:16
.LBB30_124:
	s_endpgm
	.section	.rodata,"a",@progbits
	.p2align	6, 0x0
	.amdhsa_kernel _ZN9rocsparseL30bsrgemm_fill_block_per_row_2x2ILj256ELj16ELj256ELj137EiidEEv20rocsparse_direction_T4_S2_PKS2_S4_NS_24const_host_device_scalarIT5_EEPKT3_S4_PKS6_SA_S4_SC_S7_SA_S4_SC_SA_PS2_PS6_21rocsparse_index_base_SF_SF_SF_bbb
		.amdhsa_group_segment_fixed_size 0
		.amdhsa_private_segment_fixed_size 0
		.amdhsa_kernarg_size 164
		.amdhsa_user_sgpr_count 6
		.amdhsa_user_sgpr_private_segment_buffer 1
		.amdhsa_user_sgpr_dispatch_ptr 0
		.amdhsa_user_sgpr_queue_ptr 0
		.amdhsa_user_sgpr_kernarg_segment_ptr 1
		.amdhsa_user_sgpr_dispatch_id 0
		.amdhsa_user_sgpr_flat_scratch_init 0
		.amdhsa_user_sgpr_kernarg_preload_length 0
		.amdhsa_user_sgpr_kernarg_preload_offset 0
		.amdhsa_user_sgpr_private_segment_size 0
		.amdhsa_uses_dynamic_stack 0
		.amdhsa_system_sgpr_private_segment_wavefront_offset 0
		.amdhsa_system_sgpr_workgroup_id_x 1
		.amdhsa_system_sgpr_workgroup_id_y 0
		.amdhsa_system_sgpr_workgroup_id_z 0
		.amdhsa_system_sgpr_workgroup_info 0
		.amdhsa_system_vgpr_workitem_id 0
		.amdhsa_next_free_vgpr 40
		.amdhsa_next_free_sgpr 58
		.amdhsa_accum_offset 40
		.amdhsa_reserve_vcc 1
		.amdhsa_reserve_flat_scratch 0
		.amdhsa_float_round_mode_32 0
		.amdhsa_float_round_mode_16_64 0
		.amdhsa_float_denorm_mode_32 3
		.amdhsa_float_denorm_mode_16_64 3
		.amdhsa_dx10_clamp 1
		.amdhsa_ieee_mode 1
		.amdhsa_fp16_overflow 0
		.amdhsa_tg_split 0
		.amdhsa_exception_fp_ieee_invalid_op 0
		.amdhsa_exception_fp_denorm_src 0
		.amdhsa_exception_fp_ieee_div_zero 0
		.amdhsa_exception_fp_ieee_overflow 0
		.amdhsa_exception_fp_ieee_underflow 0
		.amdhsa_exception_fp_ieee_inexact 0
		.amdhsa_exception_int_div_zero 0
	.end_amdhsa_kernel
	.section	.text._ZN9rocsparseL30bsrgemm_fill_block_per_row_2x2ILj256ELj16ELj256ELj137EiidEEv20rocsparse_direction_T4_S2_PKS2_S4_NS_24const_host_device_scalarIT5_EEPKT3_S4_PKS6_SA_S4_SC_S7_SA_S4_SC_SA_PS2_PS6_21rocsparse_index_base_SF_SF_SF_bbb,"axG",@progbits,_ZN9rocsparseL30bsrgemm_fill_block_per_row_2x2ILj256ELj16ELj256ELj137EiidEEv20rocsparse_direction_T4_S2_PKS2_S4_NS_24const_host_device_scalarIT5_EEPKT3_S4_PKS6_SA_S4_SC_S7_SA_S4_SC_SA_PS2_PS6_21rocsparse_index_base_SF_SF_SF_bbb,comdat
.Lfunc_end30:
	.size	_ZN9rocsparseL30bsrgemm_fill_block_per_row_2x2ILj256ELj16ELj256ELj137EiidEEv20rocsparse_direction_T4_S2_PKS2_S4_NS_24const_host_device_scalarIT5_EEPKT3_S4_PKS6_SA_S4_SC_S7_SA_S4_SC_SA_PS2_PS6_21rocsparse_index_base_SF_SF_SF_bbb, .Lfunc_end30-_ZN9rocsparseL30bsrgemm_fill_block_per_row_2x2ILj256ELj16ELj256ELj137EiidEEv20rocsparse_direction_T4_S2_PKS2_S4_NS_24const_host_device_scalarIT5_EEPKT3_S4_PKS6_SA_S4_SC_S7_SA_S4_SC_SA_PS2_PS6_21rocsparse_index_base_SF_SF_SF_bbb
                                        ; -- End function
	.section	.AMDGPU.csdata,"",@progbits
; Kernel info:
; codeLenInByte = 4032
; NumSgprs: 62
; NumVgprs: 40
; NumAgprs: 0
; TotalNumVgprs: 40
; ScratchSize: 0
; MemoryBound: 0
; FloatMode: 240
; IeeeMode: 1
; LDSByteSize: 0 bytes/workgroup (compile time only)
; SGPRBlocks: 7
; VGPRBlocks: 4
; NumSGPRsForWavesPerEU: 62
; NumVGPRsForWavesPerEU: 40
; AccumOffset: 40
; Occupancy: 8
; WaveLimiterHint : 1
; COMPUTE_PGM_RSRC2:SCRATCH_EN: 0
; COMPUTE_PGM_RSRC2:USER_SGPR: 6
; COMPUTE_PGM_RSRC2:TRAP_HANDLER: 0
; COMPUTE_PGM_RSRC2:TGID_X_EN: 1
; COMPUTE_PGM_RSRC2:TGID_Y_EN: 0
; COMPUTE_PGM_RSRC2:TGID_Z_EN: 0
; COMPUTE_PGM_RSRC2:TIDIG_COMP_CNT: 0
; COMPUTE_PGM_RSRC3_GFX90A:ACCUM_OFFSET: 9
; COMPUTE_PGM_RSRC3_GFX90A:TG_SPLIT: 0
	.section	.text._ZN9rocsparseL30bsrgemm_fill_block_per_row_2x2ILj256ELj16ELj512ELj137EiidEEv20rocsparse_direction_T4_S2_PKS2_S4_NS_24const_host_device_scalarIT5_EEPKT3_S4_PKS6_SA_S4_SC_S7_SA_S4_SC_SA_PS2_PS6_21rocsparse_index_base_SF_SF_SF_bbb,"axG",@progbits,_ZN9rocsparseL30bsrgemm_fill_block_per_row_2x2ILj256ELj16ELj512ELj137EiidEEv20rocsparse_direction_T4_S2_PKS2_S4_NS_24const_host_device_scalarIT5_EEPKT3_S4_PKS6_SA_S4_SC_S7_SA_S4_SC_SA_PS2_PS6_21rocsparse_index_base_SF_SF_SF_bbb,comdat
	.globl	_ZN9rocsparseL30bsrgemm_fill_block_per_row_2x2ILj256ELj16ELj512ELj137EiidEEv20rocsparse_direction_T4_S2_PKS2_S4_NS_24const_host_device_scalarIT5_EEPKT3_S4_PKS6_SA_S4_SC_S7_SA_S4_SC_SA_PS2_PS6_21rocsparse_index_base_SF_SF_SF_bbb ; -- Begin function _ZN9rocsparseL30bsrgemm_fill_block_per_row_2x2ILj256ELj16ELj512ELj137EiidEEv20rocsparse_direction_T4_S2_PKS2_S4_NS_24const_host_device_scalarIT5_EEPKT3_S4_PKS6_SA_S4_SC_S7_SA_S4_SC_SA_PS2_PS6_21rocsparse_index_base_SF_SF_SF_bbb
	.p2align	8
	.type	_ZN9rocsparseL30bsrgemm_fill_block_per_row_2x2ILj256ELj16ELj512ELj137EiidEEv20rocsparse_direction_T4_S2_PKS2_S4_NS_24const_host_device_scalarIT5_EEPKT3_S4_PKS6_SA_S4_SC_S7_SA_S4_SC_SA_PS2_PS6_21rocsparse_index_base_SF_SF_SF_bbb,@function
_ZN9rocsparseL30bsrgemm_fill_block_per_row_2x2ILj256ELj16ELj512ELj137EiidEEv20rocsparse_direction_T4_S2_PKS2_S4_NS_24const_host_device_scalarIT5_EEPKT3_S4_PKS6_SA_S4_SC_S7_SA_S4_SC_SA_PS2_PS6_21rocsparse_index_base_SF_SF_SF_bbb: ; @_ZN9rocsparseL30bsrgemm_fill_block_per_row_2x2ILj256ELj16ELj512ELj137EiidEEv20rocsparse_direction_T4_S2_PKS2_S4_NS_24const_host_device_scalarIT5_EEPKT3_S4_PKS6_SA_S4_SC_S7_SA_S4_SC_SA_PS2_PS6_21rocsparse_index_base_SF_SF_SF_bbb
; %bb.0:
	s_load_dword s7, s[4:5], 0xa0
	s_load_dwordx2 s[2:3], s[4:5], 0x20
	s_load_dwordx2 s[0:1], s[4:5], 0x58
	s_waitcnt lgkmcnt(0)
	s_and_b32 s10, 1, s7
	s_bitcmp1_b32 s7, 16
	s_cselect_b64 s[8:9], -1, 0
	s_cmp_eq_u32 s10, 1
	s_cselect_b64 s[34:35], -1, 0
	s_and_b64 s[10:11], s[34:35], exec
	s_cselect_b32 s11, s3, 0
	s_cselect_b32 s10, s2, 0
	s_xor_b64 s[12:13], s[34:35], -1
	s_or_b64 s[12:13], s[12:13], s[8:9]
	s_and_b64 vcc, exec, s[12:13]
	v_pk_mov_b32 v[4:5], s[10:11], s[10:11] op_sel:[0,1]
	s_cbranch_vccnz .LBB31_2
; %bb.1:
	v_pk_mov_b32 v[2:3], s[2:3], s[2:3] op_sel:[0,1]
	flat_load_dwordx2 v[4:5], v[2:3]
.LBB31_2:
	s_bitcmp1_b32 s7, 8
	s_load_dwordx4 s[24:27], s[4:5], 0x90
	s_cselect_b64 s[2:3], -1, 0
	s_and_b64 s[10:11], s[2:3], exec
	s_cselect_b32 s11, s1, 0
	s_cselect_b32 s10, s0, 0
	s_xor_b64 s[12:13], s[2:3], -1
	s_or_b64 s[8:9], s[12:13], s[8:9]
	s_and_b64 vcc, exec, s[8:9]
	v_pk_mov_b32 v[2:3], s[10:11], s[10:11] op_sel:[0,1]
	s_cbranch_vccnz .LBB31_4
; %bb.3:
	v_pk_mov_b32 v[2:3], s[0:1], s[0:1] op_sel:[0,1]
	flat_load_dwordx2 v[2:3], v[2:3]
.LBB31_4:
	s_load_dwordx4 s[28:31], s[4:5], 0x80
	s_load_dwordx8 s[8:15], s[4:5], 0x60
	s_load_dwordx4 s[36:39], s[4:5], 0x48
	s_load_dwordx8 s[16:23], s[4:5], 0x28
	s_load_dwordx4 s[40:43], s[4:5], 0x10
	s_load_dword s33, s[4:5], 0x8
	s_movk_i32 s0, 0x200
	v_cmp_gt_u32_e64 s[0:1], s0, v0
	s_and_saveexec_b64 s[44:45], s[0:1]
	s_cbranch_execz .LBB31_11
; %bb.5:
	s_mov_b32 s7, 0
	v_lshl_add_u32 v1, v0, 2, 0
	s_mov_b64 s[46:47], 0
	s_branch .LBB31_7
.LBB31_6:                               ;   in Loop: Header=BB31_7 Depth=1
	s_or_b64 exec, exec, s[50:51]
	s_add_i32 s7, s7, 2
	v_cmp_eq_u32_e64 s[48:49], 2, s7
	s_or_b64 s[46:47], s[48:49], s[46:47]
	v_add_u32_e32 v1, 0x800, v1
	s_andn2_b64 exec, exec, s[46:47]
	s_cbranch_execz .LBB31_11
.LBB31_7:                               ; =>This Inner Loop Header: Depth=1
	s_or_b32 s48, s7, 1
	v_cmp_le_u32_e64 s[48:49], s48, 1
	v_cmp_le_u32_e64 s[52:53], s7, 1
	s_and_saveexec_b64 s[50:51], s[52:53]
	s_cbranch_execz .LBB31_9
; %bb.8:                                ;   in Loop: Header=BB31_7 Depth=1
	s_waitcnt lgkmcnt(0)
	v_mov_b32_e32 v6, s33
	ds_write_b32 v1, v6
.LBB31_9:                               ;   in Loop: Header=BB31_7 Depth=1
	s_or_b64 exec, exec, s[50:51]
	s_and_saveexec_b64 s[50:51], s[48:49]
	s_cbranch_execz .LBB31_6
; %bb.10:                               ;   in Loop: Header=BB31_7 Depth=1
	s_waitcnt lgkmcnt(0)
	v_mov_b32_e32 v6, s33
	ds_write_b32 v1, v6 offset:1024
	s_branch .LBB31_6
.LBB31_11:
	s_or_b64 exec, exec, s[44:45]
	v_mov_b32_e32 v6, 0
	v_lshl_add_u32 v1, v0, 3, 0
	v_add_u32_e32 v1, 0x800, v1
	v_or_b32_e32 v8, 0xffffff00, v0
	s_mov_b64 s[44:45], 0
	v_mov_b32_e32 v7, v6
	s_movk_i32 s7, 0x6ff
.LBB31_12:                              ; =>This Inner Loop Header: Depth=1
	v_add_u32_e32 v8, 0x100, v8
	v_cmp_lt_u32_e32 vcc, s7, v8
	ds_write_b64 v1, v[6:7]
	s_or_b64 s[44:45], vcc, s[44:45]
	v_add_u32_e32 v1, 0x800, v1
	s_andn2_b64 exec, exec, s[44:45]
	s_cbranch_execnz .LBB31_12
; %bb.13:
	s_or_b64 exec, exec, s[44:45]
	s_waitcnt lgkmcnt(0)
	s_cmp_lg_u64 s[42:43], 0
	s_barrier
	s_cbranch_scc0 .LBB31_15
; %bb.14:
	s_load_dword s7, s[40:41], 0x0
	s_waitcnt lgkmcnt(0)
	s_add_i32 s6, s7, s6
	s_mov_b32 s7, 0
	s_lshl_b64 s[6:7], s[6:7], 2
	s_add_u32 s6, s42, s6
	s_addc_u32 s7, s43, s7
	s_load_dword s6, s[6:7], 0x0
.LBB31_15:
	s_nop 0
	s_load_dword s54, s[4:5], 0x0
	s_andn2_b64 vcc, exec, s[34:35]
	s_waitcnt lgkmcnt(0)
	s_ashr_i32 s7, s6, 31
	s_cbranch_vccnz .LBB31_71
; %bb.16:
	s_lshl_b64 s[4:5], s[6:7], 2
	s_add_u32 s4, s16, s4
	s_addc_u32 s5, s17, s5
	s_load_dwordx2 s[4:5], s[4:5], 0x0
	v_lshrrev_b32_e32 v1, 4, v0
	v_subrev_u32_e32 v1, s24, v1
	s_waitcnt lgkmcnt(0)
	s_sub_i32 s55, s5, s24
	v_add_u32_e32 v6, s4, v1
	v_cmp_gt_i32_e32 vcc, s55, v6
	s_and_saveexec_b64 s[4:5], vcc
	s_cbranch_execz .LBB31_70
; %bb.17:
	v_and_b32_e32 v1, 15, v0
	s_cmp_eq_u32 s54, 0
	v_subrev_u32_e32 v1, s25, v1
	s_cselect_b32 s56, 1, 2
	s_cselect_b32 s57, 2, 1
	s_mov_b64 s[16:17], 0
	v_mov_b32_e32 v29, s19
	v_mov_b32_e32 v30, s23
	s_movk_i32 s19, 0x89
	s_branch .LBB31_19
.LBB31_18:                              ;   in Loop: Header=BB31_19 Depth=1
	s_or_b64 exec, exec, s[34:35]
	v_add_u32_e32 v6, 16, v6
	v_cmp_le_i32_e32 vcc, s55, v6
	s_or_b64 s[16:17], vcc, s[16:17]
	s_andn2_b64 exec, exec, s[16:17]
	s_cbranch_execz .LBB31_70
.LBB31_19:                              ; =>This Loop Header: Depth=1
                                        ;     Child Loop BB31_22 Depth 2
                                        ;       Child Loop BB31_24 Depth 3
                                        ;       Child Loop BB31_36 Depth 3
	;; [unrolled: 1-line block ×4, first 2 shown]
	v_ashrrev_i32_e32 v7, 31, v6
	v_lshlrev_b64 v[8:9], 2, v[6:7]
	v_add_co_u32_e32 v8, vcc, s18, v8
	v_addc_co_u32_e32 v9, vcc, v29, v9, vcc
	global_load_dword v7, v[8:9], off
	s_waitcnt vmcnt(0)
	v_subrev_u32_e32 v8, s24, v7
	v_ashrrev_i32_e32 v9, 31, v8
	v_lshlrev_b64 v[8:9], 2, v[8:9]
	v_add_co_u32_e32 v8, vcc, s22, v8
	v_addc_co_u32_e32 v9, vcc, v30, v9, vcc
	global_load_dwordx2 v[8:9], v[8:9], off
	s_waitcnt vmcnt(0)
	v_subrev_u32_e32 v7, s25, v9
	v_add_u32_e32 v8, v8, v1
	v_cmp_lt_i32_e32 vcc, v8, v7
	s_and_saveexec_b64 s[34:35], vcc
	s_cbranch_execz .LBB31_18
; %bb.20:                               ;   in Loop: Header=BB31_19 Depth=1
	v_lshlrev_b32_e32 v10, 2, v6
	v_ashrrev_i32_e32 v11, 31, v10
	v_or_b32_e32 v12, s56, v10
	v_or_b32_e32 v14, s57, v10
	v_lshlrev_b64 v[10:11], 3, v[10:11]
	v_mov_b32_e32 v9, s21
	v_add_co_u32_e32 v10, vcc, s20, v10
	v_ashrrev_i32_e32 v15, 31, v14
	v_addc_co_u32_e32 v11, vcc, v9, v11, vcc
	v_lshlrev_b64 v[14:15], 3, v[14:15]
	v_add_co_u32_e32 v14, vcc, s20, v14
	v_ashrrev_i32_e32 v13, 31, v12
	v_addc_co_u32_e32 v15, vcc, v9, v15, vcc
	v_lshlrev_b64 v[12:13], 3, v[12:13]
	v_add_co_u32_e32 v12, vcc, s20, v12
	v_addc_co_u32_e32 v13, vcc, v9, v13, vcc
	global_load_dwordx2 v[16:17], v[10:11], off offset:24
	global_load_dwordx2 v[18:19], v[14:15], off
	global_load_dwordx2 v[20:21], v[12:13], off
	global_load_dwordx2 v[22:23], v[10:11], off
	s_mov_b64 s[40:41], 0
	s_waitcnt vmcnt(3)
	v_mul_f64 v[10:11], v[4:5], v[16:17]
	s_waitcnt vmcnt(2)
	v_mul_f64 v[12:13], v[4:5], v[18:19]
	;; [unrolled: 2-line block ×4, first 2 shown]
	s_branch .LBB31_22
.LBB31_21:                              ;   in Loop: Header=BB31_22 Depth=2
	s_or_b64 exec, exec, s[42:43]
	v_add_u32_e32 v8, 16, v8
	v_cmp_ge_i32_e32 vcc, v8, v7
	s_or_b64 s[40:41], vcc, s[40:41]
	s_andn2_b64 exec, exec, s[40:41]
	s_cbranch_execz .LBB31_18
.LBB31_22:                              ;   Parent Loop BB31_19 Depth=1
                                        ; =>  This Loop Header: Depth=2
                                        ;       Child Loop BB31_24 Depth 3
                                        ;       Child Loop BB31_36 Depth 3
	;; [unrolled: 1-line block ×4, first 2 shown]
	v_ashrrev_i32_e32 v9, 31, v8
	v_lshlrev_b64 v[18:19], 2, v[8:9]
	v_mov_b32_e32 v9, s37
	v_add_co_u32_e32 v18, vcc, s36, v18
	v_addc_co_u32_e32 v19, vcc, v9, v19, vcc
	global_load_dword v9, v[18:19], off
	v_lshlrev_b32_e32 v18, 2, v8
	v_ashrrev_i32_e32 v19, 31, v18
	v_or_b32_e32 v20, s56, v18
	v_or_b32_e32 v24, s57, v18
	v_lshlrev_b64 v[18:19], 3, v[18:19]
	v_mov_b32_e32 v28, s39
	v_add_co_u32_e32 v26, vcc, s38, v18
	v_ashrrev_i32_e32 v21, 31, v20
	v_ashrrev_i32_e32 v25, 31, v24
	v_addc_co_u32_e32 v27, vcc, v28, v19, vcc
	v_lshlrev_b64 v[18:19], 3, v[20:21]
	v_lshlrev_b64 v[20:21], 3, v[24:25]
	v_add_co_u32_e32 v20, vcc, s38, v20
	v_addc_co_u32_e32 v21, vcc, v28, v21, vcc
	global_load_dwordx2 v[22:23], v[26:27], off
	global_load_dwordx2 v[24:25], v[20:21], off
	v_add_co_u32_e32 v18, vcc, s38, v18
	v_addc_co_u32_e32 v19, vcc, v28, v19, vcc
	global_load_dwordx2 v[18:19], v[18:19], off
	s_nop 0
	global_load_dwordx2 v[20:21], v[26:27], off offset:24
	s_mov_b64 s[42:43], 0
	s_waitcnt vmcnt(4)
	v_subrev_u32_e32 v9, s25, v9
	v_mul_lo_u32 v28, v9, s19
	v_and_b32_e32 v31, 0x1ff, v28
	v_mov_b32_e32 v32, v31
	s_waitcnt vmcnt(2)
	v_mul_f64 v[26:27], v[14:15], v[24:25]
	v_fmac_f64_e32 v[26:27], v[16:17], v[22:23]
	s_branch .LBB31_24
.LBB31_23:                              ;   in Loop: Header=BB31_24 Depth=3
	s_or_b64 exec, exec, s[44:45]
	s_xor_b64 s[44:45], s[46:47], -1
	s_and_b64 s[44:45], exec, s[44:45]
	s_or_b64 s[42:43], s[44:45], s[42:43]
	s_andn2_b64 exec, exec, s[42:43]
	s_cbranch_execz .LBB31_34
.LBB31_24:                              ;   Parent Loop BB31_19 Depth=1
                                        ;     Parent Loop BB31_22 Depth=2
                                        ; =>    This Inner Loop Header: Depth=3
	v_lshl_add_u32 v28, v32, 2, 0
	ds_read_b32 v33, v28
                                        ; implicit-def: $sgpr46_sgpr47
	s_waitcnt lgkmcnt(0)
	v_cmp_ne_u32_e32 vcc, v33, v9
	s_and_saveexec_b64 s[44:45], vcc
	s_xor_b64 s[44:45], exec, s[44:45]
	s_cbranch_execz .LBB31_32
; %bb.25:                               ;   in Loop: Header=BB31_24 Depth=3
	v_cmp_ne_u32_e32 vcc, s33, v33
                                        ; implicit-def: $sgpr46_sgpr47
	s_and_saveexec_b64 s[48:49], vcc
	s_xor_b64 s[48:49], exec, s[48:49]
; %bb.26:                               ;   in Loop: Header=BB31_24 Depth=3
	v_add_u32_e32 v28, 1, v32
	v_and_b32_e32 v32, 0x1ff, v28
	s_mov_b64 s[46:47], -1
                                        ; implicit-def: $vgpr28
; %bb.27:                               ;   in Loop: Header=BB31_24 Depth=3
	s_andn2_saveexec_b64 s[48:49], s[48:49]
	s_cbranch_execz .LBB31_31
; %bb.28:                               ;   in Loop: Header=BB31_24 Depth=3
	v_mov_b32_e32 v33, s33
	ds_cmpst_rtn_b32 v33, v28, v33, v9
	s_mov_b64 s[50:51], -1
	s_waitcnt lgkmcnt(0)
	v_cmp_eq_u32_e32 vcc, s33, v33
	s_and_saveexec_b64 s[52:53], vcc
	s_cbranch_execz .LBB31_30
; %bb.29:                               ;   in Loop: Header=BB31_24 Depth=3
	v_mad_u64_u32 v[34:35], s[50:51], v32, 28, v[28:29]
	ds_add_f64 v34, v[26:27] offset:2048
	s_xor_b64 s[50:51], exec, -1
.LBB31_30:                              ;   in Loop: Header=BB31_24 Depth=3
	s_or_b64 exec, exec, s[52:53]
	s_andn2_b64 s[46:47], s[46:47], exec
	s_and_b64 s[50:51], s[50:51], exec
	s_or_b64 s[46:47], s[46:47], s[50:51]
.LBB31_31:                              ;   in Loop: Header=BB31_24 Depth=3
	s_or_b64 exec, exec, s[48:49]
	s_and_b64 s[46:47], s[46:47], exec
                                        ; implicit-def: $vgpr28
.LBB31_32:                              ;   in Loop: Header=BB31_24 Depth=3
	s_andn2_saveexec_b64 s[44:45], s[44:45]
	s_cbranch_execz .LBB31_23
; %bb.33:                               ;   in Loop: Header=BB31_24 Depth=3
	v_mad_u64_u32 v[34:35], s[48:49], v32, 28, v[28:29]
	ds_add_f64 v34, v[26:27] offset:2048
	s_andn2_b64 s[46:47], s[46:47], exec
	s_branch .LBB31_23
.LBB31_34:                              ;   in Loop: Header=BB31_22 Depth=2
	s_or_b64 exec, exec, s[42:43]
	s_waitcnt vmcnt(0)
	v_mul_f64 v[26:27], v[14:15], v[20:21]
	v_fmac_f64_e32 v[26:27], v[16:17], v[18:19]
	s_mov_b64 s[42:43], 0
	v_mov_b32_e32 v32, v31
	s_branch .LBB31_36
.LBB31_35:                              ;   in Loop: Header=BB31_36 Depth=3
	s_or_b64 exec, exec, s[44:45]
	s_xor_b64 s[44:45], s[46:47], -1
	s_and_b64 s[44:45], exec, s[44:45]
	s_or_b64 s[42:43], s[44:45], s[42:43]
	s_andn2_b64 exec, exec, s[42:43]
	s_cbranch_execz .LBB31_46
.LBB31_36:                              ;   Parent Loop BB31_19 Depth=1
                                        ;     Parent Loop BB31_22 Depth=2
                                        ; =>    This Inner Loop Header: Depth=3
	v_lshl_add_u32 v28, v32, 2, 0
	ds_read_b32 v33, v28
                                        ; implicit-def: $sgpr46_sgpr47
	s_waitcnt lgkmcnt(0)
	v_cmp_ne_u32_e32 vcc, v33, v9
	s_and_saveexec_b64 s[44:45], vcc
	s_xor_b64 s[44:45], exec, s[44:45]
	s_cbranch_execz .LBB31_44
; %bb.37:                               ;   in Loop: Header=BB31_36 Depth=3
	v_cmp_ne_u32_e32 vcc, s33, v33
                                        ; implicit-def: $sgpr46_sgpr47
	s_and_saveexec_b64 s[48:49], vcc
	s_xor_b64 s[48:49], exec, s[48:49]
; %bb.38:                               ;   in Loop: Header=BB31_36 Depth=3
	v_add_u32_e32 v28, 1, v32
	v_and_b32_e32 v32, 0x1ff, v28
	s_mov_b64 s[46:47], -1
                                        ; implicit-def: $vgpr28
; %bb.39:                               ;   in Loop: Header=BB31_36 Depth=3
	s_andn2_saveexec_b64 s[48:49], s[48:49]
	s_cbranch_execz .LBB31_43
; %bb.40:                               ;   in Loop: Header=BB31_36 Depth=3
	v_mov_b32_e32 v33, s33
	ds_cmpst_rtn_b32 v33, v28, v33, v9
	s_mov_b64 s[50:51], -1
	s_waitcnt lgkmcnt(0)
	v_cmp_eq_u32_e32 vcc, s33, v33
	s_and_saveexec_b64 s[52:53], vcc
	s_cbranch_execz .LBB31_42
; %bb.41:                               ;   in Loop: Header=BB31_36 Depth=3
	v_mad_u64_u32 v[34:35], s[50:51], v32, 28, v[28:29]
	ds_add_f64 v34, v[26:27] offset:2056
	s_xor_b64 s[50:51], exec, -1
.LBB31_42:                              ;   in Loop: Header=BB31_36 Depth=3
	s_or_b64 exec, exec, s[52:53]
	s_andn2_b64 s[46:47], s[46:47], exec
	s_and_b64 s[50:51], s[50:51], exec
	s_or_b64 s[46:47], s[46:47], s[50:51]
.LBB31_43:                              ;   in Loop: Header=BB31_36 Depth=3
	s_or_b64 exec, exec, s[48:49]
	s_and_b64 s[46:47], s[46:47], exec
                                        ; implicit-def: $vgpr28
.LBB31_44:                              ;   in Loop: Header=BB31_36 Depth=3
	s_andn2_saveexec_b64 s[44:45], s[44:45]
	s_cbranch_execz .LBB31_35
; %bb.45:                               ;   in Loop: Header=BB31_36 Depth=3
	v_mad_u64_u32 v[34:35], s[48:49], v32, 28, v[28:29]
	ds_add_f64 v34, v[26:27] offset:2056
	s_andn2_b64 s[46:47], s[46:47], exec
	s_branch .LBB31_35
.LBB31_46:                              ;   in Loop: Header=BB31_22 Depth=2
	s_or_b64 exec, exec, s[42:43]
	v_mul_f64 v[24:25], v[10:11], v[24:25]
	v_fmac_f64_e32 v[24:25], v[12:13], v[22:23]
	s_mov_b64 s[42:43], 0
	v_mov_b32_e32 v23, v31
	s_branch .LBB31_48
.LBB31_47:                              ;   in Loop: Header=BB31_48 Depth=3
	s_or_b64 exec, exec, s[44:45]
	s_xor_b64 s[44:45], s[46:47], -1
	s_and_b64 s[44:45], exec, s[44:45]
	s_or_b64 s[42:43], s[44:45], s[42:43]
	s_andn2_b64 exec, exec, s[42:43]
	s_cbranch_execz .LBB31_58
.LBB31_48:                              ;   Parent Loop BB31_19 Depth=1
                                        ;     Parent Loop BB31_22 Depth=2
                                        ; =>    This Inner Loop Header: Depth=3
	v_lshl_add_u32 v22, v23, 2, 0
	ds_read_b32 v26, v22
                                        ; implicit-def: $sgpr46_sgpr47
	s_waitcnt lgkmcnt(0)
	v_cmp_ne_u32_e32 vcc, v26, v9
	s_and_saveexec_b64 s[44:45], vcc
	s_xor_b64 s[44:45], exec, s[44:45]
	s_cbranch_execz .LBB31_56
; %bb.49:                               ;   in Loop: Header=BB31_48 Depth=3
	v_cmp_ne_u32_e32 vcc, s33, v26
                                        ; implicit-def: $sgpr46_sgpr47
	s_and_saveexec_b64 s[48:49], vcc
	s_xor_b64 s[48:49], exec, s[48:49]
; %bb.50:                               ;   in Loop: Header=BB31_48 Depth=3
	v_add_u32_e32 v22, 1, v23
	v_and_b32_e32 v23, 0x1ff, v22
	s_mov_b64 s[46:47], -1
                                        ; implicit-def: $vgpr22
; %bb.51:                               ;   in Loop: Header=BB31_48 Depth=3
	s_andn2_saveexec_b64 s[48:49], s[48:49]
	s_cbranch_execz .LBB31_55
; %bb.52:                               ;   in Loop: Header=BB31_48 Depth=3
	v_mov_b32_e32 v26, s33
	ds_cmpst_rtn_b32 v26, v22, v26, v9
	s_mov_b64 s[50:51], -1
	s_waitcnt lgkmcnt(0)
	v_cmp_eq_u32_e32 vcc, s33, v26
	s_and_saveexec_b64 s[52:53], vcc
	s_cbranch_execz .LBB31_54
; %bb.53:                               ;   in Loop: Header=BB31_48 Depth=3
	v_mad_u64_u32 v[26:27], s[50:51], v23, 28, v[22:23]
	ds_add_f64 v26, v[24:25] offset:2064
	s_xor_b64 s[50:51], exec, -1
.LBB31_54:                              ;   in Loop: Header=BB31_48 Depth=3
	s_or_b64 exec, exec, s[52:53]
	s_andn2_b64 s[46:47], s[46:47], exec
	s_and_b64 s[50:51], s[50:51], exec
	s_or_b64 s[46:47], s[46:47], s[50:51]
.LBB31_55:                              ;   in Loop: Header=BB31_48 Depth=3
	s_or_b64 exec, exec, s[48:49]
	s_and_b64 s[46:47], s[46:47], exec
                                        ; implicit-def: $vgpr22
.LBB31_56:                              ;   in Loop: Header=BB31_48 Depth=3
	s_andn2_saveexec_b64 s[44:45], s[44:45]
	s_cbranch_execz .LBB31_47
; %bb.57:                               ;   in Loop: Header=BB31_48 Depth=3
	v_mad_u64_u32 v[26:27], s[48:49], v23, 28, v[22:23]
	ds_add_f64 v26, v[24:25] offset:2064
	s_andn2_b64 s[46:47], s[46:47], exec
	s_branch .LBB31_47
.LBB31_58:                              ;   in Loop: Header=BB31_22 Depth=2
	s_or_b64 exec, exec, s[42:43]
	v_mul_f64 v[20:21], v[10:11], v[20:21]
	v_fmac_f64_e32 v[20:21], v[12:13], v[18:19]
	s_mov_b64 s[42:43], 0
	s_branch .LBB31_60
.LBB31_59:                              ;   in Loop: Header=BB31_60 Depth=3
	s_or_b64 exec, exec, s[44:45]
	s_xor_b64 s[44:45], s[46:47], -1
	s_and_b64 s[44:45], exec, s[44:45]
	s_or_b64 s[42:43], s[44:45], s[42:43]
	s_andn2_b64 exec, exec, s[42:43]
	s_cbranch_execz .LBB31_21
.LBB31_60:                              ;   Parent Loop BB31_19 Depth=1
                                        ;     Parent Loop BB31_22 Depth=2
                                        ; =>    This Inner Loop Header: Depth=3
	v_lshl_add_u32 v18, v31, 2, 0
	ds_read_b32 v19, v18
                                        ; implicit-def: $sgpr46_sgpr47
	s_waitcnt lgkmcnt(0)
	v_cmp_ne_u32_e32 vcc, v19, v9
	s_and_saveexec_b64 s[44:45], vcc
	s_xor_b64 s[44:45], exec, s[44:45]
	s_cbranch_execz .LBB31_68
; %bb.61:                               ;   in Loop: Header=BB31_60 Depth=3
	v_cmp_ne_u32_e32 vcc, s33, v19
                                        ; implicit-def: $sgpr46_sgpr47
	s_and_saveexec_b64 s[48:49], vcc
	s_xor_b64 s[48:49], exec, s[48:49]
; %bb.62:                               ;   in Loop: Header=BB31_60 Depth=3
	v_add_u32_e32 v18, 1, v31
	v_and_b32_e32 v31, 0x1ff, v18
	s_mov_b64 s[46:47], -1
                                        ; implicit-def: $vgpr18
; %bb.63:                               ;   in Loop: Header=BB31_60 Depth=3
	s_andn2_saveexec_b64 s[48:49], s[48:49]
	s_cbranch_execz .LBB31_67
; %bb.64:                               ;   in Loop: Header=BB31_60 Depth=3
	v_mov_b32_e32 v19, s33
	ds_cmpst_rtn_b32 v19, v18, v19, v9
	s_mov_b64 s[50:51], -1
	s_waitcnt lgkmcnt(0)
	v_cmp_eq_u32_e32 vcc, s33, v19
	s_and_saveexec_b64 s[52:53], vcc
	s_cbranch_execz .LBB31_66
; %bb.65:                               ;   in Loop: Header=BB31_60 Depth=3
	v_mad_u64_u32 v[18:19], s[50:51], v31, 28, v[18:19]
	ds_add_f64 v18, v[20:21] offset:2072
	s_xor_b64 s[50:51], exec, -1
.LBB31_66:                              ;   in Loop: Header=BB31_60 Depth=3
	s_or_b64 exec, exec, s[52:53]
	s_andn2_b64 s[46:47], s[46:47], exec
	s_and_b64 s[50:51], s[50:51], exec
	s_or_b64 s[46:47], s[46:47], s[50:51]
.LBB31_67:                              ;   in Loop: Header=BB31_60 Depth=3
	s_or_b64 exec, exec, s[48:49]
	s_and_b64 s[46:47], s[46:47], exec
                                        ; implicit-def: $vgpr18
.LBB31_68:                              ;   in Loop: Header=BB31_60 Depth=3
	s_andn2_saveexec_b64 s[44:45], s[44:45]
	s_cbranch_execz .LBB31_59
; %bb.69:                               ;   in Loop: Header=BB31_60 Depth=3
	v_mad_u64_u32 v[18:19], s[48:49], v31, 28, v[18:19]
	ds_add_f64 v18, v[20:21] offset:2072
	s_andn2_b64 s[46:47], s[46:47], exec
	s_branch .LBB31_59
.LBB31_70:
	s_or_b64 exec, exec, s[4:5]
.LBB31_71:
	s_andn2_b64 vcc, exec, s[2:3]
	s_waitcnt lgkmcnt(0)
	s_barrier
	s_cbranch_vccnz .LBB31_124
; %bb.72:
	s_lshl_b64 s[2:3], s[6:7], 2
	s_add_u32 s2, s8, s2
	s_addc_u32 s3, s9, s3
	s_load_dwordx2 s[2:3], s[2:3], 0x0
	v_subrev_u32_e32 v1, s27, v0
	s_waitcnt lgkmcnt(0)
	s_sub_i32 s34, s3, s27
	s_waitcnt vmcnt(0)
	v_add_u32_e32 v4, s2, v1
	v_cmp_gt_i32_e32 vcc, s34, v4
	s_and_saveexec_b64 s[2:3], vcc
	s_cbranch_execz .LBB31_123
; %bb.73:
	s_cmp_eq_u32 s54, 0
	s_cselect_b32 s35, 1, 2
	s_cselect_b32 s36, 2, 1
	s_mov_b64 s[4:5], 0
	v_mov_b32_e32 v1, s13
	v_mov_b32_e32 v15, s11
	s_movk_i32 s11, 0x89
	s_branch .LBB31_75
.LBB31_74:                              ;   in Loop: Header=BB31_75 Depth=1
	s_or_b64 exec, exec, s[8:9]
	v_add_u32_e32 v4, 0x100, v4
	v_cmp_le_i32_e32 vcc, s34, v4
	s_or_b64 s[4:5], vcc, s[4:5]
	s_andn2_b64 exec, exec, s[4:5]
	s_cbranch_execz .LBB31_123
.LBB31_75:                              ; =>This Loop Header: Depth=1
                                        ;     Child Loop BB31_77 Depth 2
                                        ;     Child Loop BB31_89 Depth 2
	;; [unrolled: 1-line block ×4, first 2 shown]
	v_lshlrev_b32_e32 v6, 2, v4
	v_ashrrev_i32_e32 v7, 31, v6
	v_or_b32_e32 v8, s35, v6
	v_or_b32_e32 v10, s36, v6
	v_lshlrev_b64 v[6:7], 3, v[6:7]
	v_add_co_u32_e32 v12, vcc, s12, v6
	v_ashrrev_i32_e32 v9, 31, v8
	v_addc_co_u32_e32 v13, vcc, v1, v7, vcc
	v_lshlrev_b64 v[6:7], 3, v[8:9]
	v_add_co_u32_e32 v18, vcc, s12, v6
	v_ashrrev_i32_e32 v5, 31, v4
	v_addc_co_u32_e32 v19, vcc, v1, v7, vcc
	;; [unrolled: 4-line block ×3, first 2 shown]
	v_lshlrev_b64 v[6:7], 3, v[10:11]
	global_load_dword v5, v[8:9], off
	v_add_co_u32_e32 v20, vcc, s12, v6
	global_load_dwordx2 v[16:17], v[12:13], off
	v_addc_co_u32_e32 v21, vcc, v1, v7, vcc
	global_load_dwordx2 v[8:9], v[20:21], off
	global_load_dwordx2 v[10:11], v[18:19], off
	global_load_dwordx2 v[6:7], v[12:13], off offset:24
	s_mov_b64 s[8:9], 0
	s_waitcnt vmcnt(4)
	v_subrev_u32_e32 v5, s27, v5
	v_mul_lo_u32 v14, v5, s11
	s_waitcnt vmcnt(3)
	v_mul_f64 v[12:13], v[2:3], v[16:17]
	v_and_b32_e32 v16, 0x1ff, v14
	v_mov_b32_e32 v17, v16
	s_branch .LBB31_77
.LBB31_76:                              ;   in Loop: Header=BB31_77 Depth=2
	s_or_b64 exec, exec, s[16:17]
	s_xor_b64 s[16:17], s[18:19], -1
	s_and_b64 s[16:17], exec, s[16:17]
	s_or_b64 s[8:9], s[16:17], s[8:9]
	s_andn2_b64 exec, exec, s[8:9]
	s_cbranch_execz .LBB31_87
.LBB31_77:                              ;   Parent Loop BB31_75 Depth=1
                                        ; =>  This Inner Loop Header: Depth=2
	v_lshl_add_u32 v14, v17, 2, 0
	ds_read_b32 v18, v14
                                        ; implicit-def: $sgpr18_sgpr19
	s_waitcnt lgkmcnt(0)
	v_cmp_ne_u32_e32 vcc, v18, v5
	s_and_saveexec_b64 s[16:17], vcc
	s_xor_b64 s[16:17], exec, s[16:17]
	s_cbranch_execz .LBB31_85
; %bb.78:                               ;   in Loop: Header=BB31_77 Depth=2
	v_cmp_ne_u32_e32 vcc, s33, v18
                                        ; implicit-def: $sgpr18_sgpr19
	s_and_saveexec_b64 s[20:21], vcc
	s_xor_b64 s[20:21], exec, s[20:21]
; %bb.79:                               ;   in Loop: Header=BB31_77 Depth=2
	v_add_u32_e32 v14, 1, v17
	v_and_b32_e32 v17, 0x1ff, v14
	s_mov_b64 s[18:19], -1
                                        ; implicit-def: $vgpr14
; %bb.80:                               ;   in Loop: Header=BB31_77 Depth=2
	s_andn2_saveexec_b64 s[20:21], s[20:21]
	s_cbranch_execz .LBB31_84
; %bb.81:                               ;   in Loop: Header=BB31_77 Depth=2
	v_mov_b32_e32 v18, s33
	ds_cmpst_rtn_b32 v18, v14, v18, v5
	s_mov_b64 s[22:23], -1
	s_waitcnt lgkmcnt(0)
	v_cmp_eq_u32_e32 vcc, s33, v18
	s_and_saveexec_b64 s[24:25], vcc
	s_cbranch_execz .LBB31_83
; %bb.82:                               ;   in Loop: Header=BB31_77 Depth=2
	v_mad_u64_u32 v[18:19], s[22:23], v17, 28, v[14:15]
	ds_add_f64 v18, v[12:13] offset:2048
	s_xor_b64 s[22:23], exec, -1
.LBB31_83:                              ;   in Loop: Header=BB31_77 Depth=2
	s_or_b64 exec, exec, s[24:25]
	s_andn2_b64 s[18:19], s[18:19], exec
	s_and_b64 s[22:23], s[22:23], exec
	s_or_b64 s[18:19], s[18:19], s[22:23]
.LBB31_84:                              ;   in Loop: Header=BB31_77 Depth=2
	s_or_b64 exec, exec, s[20:21]
	s_and_b64 s[18:19], s[18:19], exec
                                        ; implicit-def: $vgpr14
.LBB31_85:                              ;   in Loop: Header=BB31_77 Depth=2
	s_andn2_saveexec_b64 s[16:17], s[16:17]
	s_cbranch_execz .LBB31_76
; %bb.86:                               ;   in Loop: Header=BB31_77 Depth=2
	v_mad_u64_u32 v[18:19], s[20:21], v17, 28, v[14:15]
	ds_add_f64 v18, v[12:13] offset:2048
	s_andn2_b64 s[18:19], s[18:19], exec
	s_branch .LBB31_76
.LBB31_87:                              ;   in Loop: Header=BB31_75 Depth=1
	s_or_b64 exec, exec, s[8:9]
	s_waitcnt vmcnt(1)
	v_mul_f64 v[10:11], v[2:3], v[10:11]
	s_mov_b64 s[8:9], 0
	v_mov_b32_e32 v13, v16
	s_branch .LBB31_89
.LBB31_88:                              ;   in Loop: Header=BB31_89 Depth=2
	s_or_b64 exec, exec, s[16:17]
	s_xor_b64 s[16:17], s[18:19], -1
	s_and_b64 s[16:17], exec, s[16:17]
	s_or_b64 s[8:9], s[16:17], s[8:9]
	s_andn2_b64 exec, exec, s[8:9]
	s_cbranch_execz .LBB31_99
.LBB31_89:                              ;   Parent Loop BB31_75 Depth=1
                                        ; =>  This Inner Loop Header: Depth=2
	v_lshl_add_u32 v12, v13, 2, 0
	ds_read_b32 v14, v12
                                        ; implicit-def: $sgpr18_sgpr19
	s_waitcnt lgkmcnt(0)
	v_cmp_ne_u32_e32 vcc, v14, v5
	s_and_saveexec_b64 s[16:17], vcc
	s_xor_b64 s[16:17], exec, s[16:17]
	s_cbranch_execz .LBB31_97
; %bb.90:                               ;   in Loop: Header=BB31_89 Depth=2
	v_cmp_ne_u32_e32 vcc, s33, v14
                                        ; implicit-def: $sgpr18_sgpr19
	s_and_saveexec_b64 s[20:21], vcc
	s_xor_b64 s[20:21], exec, s[20:21]
; %bb.91:                               ;   in Loop: Header=BB31_89 Depth=2
	v_add_u32_e32 v12, 1, v13
	v_and_b32_e32 v13, 0x1ff, v12
	s_mov_b64 s[18:19], -1
                                        ; implicit-def: $vgpr12
; %bb.92:                               ;   in Loop: Header=BB31_89 Depth=2
	s_andn2_saveexec_b64 s[20:21], s[20:21]
	s_cbranch_execz .LBB31_96
; %bb.93:                               ;   in Loop: Header=BB31_89 Depth=2
	v_mov_b32_e32 v14, s33
	ds_cmpst_rtn_b32 v14, v12, v14, v5
	s_mov_b64 s[22:23], -1
	s_waitcnt lgkmcnt(0)
	v_cmp_eq_u32_e32 vcc, s33, v14
	s_and_saveexec_b64 s[24:25], vcc
	s_cbranch_execz .LBB31_95
; %bb.94:                               ;   in Loop: Header=BB31_89 Depth=2
	v_mad_u64_u32 v[18:19], s[22:23], v13, 28, v[12:13]
	ds_add_f64 v18, v[10:11] offset:2056
	s_xor_b64 s[22:23], exec, -1
.LBB31_95:                              ;   in Loop: Header=BB31_89 Depth=2
	s_or_b64 exec, exec, s[24:25]
	s_andn2_b64 s[18:19], s[18:19], exec
	s_and_b64 s[22:23], s[22:23], exec
	s_or_b64 s[18:19], s[18:19], s[22:23]
.LBB31_96:                              ;   in Loop: Header=BB31_89 Depth=2
	s_or_b64 exec, exec, s[20:21]
	s_and_b64 s[18:19], s[18:19], exec
                                        ; implicit-def: $vgpr12
.LBB31_97:                              ;   in Loop: Header=BB31_89 Depth=2
	s_andn2_saveexec_b64 s[16:17], s[16:17]
	s_cbranch_execz .LBB31_88
; %bb.98:                               ;   in Loop: Header=BB31_89 Depth=2
	v_mad_u64_u32 v[18:19], s[20:21], v13, 28, v[12:13]
	ds_add_f64 v18, v[10:11] offset:2056
	s_andn2_b64 s[18:19], s[18:19], exec
	s_branch .LBB31_88
.LBB31_99:                              ;   in Loop: Header=BB31_75 Depth=1
	s_or_b64 exec, exec, s[8:9]
	v_mul_f64 v[8:9], v[2:3], v[8:9]
	s_mov_b64 s[8:9], 0
	v_mov_b32_e32 v11, v16
	s_branch .LBB31_101
.LBB31_100:                             ;   in Loop: Header=BB31_101 Depth=2
	s_or_b64 exec, exec, s[16:17]
	s_xor_b64 s[16:17], s[18:19], -1
	s_and_b64 s[16:17], exec, s[16:17]
	s_or_b64 s[8:9], s[16:17], s[8:9]
	s_andn2_b64 exec, exec, s[8:9]
	s_cbranch_execz .LBB31_111
.LBB31_101:                             ;   Parent Loop BB31_75 Depth=1
                                        ; =>  This Inner Loop Header: Depth=2
	v_lshl_add_u32 v10, v11, 2, 0
	ds_read_b32 v12, v10
                                        ; implicit-def: $sgpr18_sgpr19
	s_waitcnt lgkmcnt(0)
	v_cmp_ne_u32_e32 vcc, v12, v5
	s_and_saveexec_b64 s[16:17], vcc
	s_xor_b64 s[16:17], exec, s[16:17]
	s_cbranch_execz .LBB31_109
; %bb.102:                              ;   in Loop: Header=BB31_101 Depth=2
	v_cmp_ne_u32_e32 vcc, s33, v12
                                        ; implicit-def: $sgpr18_sgpr19
	s_and_saveexec_b64 s[20:21], vcc
	s_xor_b64 s[20:21], exec, s[20:21]
; %bb.103:                              ;   in Loop: Header=BB31_101 Depth=2
	v_add_u32_e32 v10, 1, v11
	v_and_b32_e32 v11, 0x1ff, v10
	s_mov_b64 s[18:19], -1
                                        ; implicit-def: $vgpr10
; %bb.104:                              ;   in Loop: Header=BB31_101 Depth=2
	s_andn2_saveexec_b64 s[20:21], s[20:21]
	s_cbranch_execz .LBB31_108
; %bb.105:                              ;   in Loop: Header=BB31_101 Depth=2
	v_mov_b32_e32 v12, s33
	ds_cmpst_rtn_b32 v12, v10, v12, v5
	s_mov_b64 s[22:23], -1
	s_waitcnt lgkmcnt(0)
	v_cmp_eq_u32_e32 vcc, s33, v12
	s_and_saveexec_b64 s[24:25], vcc
	s_cbranch_execz .LBB31_107
; %bb.106:                              ;   in Loop: Header=BB31_101 Depth=2
	v_mad_u64_u32 v[12:13], s[22:23], v11, 28, v[10:11]
	ds_add_f64 v12, v[8:9] offset:2064
	s_xor_b64 s[22:23], exec, -1
.LBB31_107:                             ;   in Loop: Header=BB31_101 Depth=2
	s_or_b64 exec, exec, s[24:25]
	s_andn2_b64 s[18:19], s[18:19], exec
	s_and_b64 s[22:23], s[22:23], exec
	s_or_b64 s[18:19], s[18:19], s[22:23]
.LBB31_108:                             ;   in Loop: Header=BB31_101 Depth=2
	s_or_b64 exec, exec, s[20:21]
	s_and_b64 s[18:19], s[18:19], exec
                                        ; implicit-def: $vgpr10
.LBB31_109:                             ;   in Loop: Header=BB31_101 Depth=2
	s_andn2_saveexec_b64 s[16:17], s[16:17]
	s_cbranch_execz .LBB31_100
; %bb.110:                              ;   in Loop: Header=BB31_101 Depth=2
	v_mad_u64_u32 v[12:13], s[20:21], v11, 28, v[10:11]
	ds_add_f64 v12, v[8:9] offset:2064
	s_andn2_b64 s[18:19], s[18:19], exec
	s_branch .LBB31_100
.LBB31_111:                             ;   in Loop: Header=BB31_75 Depth=1
	s_or_b64 exec, exec, s[8:9]
	s_waitcnt vmcnt(0)
	v_mul_f64 v[6:7], v[2:3], v[6:7]
	s_mov_b64 s[8:9], 0
	s_branch .LBB31_113
.LBB31_112:                             ;   in Loop: Header=BB31_113 Depth=2
	s_or_b64 exec, exec, s[16:17]
	s_xor_b64 s[16:17], s[18:19], -1
	s_and_b64 s[16:17], exec, s[16:17]
	s_or_b64 s[8:9], s[16:17], s[8:9]
	s_andn2_b64 exec, exec, s[8:9]
	s_cbranch_execz .LBB31_74
.LBB31_113:                             ;   Parent Loop BB31_75 Depth=1
                                        ; =>  This Inner Loop Header: Depth=2
	v_lshl_add_u32 v8, v16, 2, 0
	ds_read_b32 v9, v8
                                        ; implicit-def: $sgpr18_sgpr19
	s_waitcnt lgkmcnt(0)
	v_cmp_ne_u32_e32 vcc, v9, v5
	s_and_saveexec_b64 s[16:17], vcc
	s_xor_b64 s[16:17], exec, s[16:17]
	s_cbranch_execz .LBB31_121
; %bb.114:                              ;   in Loop: Header=BB31_113 Depth=2
	v_cmp_ne_u32_e32 vcc, s33, v9
                                        ; implicit-def: $sgpr18_sgpr19
	s_and_saveexec_b64 s[20:21], vcc
	s_xor_b64 s[20:21], exec, s[20:21]
; %bb.115:                              ;   in Loop: Header=BB31_113 Depth=2
	v_add_u32_e32 v8, 1, v16
	v_and_b32_e32 v16, 0x1ff, v8
	s_mov_b64 s[18:19], -1
                                        ; implicit-def: $vgpr8
; %bb.116:                              ;   in Loop: Header=BB31_113 Depth=2
	s_andn2_saveexec_b64 s[20:21], s[20:21]
	s_cbranch_execz .LBB31_120
; %bb.117:                              ;   in Loop: Header=BB31_113 Depth=2
	v_mov_b32_e32 v9, s33
	ds_cmpst_rtn_b32 v9, v8, v9, v5
	s_mov_b64 s[22:23], -1
	s_waitcnt lgkmcnt(0)
	v_cmp_eq_u32_e32 vcc, s33, v9
	s_and_saveexec_b64 s[24:25], vcc
	s_cbranch_execz .LBB31_119
; %bb.118:                              ;   in Loop: Header=BB31_113 Depth=2
	v_mad_u64_u32 v[8:9], s[22:23], v16, 28, v[8:9]
	ds_add_f64 v8, v[6:7] offset:2072
	s_xor_b64 s[22:23], exec, -1
.LBB31_119:                             ;   in Loop: Header=BB31_113 Depth=2
	s_or_b64 exec, exec, s[24:25]
	s_andn2_b64 s[18:19], s[18:19], exec
	s_and_b64 s[22:23], s[22:23], exec
	s_or_b64 s[18:19], s[18:19], s[22:23]
.LBB31_120:                             ;   in Loop: Header=BB31_113 Depth=2
	s_or_b64 exec, exec, s[20:21]
	s_and_b64 s[18:19], s[18:19], exec
                                        ; implicit-def: $vgpr8
.LBB31_121:                             ;   in Loop: Header=BB31_113 Depth=2
	s_andn2_saveexec_b64 s[16:17], s[16:17]
	s_cbranch_execz .LBB31_112
; %bb.122:                              ;   in Loop: Header=BB31_113 Depth=2
	v_mad_u64_u32 v[8:9], s[20:21], v16, 28, v[8:9]
	ds_add_f64 v8, v[6:7] offset:2072
	s_andn2_b64 s[18:19], s[18:19], exec
	s_branch .LBB31_112
.LBB31_123:
	s_or_b64 exec, exec, s[2:3]
.LBB31_124:
	s_waitcnt lgkmcnt(0)
	s_barrier
	s_and_saveexec_b64 s[2:3], s[0:1]
	s_cbranch_execz .LBB31_131
; %bb.125:
	s_lshl_b64 s[0:1], s[6:7], 2
	s_add_u32 s0, s14, s0
	s_addc_u32 s1, s15, s1
	s_load_dword s0, s[0:1], 0x0
	s_mov_b64 s[2:3], 0
	s_movk_i32 s10, 0xff
	s_waitcnt lgkmcnt(0)
	s_sub_i32 s6, s0, s26
	s_cmp_eq_u32 s54, 0
	s_cselect_b32 s7, 1, 2
	s_cselect_b32 s8, 2, 1
	s_add_i32 s9, 0, 0x800
	s_waitcnt vmcnt(0)
	s_branch .LBB31_127
.LBB31_126:                             ;   in Loop: Header=BB31_127 Depth=1
	s_or_b64 exec, exec, s[4:5]
	v_add_u32_e32 v1, 0x100, v0
	v_cmp_lt_u32_e32 vcc, s10, v0
	s_or_b64 s[2:3], vcc, s[2:3]
	v_mov_b32_e32 v0, v1
	s_andn2_b64 exec, exec, s[2:3]
	s_cbranch_execz .LBB31_131
.LBB31_127:                             ; =>This Loop Header: Depth=1
                                        ;     Child Loop BB31_129 Depth 2
	v_lshl_add_u32 v2, v0, 2, 0
	ds_read_b32 v4, v2
	s_waitcnt lgkmcnt(0)
	v_cmp_gt_i32_e32 vcc, s33, v4
	s_and_saveexec_b64 s[4:5], vcc
	s_cbranch_execz .LBB31_126
; %bb.128:                              ;   in Loop: Header=BB31_127 Depth=1
	v_mov_b32_e32 v1, v4
	s_mov_b32 s11, 0
	v_mov_b32_e32 v5, s6
	v_mov_b32_e32 v3, 0
.LBB31_129:                             ;   Parent Loop BB31_127 Depth=1
                                        ; =>  This Inner Loop Header: Depth=2
	s_add_i32 s0, s11, 0
	v_mov_b32_e32 v36, s0
	ds_read2_b32 v[6:7], v36 offset1:1
	ds_read2_b32 v[8:9], v36 offset0:2 offset1:3
	ds_read2_b32 v[10:11], v36 offset0:4 offset1:5
	;; [unrolled: 1-line block ×15, first 2 shown]
	s_waitcnt lgkmcnt(14)
	v_cmp_gt_i32_e32 vcc, v1, v7
	v_cndmask_b32_e64 v7, 0, 1, vcc
	v_cmp_gt_i32_e32 vcc, v4, v6
	s_waitcnt lgkmcnt(13)
	v_cmp_gt_i32_e64 s[0:1], v4, v10
	v_cndmask_b32_e64 v6, 0, 1, vcc
	v_cmp_gt_i32_e32 vcc, v1, v9
	v_cndmask_b32_e64 v9, 0, 1, s[0:1]
	v_cmp_gt_i32_e64 s[0:1], v1, v11
	v_cndmask_b32_e64 v10, 0, 1, s[0:1]
	s_waitcnt lgkmcnt(11)
	v_cmp_gt_i32_e64 s[0:1], v1, v15
	v_cndmask_b32_e64 v11, 0, 1, s[0:1]
	v_cmp_gt_i32_e64 s[0:1], v4, v14
	v_cndmask_b32_e64 v14, 0, 1, s[0:1]
	s_waitcnt lgkmcnt(9)
	v_cmp_gt_i32_e64 s[0:1], v4, v18
	;; [unrolled: 5-line block ×6, first 2 shown]
	v_cndmask_b32_e64 v31, 0, 1, s[0:1]
	v_cmp_gt_i32_e64 s[0:1], v1, v35
	v_cndmask_b32_e64 v34, 0, 1, s[0:1]
	v_cmp_gt_i32_e64 s[0:1], v4, v8
	v_addc_co_u32_e64 v5, s[0:1], v5, v6, s[0:1]
	v_addc_co_u32_e32 v3, vcc, v3, v7, vcc
	v_cmp_gt_i32_e32 vcc, v4, v12
	v_cmp_gt_i32_e64 s[0:1], v1, v13
	v_addc_co_u32_e64 v3, s[0:1], v3, v10, s[0:1]
	v_addc_co_u32_e32 v5, vcc, v5, v9, vcc
	v_cmp_gt_i32_e32 vcc, v1, v17
	;; [unrolled: 4-line block ×6, first 2 shown]
	v_cmp_gt_i32_e64 s[0:1], v4, v32
	v_addc_co_u32_e64 v5, s[0:1], v5, v30, s[0:1]
	v_addc_co_u32_e32 v3, vcc, v3, v27, vcc
	s_addk_i32 s11, 0x80
	s_waitcnt lgkmcnt(0)
	v_cmp_gt_i32_e32 vcc, v4, v36
	v_cmp_gt_i32_e64 s[0:1], v1, v37
	s_cmpk_lg_i32 s11, 0x800
	v_addc_co_u32_e64 v3, s[0:1], v3, v34, s[0:1]
	v_addc_co_u32_e32 v5, vcc, v5, v31, vcc
	s_cbranch_scc1 .LBB31_129
; %bb.130:                              ;   in Loop: Header=BB31_127 Depth=1
	v_add_u32_e32 v6, v5, v3
	v_ashrrev_i32_e32 v7, 31, v6
	v_add_u32_e32 v1, s26, v4
	v_lshlrev_b64 v[4:5], 2, v[6:7]
	v_mov_b32_e32 v3, s29
	v_add_co_u32_e32 v4, vcc, s28, v4
	v_addc_co_u32_e32 v5, vcc, v3, v5, vcc
	global_store_dword v[4:5], v1, off
	v_lshlrev_b32_e32 v4, 2, v6
	v_lshlrev_b32_e32 v1, 2, v0
	v_ashrrev_i32_e32 v5, 31, v4
	v_lshlrev_b64 v[10:11], 3, v[4:5]
	v_or_b32_e32 v4, s7, v1
	v_or_b32_e32 v1, s8, v1
	v_mad_u64_u32 v[2:3], s[0:1], v0, 28, v[2:3]
	v_lshl_add_u32 v8, v0, 5, s9
	v_lshl_add_u32 v4, v4, 3, s9
	;; [unrolled: 1-line block ×3, first 2 shown]
	ds_read_b64 v[2:3], v2 offset:2048
	ds_read_b64 v[6:7], v1
	ds_read_b64 v[4:5], v4
	ds_read_b64 v[8:9], v8 offset:24
	v_mov_b32_e32 v12, s31
	v_add_co_u32_e32 v10, vcc, s30, v10
	v_addc_co_u32_e32 v11, vcc, v12, v11, vcc
	s_waitcnt lgkmcnt(1)
	global_store_dwordx4 v[10:11], v[2:5], off
	s_waitcnt lgkmcnt(0)
	global_store_dwordx4 v[10:11], v[6:9], off offset:16
	s_branch .LBB31_126
.LBB31_131:
	s_endpgm
	.section	.rodata,"a",@progbits
	.p2align	6, 0x0
	.amdhsa_kernel _ZN9rocsparseL30bsrgemm_fill_block_per_row_2x2ILj256ELj16ELj512ELj137EiidEEv20rocsparse_direction_T4_S2_PKS2_S4_NS_24const_host_device_scalarIT5_EEPKT3_S4_PKS6_SA_S4_SC_S7_SA_S4_SC_SA_PS2_PS6_21rocsparse_index_base_SF_SF_SF_bbb
		.amdhsa_group_segment_fixed_size 0
		.amdhsa_private_segment_fixed_size 0
		.amdhsa_kernarg_size 164
		.amdhsa_user_sgpr_count 6
		.amdhsa_user_sgpr_private_segment_buffer 1
		.amdhsa_user_sgpr_dispatch_ptr 0
		.amdhsa_user_sgpr_queue_ptr 0
		.amdhsa_user_sgpr_kernarg_segment_ptr 1
		.amdhsa_user_sgpr_dispatch_id 0
		.amdhsa_user_sgpr_flat_scratch_init 0
		.amdhsa_user_sgpr_kernarg_preload_length 0
		.amdhsa_user_sgpr_kernarg_preload_offset 0
		.amdhsa_user_sgpr_private_segment_size 0
		.amdhsa_uses_dynamic_stack 0
		.amdhsa_system_sgpr_private_segment_wavefront_offset 0
		.amdhsa_system_sgpr_workgroup_id_x 1
		.amdhsa_system_sgpr_workgroup_id_y 0
		.amdhsa_system_sgpr_workgroup_id_z 0
		.amdhsa_system_sgpr_workgroup_info 0
		.amdhsa_system_vgpr_workitem_id 0
		.amdhsa_next_free_vgpr 38
		.amdhsa_next_free_sgpr 58
		.amdhsa_accum_offset 40
		.amdhsa_reserve_vcc 1
		.amdhsa_reserve_flat_scratch 0
		.amdhsa_float_round_mode_32 0
		.amdhsa_float_round_mode_16_64 0
		.amdhsa_float_denorm_mode_32 3
		.amdhsa_float_denorm_mode_16_64 3
		.amdhsa_dx10_clamp 1
		.amdhsa_ieee_mode 1
		.amdhsa_fp16_overflow 0
		.amdhsa_tg_split 0
		.amdhsa_exception_fp_ieee_invalid_op 0
		.amdhsa_exception_fp_denorm_src 0
		.amdhsa_exception_fp_ieee_div_zero 0
		.amdhsa_exception_fp_ieee_overflow 0
		.amdhsa_exception_fp_ieee_underflow 0
		.amdhsa_exception_fp_ieee_inexact 0
		.amdhsa_exception_int_div_zero 0
	.end_amdhsa_kernel
	.section	.text._ZN9rocsparseL30bsrgemm_fill_block_per_row_2x2ILj256ELj16ELj512ELj137EiidEEv20rocsparse_direction_T4_S2_PKS2_S4_NS_24const_host_device_scalarIT5_EEPKT3_S4_PKS6_SA_S4_SC_S7_SA_S4_SC_SA_PS2_PS6_21rocsparse_index_base_SF_SF_SF_bbb,"axG",@progbits,_ZN9rocsparseL30bsrgemm_fill_block_per_row_2x2ILj256ELj16ELj512ELj137EiidEEv20rocsparse_direction_T4_S2_PKS2_S4_NS_24const_host_device_scalarIT5_EEPKT3_S4_PKS6_SA_S4_SC_S7_SA_S4_SC_SA_PS2_PS6_21rocsparse_index_base_SF_SF_SF_bbb,comdat
.Lfunc_end31:
	.size	_ZN9rocsparseL30bsrgemm_fill_block_per_row_2x2ILj256ELj16ELj512ELj137EiidEEv20rocsparse_direction_T4_S2_PKS2_S4_NS_24const_host_device_scalarIT5_EEPKT3_S4_PKS6_SA_S4_SC_S7_SA_S4_SC_SA_PS2_PS6_21rocsparse_index_base_SF_SF_SF_bbb, .Lfunc_end31-_ZN9rocsparseL30bsrgemm_fill_block_per_row_2x2ILj256ELj16ELj512ELj137EiidEEv20rocsparse_direction_T4_S2_PKS2_S4_NS_24const_host_device_scalarIT5_EEPKT3_S4_PKS6_SA_S4_SC_S7_SA_S4_SC_SA_PS2_PS6_21rocsparse_index_base_SF_SF_SF_bbb
                                        ; -- End function
	.section	.AMDGPU.csdata,"",@progbits
; Kernel info:
; codeLenInByte = 4196
; NumSgprs: 62
; NumVgprs: 38
; NumAgprs: 0
; TotalNumVgprs: 38
; ScratchSize: 0
; MemoryBound: 0
; FloatMode: 240
; IeeeMode: 1
; LDSByteSize: 0 bytes/workgroup (compile time only)
; SGPRBlocks: 7
; VGPRBlocks: 4
; NumSGPRsForWavesPerEU: 62
; NumVGPRsForWavesPerEU: 38
; AccumOffset: 40
; Occupancy: 8
; WaveLimiterHint : 1
; COMPUTE_PGM_RSRC2:SCRATCH_EN: 0
; COMPUTE_PGM_RSRC2:USER_SGPR: 6
; COMPUTE_PGM_RSRC2:TRAP_HANDLER: 0
; COMPUTE_PGM_RSRC2:TGID_X_EN: 1
; COMPUTE_PGM_RSRC2:TGID_Y_EN: 0
; COMPUTE_PGM_RSRC2:TGID_Z_EN: 0
; COMPUTE_PGM_RSRC2:TIDIG_COMP_CNT: 0
; COMPUTE_PGM_RSRC3_GFX90A:ACCUM_OFFSET: 9
; COMPUTE_PGM_RSRC3_GFX90A:TG_SPLIT: 0
	.section	.text._ZN9rocsparseL38bsrgemm_block_per_row_atomic_multipassILj256ELj256ELj2EiidEEv20rocsparse_direction_T3_S2_PKS2_S4_NS_24const_host_device_scalarIT4_EEPKT2_S4_PKS6_SA_S4_SC_S7_SA_S4_SC_SA_PS2_PS6_PS8_21rocsparse_index_base_SG_SG_SG_bbb,"axG",@progbits,_ZN9rocsparseL38bsrgemm_block_per_row_atomic_multipassILj256ELj256ELj2EiidEEv20rocsparse_direction_T3_S2_PKS2_S4_NS_24const_host_device_scalarIT4_EEPKT2_S4_PKS6_SA_S4_SC_S7_SA_S4_SC_SA_PS2_PS6_PS8_21rocsparse_index_base_SG_SG_SG_bbb,comdat
	.globl	_ZN9rocsparseL38bsrgemm_block_per_row_atomic_multipassILj256ELj256ELj2EiidEEv20rocsparse_direction_T3_S2_PKS2_S4_NS_24const_host_device_scalarIT4_EEPKT2_S4_PKS6_SA_S4_SC_S7_SA_S4_SC_SA_PS2_PS6_PS8_21rocsparse_index_base_SG_SG_SG_bbb ; -- Begin function _ZN9rocsparseL38bsrgemm_block_per_row_atomic_multipassILj256ELj256ELj2EiidEEv20rocsparse_direction_T3_S2_PKS2_S4_NS_24const_host_device_scalarIT4_EEPKT2_S4_PKS6_SA_S4_SC_S7_SA_S4_SC_SA_PS2_PS6_PS8_21rocsparse_index_base_SG_SG_SG_bbb
	.p2align	8
	.type	_ZN9rocsparseL38bsrgemm_block_per_row_atomic_multipassILj256ELj256ELj2EiidEEv20rocsparse_direction_T3_S2_PKS2_S4_NS_24const_host_device_scalarIT4_EEPKT2_S4_PKS6_SA_S4_SC_S7_SA_S4_SC_SA_PS2_PS6_PS8_21rocsparse_index_base_SG_SG_SG_bbb,@function
_ZN9rocsparseL38bsrgemm_block_per_row_atomic_multipassILj256ELj256ELj2EiidEEv20rocsparse_direction_T3_S2_PKS2_S4_NS_24const_host_device_scalarIT4_EEPKT2_S4_PKS6_SA_S4_SC_S7_SA_S4_SC_SA_PS2_PS6_PS8_21rocsparse_index_base_SG_SG_SG_bbb: ; @_ZN9rocsparseL38bsrgemm_block_per_row_atomic_multipassILj256ELj256ELj2EiidEEv20rocsparse_direction_T3_S2_PKS2_S4_NS_24const_host_device_scalarIT4_EEPKT2_S4_PKS6_SA_S4_SC_S7_SA_S4_SC_SA_PS2_PS6_PS8_21rocsparse_index_base_SG_SG_SG_bbb
; %bb.0:
	s_load_dword s7, s[4:5], 0xa8
	s_load_dwordx4 s[52:55], s[4:5], 0x98
	s_load_dwordx2 s[8:9], s[4:5], 0x20
	s_waitcnt lgkmcnt(0)
	s_and_b32 s0, 1, s7
	s_bitcmp1_b32 s7, 16
	s_cselect_b64 s[2:3], -1, 0
	s_cmp_eq_u32 s0, 1
	s_load_dwordx2 s[0:1], s[4:5], 0x58
	s_cselect_b64 s[26:27], -1, 0
	s_and_b64 s[10:11], s[26:27], exec
	s_cselect_b32 s11, s9, 0
	s_cselect_b32 s10, s8, 0
	s_xor_b64 s[12:13], s[26:27], -1
	s_or_b64 s[12:13], s[12:13], s[2:3]
	s_and_b64 vcc, exec, s[12:13]
	v_pk_mov_b32 v[2:3], s[10:11], s[10:11] op_sel:[0,1]
	s_cbranch_vccnz .LBB32_2
; %bb.1:
	v_pk_mov_b32 v[2:3], s[8:9], s[8:9] op_sel:[0,1]
	flat_load_dwordx2 v[2:3], v[2:3]
.LBB32_2:
	s_bitcmp1_b32 s7, 8
	s_load_dwordx2 s[8:9], s[4:5], 0x18
	s_cselect_b64 s[34:35], -1, 0
	s_and_b64 s[10:11], s[34:35], exec
	s_waitcnt lgkmcnt(0)
	s_cselect_b32 s11, s1, 0
	s_cselect_b32 s10, s0, 0
	s_xor_b64 s[12:13], s[34:35], -1
	s_or_b64 s[2:3], s[12:13], s[2:3]
	s_and_b64 vcc, exec, s[2:3]
	v_pk_mov_b32 v[4:5], s[10:11], s[10:11] op_sel:[0,1]
	s_cbranch_vccnz .LBB32_4
; %bb.3:
	v_pk_mov_b32 v[4:5], s[0:1], s[0:1] op_sel:[0,1]
	flat_load_dwordx2 v[4:5], v[4:5]
.LBB32_4:
	s_load_dwordx2 s[2:3], s[4:5], 0x28
	s_cmp_eq_u64 s[8:9], 0
	s_cbranch_scc1 .LBB32_6
; %bb.5:
	s_load_dwordx2 s[0:1], s[4:5], 0x10
	s_waitcnt lgkmcnt(0)
	s_load_dword s0, s[0:1], 0x0
	s_mov_b32 s1, 0
	s_waitcnt lgkmcnt(0)
	s_add_i32 s0, s0, s6
	s_lshl_b64 s[0:1], s[0:1], 2
	s_add_u32 s0, s8, s0
	s_addc_u32 s1, s9, s1
	s_load_dword s6, s[0:1], 0x0
.LBB32_6:
	v_cndmask_b32_e64 v1, 0, 1, s[26:27]
	s_mov_b32 s33, 0
	v_cmp_ne_u32_e64 s[0:1], 1, v1
	s_andn2_b64 vcc, exec, s[26:27]
	s_mov_b32 s86, 0
	s_cbranch_vccz .LBB32_9
; %bb.7:
	s_and_b64 vcc, exec, s[0:1]
	s_cbranch_vccz .LBB32_10
.LBB32_8:
	s_load_dwordx4 s[56:59], s[4:5], 0x0
	s_waitcnt lgkmcnt(0)
	s_cmp_lt_i32 s57, 1
	s_cbranch_scc0 .LBB32_11
	s_branch .LBB32_97
.LBB32_9:
	s_waitcnt lgkmcnt(0)
	s_ashr_i32 s7, s6, 31
	s_lshl_b64 s[8:9], s[6:7], 2
	s_add_u32 s8, s2, s8
	s_addc_u32 s9, s3, s9
	s_load_dword s7, s[8:9], 0x0
	s_waitcnt lgkmcnt(0)
	s_sub_i32 s86, s7, s52
	s_and_b64 vcc, exec, s[0:1]
	s_cbranch_vccnz .LBB32_8
.LBB32_10:
	s_waitcnt lgkmcnt(0)
	s_ashr_i32 s7, s6, 31
	s_lshl_b64 s[0:1], s[6:7], 2
	s_add_u32 s0, s2, s0
	s_addc_u32 s1, s3, s1
	s_load_dword s0, s[0:1], 0x4
	s_waitcnt lgkmcnt(0)
	s_sub_i32 s33, s0, s52
	s_load_dwordx4 s[56:59], s[4:5], 0x0
	s_waitcnt lgkmcnt(0)
	s_cmp_lt_i32 s57, 1
	s_cbranch_scc1 .LBB32_97
.LBB32_11:
	s_load_dwordx2 s[64:65], s[4:5], 0x90
	s_load_dwordx4 s[60:63], s[4:5], 0x80
	s_load_dwordx8 s[36:43], s[4:5], 0x60
	s_load_dwordx2 s[66:67], s[4:5], 0x50
	s_load_dwordx8 s[44:51], s[4:5], 0x30
	s_ashr_i32 s7, s6, 31
	s_lshl_b64 s[6:7], s[6:7], 2
	s_waitcnt lgkmcnt(0)
	s_add_u32 s0, s42, s6
	s_addc_u32 s1, s43, s7
	s_load_dword s0, s[0:1], 0x0
	v_and_b32_e32 v1, 3, v0
	v_and_b32_e32 v6, 1, v0
	v_bfe_u32 v8, v0, 1, 1
	v_lshrrev_b32_e32 v7, 2, v0
	s_waitcnt lgkmcnt(0)
	s_sub_i32 s30, s0, s54
	s_cmp_lt_i32 s86, s33
	s_cselect_b64 s[28:29], -1, 0
	s_cmp_eq_u32 s56, 0
	s_cselect_b64 vcc, -1, 0
	s_cmp_lg_u32 s56, 0
	s_cselect_b64 s[42:43], -1, 0
	s_cmp_gt_i32 s58, 0
	s_cselect_b64 s[68:69], -1, 0
	s_add_u32 s36, s36, s6
	v_max_i32_e32 v9, v6, v8
	s_addc_u32 s37, s37, s7
	v_cmp_eq_u32_e64 s[6:7], 3, v1
	v_lshlrev_b32_e32 v1, 2, v0
	s_movk_i32 s0, 0x100
	v_cmp_gt_i32_e64 s[4:5], s58, v9
	v_lshlrev_b32_e32 v9, 3, v0
	s_movk_i32 s31, 0x2000
	v_or_b32_e32 v25, 0x2800, v1
	v_add_u32_e32 v27, 0x27f8, v1
	v_add_u32_e32 v28, 0x27f0, v1
	;; [unrolled: 1-line block ×6, first 2 shown]
	s_movk_i32 s24, 0x7f
	v_add_u32_e32 v33, 0x2600, v1
	v_lshlrev_b32_e32 v1, 5, v7
	v_lshlrev_b32_e32 v14, 3, v8
	v_cmp_gt_u32_e64 s[0:1], s0, v0
	v_cmp_eq_u32_e64 s[2:3], 0, v0
	v_and_b32_e32 v13, 2, v0
	v_add_co_u32_e64 v10, s[8:9], -1, v0
	v_cmp_ne_u32_e64 s[10:11], 0, v0
	v_cmp_lt_u32_e64 s[12:13], 1, v0
	v_cmp_lt_u32_e64 s[14:15], 3, v0
	;; [unrolled: 1-line block ×7, first 2 shown]
	s_and_b64 s[26:27], s[26:27], s[28:29]
	v_or_b32_e32 v34, 0xffffff00, v0
	v_or3_b32 v35, v1, v14, s31
	v_and_b32_e32 v1, 0x7f0, v9
	v_and_b32_e32 v0, 0xfc, v0
	v_mov_b32_e32 v12, 0x2800
	s_add_u32 s56, s48, 4
	s_mul_i32 s87, s58, s58
	v_or_b32_e32 v36, 0x2000, v1
	v_or3_b32 v1, v0, v13, v6
	v_or_b32_e32 v38, 0x2800, v0
	v_mov_b32_e32 v0, 0
	v_cndmask_b32_e64 v14, 0, 1, s[26:27]
	s_mov_b32 s91, 0
	v_or_b32_e32 v11, 0x2000, v9
	v_subrev_u32_e32 v24, s55, v7
	v_lshl_add_u32 v26, v10, 2, v12
	v_cndmask_b32_e32 v10, v6, v8, vcc
	v_cndmask_b32_e32 v12, v8, v6, vcc
	s_addc_u32 s59, s49, 0
	s_lshl_b32 s88, s87, 6
	v_lshlrev_b32_e32 v37, 3, v1
	v_mov_b32_e32 v41, 0x100
	v_mov_b32_e32 v39, s30
	;; [unrolled: 1-line block ×3, first 2 shown]
	s_movk_i32 s89, 0x2ff
	v_cmp_ne_u32_e64 s[26:27], 1, v14
	v_mov_b32_e32 v40, 1
	s_movk_i32 s90, 0xbf
	s_branch .LBB32_13
.LBB32_12:                              ;   in Loop: Header=BB32_13 Depth=1
	s_or_b64 exec, exec, s[28:29]
	s_barrier
	ds_read_b32 v14, v0 offset:11264
	v_add_u32_e32 v39, v16, v39
	s_waitcnt lgkmcnt(0)
	s_barrier
	v_cmp_le_i32_e32 vcc, s57, v14
	v_readfirstlane_b32 s91, v14
	v_add_u32_e32 v41, 0x100, v14
	s_cbranch_vccnz .LBB32_97
.LBB32_13:                              ; =>This Loop Header: Depth=1
                                        ;     Child Loop BB32_16 Depth 2
                                        ;     Child Loop BB32_22 Depth 2
                                        ;       Child Loop BB32_35 Depth 3
                                        ;         Child Loop BB32_44 Depth 4
                                        ;         Child Loop BB32_49 Depth 4
                                        ;     Child Loop BB32_60 Depth 2
                                        ;     Child Loop BB32_69 Depth 2
	;; [unrolled: 1-line block ×3, first 2 shown]
	s_and_saveexec_b64 s[28:29], s[0:1]
	s_cbranch_execz .LBB32_15
; %bb.14:                               ;   in Loop: Header=BB32_13 Depth=1
	ds_write_b32 v25, v0
.LBB32_15:                              ;   in Loop: Header=BB32_13 Depth=1
	s_or_b64 exec, exec, s[28:29]
	s_mov_b64 s[28:29], 0
	v_mov_b32_e32 v14, v9
	v_mov_b32_e32 v15, v34
.LBB32_16:                              ;   Parent Loop BB32_13 Depth=1
                                        ; =>  This Inner Loop Header: Depth=2
	v_add_u32_e32 v15, 0x100, v15
	v_cmp_lt_u32_e32 vcc, s89, v15
	ds_write_b64 v14, v[0:1]
	s_or_b64 s[28:29], vcc, s[28:29]
	v_add_u32_e32 v14, 0x800, v14
	s_andn2_b64 exec, exec, s[28:29]
	s_cbranch_execnz .LBB32_16
; %bb.17:                               ;   in Loop: Header=BB32_13 Depth=1
	s_or_b64 exec, exec, s[28:29]
	s_and_saveexec_b64 s[28:29], s[2:3]
	s_cbranch_execz .LBB32_19
; %bb.18:                               ;   in Loop: Header=BB32_13 Depth=1
	v_mov_b32_e32 v14, s57
	ds_write_b32 v0, v14 offset:11264
.LBB32_19:                              ;   in Loop: Header=BB32_13 Depth=1
	s_or_b64 exec, exec, s[28:29]
	s_and_b64 vcc, exec, s[26:27]
	v_mov_b32_e32 v42, s57
	s_waitcnt lgkmcnt(0)
	s_barrier
	s_cbranch_vccnz .LBB32_55
; %bb.20:                               ;   in Loop: Header=BB32_13 Depth=1
	s_cmp_lg_u32 s91, 0
	s_cselect_b64 s[70:71], -1, 0
	v_mov_b32_e32 v42, s57
	s_mov_b32 s92, s86
	s_branch .LBB32_22
.LBB32_21:                              ;   in Loop: Header=BB32_22 Depth=2
	s_or_b64 exec, exec, s[30:31]
	s_add_i32 s92, s92, 64
	s_cmp_lt_i32 s92, s33
	s_cbranch_scc0 .LBB32_55
.LBB32_22:                              ;   Parent Loop BB32_13 Depth=1
                                        ; =>  This Loop Header: Depth=2
                                        ;       Child Loop BB32_35 Depth 3
                                        ;         Child Loop BB32_44 Depth 4
                                        ;         Child Loop BB32_49 Depth 4
	v_add_u32_e32 v14, s92, v7
	v_cmp_gt_i32_e64 s[28:29], s33, v14
	s_barrier
	s_and_saveexec_b64 s[30:31], s[28:29]
	s_cbranch_execz .LBB32_26
; %bb.23:                               ;   in Loop: Header=BB32_22 Depth=2
	v_pk_mov_b32 v[16:17], 0, 0
	s_and_saveexec_b64 s[72:73], s[4:5]
	s_cbranch_execz .LBB32_25
; %bb.24:                               ;   in Loop: Header=BB32_22 Depth=2
	v_mad_u64_u32 v[16:17], s[74:75], v14, s58, v[8:9]
	v_mad_u64_u32 v[16:17], s[74:75], v16, s58, v[6:7]
	v_ashrrev_i32_e32 v17, 31, v16
	v_lshlrev_b64 v[16:17], 3, v[16:17]
	v_mov_b32_e32 v15, s47
	v_add_co_u32_e32 v16, vcc, s46, v16
	v_addc_co_u32_e32 v17, vcc, v15, v17, vcc
	global_load_dwordx2 v[16:17], v[16:17], off
.LBB32_25:                              ;   in Loop: Header=BB32_22 Depth=2
	s_or_b64 exec, exec, s[72:73]
	s_waitcnt vmcnt(0)
	ds_write_b64 v11, v[16:17]
.LBB32_26:                              ;   in Loop: Header=BB32_22 Depth=2
	s_or_b64 exec, exec, s[30:31]
	v_mov_b32_e32 v16, 0
	s_waitcnt lgkmcnt(0)
	s_barrier
	s_and_saveexec_b64 s[72:73], s[28:29]
	s_cbranch_execz .LBB32_52
; %bb.27:                               ;   in Loop: Header=BB32_22 Depth=2
	v_ashrrev_i32_e32 v15, 31, v14
	v_lshlrev_b64 v[16:17], 2, v[14:15]
	v_mov_b32_e32 v15, s45
	v_add_co_u32_e32 v18, vcc, s44, v16
	v_addc_co_u32_e32 v19, vcc, v15, v17, vcc
	global_load_dword v15, v[18:19], off
	s_and_b64 vcc, exec, s[70:71]
	s_waitcnt vmcnt(0)
	v_subrev_u32_e32 v18, s52, v15
	v_ashrrev_i32_e32 v19, 31, v18
	s_cbranch_vccz .LBB32_54
; %bb.28:                               ;   in Loop: Header=BB32_22 Depth=2
	v_mov_b32_e32 v15, s65
	v_add_co_u32_e32 v16, vcc, s64, v16
	v_addc_co_u32_e32 v17, vcc, v15, v17, vcc
	global_load_dword v16, v[16:17], off
	s_cbranch_execnz .LBB32_30
.LBB32_29:                              ;   in Loop: Header=BB32_22 Depth=2
	s_waitcnt vmcnt(0)
	v_lshlrev_b64 v[16:17], 2, v[18:19]
	v_mov_b32_e32 v15, s49
	v_add_co_u32_e32 v16, vcc, s48, v16
	v_addc_co_u32_e32 v17, vcc, v15, v17, vcc
	global_load_dword v15, v[16:17], off
	s_waitcnt vmcnt(0)
	v_subrev_u32_e32 v16, s53, v15
.LBB32_30:                              ;   in Loop: Header=BB32_22 Depth=2
	v_lshlrev_b64 v[18:19], 2, v[18:19]
	v_mov_b32_e32 v15, s59
	v_add_co_u32_e32 v18, vcc, s56, v18
	v_addc_co_u32_e32 v19, vcc, v15, v19, vcc
	global_load_dword v15, v[18:19], off
	s_waitcnt vmcnt(0)
	v_subrev_u32_e32 v15, s53, v15
	v_cmp_lt_i32_e32 vcc, v16, v15
	s_and_saveexec_b64 s[74:75], vcc
	s_cbranch_execz .LBB32_51
; %bb.31:                               ;   in Loop: Header=BB32_22 Depth=2
	v_mad_u64_u32 v[18:19], s[30:31], s58, v16, v[6:7]
	v_mul_lo_u32 v43, s58, v18
	v_mad_u64_u32 v[18:19], s[30:31], s87, v16, v[6:7]
	s_mov_b64 s[76:77], 0
	v_mov_b32_e32 v19, v16
	s_branch .LBB32_35
.LBB32_32:                              ;   in Loop: Header=BB32_35 Depth=3
	v_or3_b32 v17, v17, v13, v6
	v_lshlrev_b32_e32 v17, 3, v17
	v_mul_f64 v[20:21], v[2:3], v[20:21]
	ds_add_f64 v17, v[20:21]
.LBB32_33:                              ;   in Loop: Header=BB32_35 Depth=3
	s_or_b64 exec, exec, s[82:83]
	s_or_b64 s[78:79], s[78:79], exec
.LBB32_34:                              ;   in Loop: Header=BB32_35 Depth=3
	s_or_b64 exec, exec, s[80:81]
	v_add_u32_e32 v16, 1, v16
	v_cmp_ge_i32_e32 vcc, v16, v15
	s_xor_b64 s[30:31], s[78:79], -1
	s_or_b64 s[30:31], s[30:31], vcc
	s_and_b64 s[30:31], exec, s[30:31]
	v_add_u32_e32 v43, s87, v43
	s_or_b64 s[76:77], s[30:31], s[76:77]
	v_add_u32_e32 v18, s87, v18
	s_andn2_b64 exec, exec, s[76:77]
	s_cbranch_execz .LBB32_50
.LBB32_35:                              ;   Parent Loop BB32_13 Depth=1
                                        ;     Parent Loop BB32_22 Depth=2
                                        ; =>    This Loop Header: Depth=3
                                        ;         Child Loop BB32_44 Depth 4
                                        ;         Child Loop BB32_49 Depth 4
	v_ashrrev_i32_e32 v17, 31, v16
	v_lshlrev_b64 v[20:21], 2, v[16:17]
	v_mov_b32_e32 v17, s51
	v_add_co_u32_e32 v20, vcc, s50, v20
	v_addc_co_u32_e32 v21, vcc, v17, v21, vcc
	global_load_dword v17, v[20:21], off
                                        ; implicit-def: $sgpr78_sgpr79
	s_waitcnt vmcnt(0)
	v_subrev_u32_e32 v17, s53, v17
	v_cmp_gt_i32_e64 s[30:31], s91, v17
	v_cmp_ge_i32_e32 vcc, v17, v41
	s_or_b64 s[30:31], s[30:31], vcc
	s_and_saveexec_b64 s[80:81], s[30:31]
	s_xor_b64 s[30:31], exec, s[80:81]
	s_cbranch_execz .LBB32_39
; %bb.36:                               ;   in Loop: Header=BB32_35 Depth=3
	s_mov_b64 s[78:79], -1
	s_and_saveexec_b64 s[80:81], vcc
; %bb.37:                               ;   in Loop: Header=BB32_35 Depth=3
	v_min_i32_e32 v42, v17, v42
	s_xor_b64 s[78:79], exec, -1
	v_mov_b32_e32 v19, v16
; %bb.38:                               ;   in Loop: Header=BB32_35 Depth=3
	s_or_b64 exec, exec, s[80:81]
	s_and_b64 s[78:79], s[78:79], exec
                                        ; implicit-def: $vgpr17
.LBB32_39:                              ;   in Loop: Header=BB32_35 Depth=3
	s_andn2_saveexec_b64 s[80:81], s[30:31]
	s_cbranch_execz .LBB32_34
; %bb.40:                               ;   in Loop: Header=BB32_35 Depth=3
	v_subrev_u32_e32 v17, s91, v17
	v_lshlrev_b32_e32 v17, 2, v17
	ds_write_b32 v17, v40 offset:10240
	s_and_saveexec_b64 s[82:83], s[4:5]
	s_cbranch_execz .LBB32_33
; %bb.41:                               ;   in Loop: Header=BB32_35 Depth=3
	v_cndmask_b32_e64 v20, 0, 1, s[68:69]
	s_andn2_b64 vcc, exec, s[42:43]
	v_cmp_ne_u32_e64 s[30:31], 1, v20
	s_cbranch_vccnz .LBB32_46
; %bb.42:                               ;   in Loop: Header=BB32_35 Depth=3
	v_pk_mov_b32 v[20:21], 0, 0
	s_and_b64 vcc, exec, s[30:31]
	s_cbranch_vccnz .LBB32_45
; %bb.43:                               ;   in Loop: Header=BB32_35 Depth=3
	v_mov_b32_e32 v22, v43
	s_mov_b32 s84, s58
	v_mov_b32_e32 v44, v35
.LBB32_44:                              ;   Parent Loop BB32_13 Depth=1
                                        ;     Parent Loop BB32_22 Depth=2
                                        ;       Parent Loop BB32_35 Depth=3
                                        ; =>      This Inner Loop Header: Depth=4
	v_ashrrev_i32_e32 v23, 31, v22
	v_lshlrev_b64 v[46:47], 3, v[22:23]
	v_mov_b32_e32 v45, s67
	v_add_co_u32_e32 v46, vcc, s66, v46
	v_addc_co_u32_e32 v47, vcc, v45, v47, vcc
	global_load_dwordx2 v[46:47], v[46:47], off
	ds_read_b64 v[48:49], v44
	s_add_i32 s84, s84, -1
	v_add_u32_e32 v44, 16, v44
	v_add_u32_e32 v22, 1, v22
	s_cmp_lg_u32 s84, 0
	s_waitcnt vmcnt(0) lgkmcnt(0)
	v_fmac_f64_e32 v[20:21], v[48:49], v[46:47]
	s_cbranch_scc1 .LBB32_44
.LBB32_45:                              ;   in Loop: Header=BB32_35 Depth=3
	s_cbranch_execnz .LBB32_32
	s_branch .LBB32_47
.LBB32_46:                              ;   in Loop: Header=BB32_35 Depth=3
                                        ; implicit-def: $vgpr20_vgpr21
.LBB32_47:                              ;   in Loop: Header=BB32_35 Depth=3
	v_pk_mov_b32 v[20:21], 0, 0
	s_and_b64 vcc, exec, s[30:31]
	s_cbranch_vccnz .LBB32_32
; %bb.48:                               ;   in Loop: Header=BB32_35 Depth=3
	v_mov_b32_e32 v44, v36
	v_mov_b32_e32 v22, v18
	s_mov_b32 s30, s58
.LBB32_49:                              ;   Parent Loop BB32_13 Depth=1
                                        ;     Parent Loop BB32_22 Depth=2
                                        ;       Parent Loop BB32_35 Depth=3
                                        ; =>      This Inner Loop Header: Depth=4
	v_ashrrev_i32_e32 v23, 31, v22
	v_lshlrev_b64 v[46:47], 3, v[22:23]
	v_mov_b32_e32 v45, s67
	v_add_co_u32_e32 v46, vcc, s66, v46
	v_addc_co_u32_e32 v47, vcc, v45, v47, vcc
	global_load_dwordx2 v[46:47], v[46:47], off
	ds_read_b64 v[48:49], v44
	s_add_i32 s30, s30, -1
	v_add_u32_e32 v44, 8, v44
	v_add_u32_e32 v22, s58, v22
	s_cmp_eq_u32 s30, 0
	s_waitcnt vmcnt(0) lgkmcnt(0)
	v_fmac_f64_e32 v[20:21], v[48:49], v[46:47]
	s_cbranch_scc0 .LBB32_49
	s_branch .LBB32_32
.LBB32_50:                              ;   in Loop: Header=BB32_22 Depth=2
	s_or_b64 exec, exec, s[76:77]
	v_mov_b32_e32 v16, v19
.LBB32_51:                              ;   in Loop: Header=BB32_22 Depth=2
	s_or_b64 exec, exec, s[74:75]
.LBB32_52:                              ;   in Loop: Header=BB32_22 Depth=2
	s_or_b64 exec, exec, s[72:73]
	s_waitcnt lgkmcnt(0)
	s_barrier
	s_and_saveexec_b64 s[30:31], s[28:29]
	s_cbranch_execz .LBB32_21
; %bb.53:                               ;   in Loop: Header=BB32_22 Depth=2
	v_ashrrev_i32_e32 v15, 31, v14
	v_lshlrev_b64 v[14:15], 2, v[14:15]
	v_mov_b32_e32 v17, s65
	v_add_co_u32_e32 v14, vcc, s64, v14
	v_addc_co_u32_e32 v15, vcc, v17, v15, vcc
	global_store_dword v[14:15], v16, off
	s_branch .LBB32_21
.LBB32_54:                              ;   in Loop: Header=BB32_22 Depth=2
                                        ; implicit-def: $vgpr16
	s_branch .LBB32_29
.LBB32_55:                              ;   in Loop: Header=BB32_13 Depth=1
	s_andn2_b64 vcc, exec, s[34:35]
	s_cbranch_vccnz .LBB32_67
; %bb.56:                               ;   in Loop: Header=BB32_13 Depth=1
	s_load_dwordx2 s[28:29], s[36:37], 0x0
	s_waitcnt lgkmcnt(0)
	s_sub_i32 s76, s29, s55
	v_add_u32_e32 v14, s28, v24
	v_cmp_gt_i32_e32 vcc, s76, v14
	s_and_saveexec_b64 s[70:71], vcc
	s_cbranch_execz .LBB32_66
; %bb.57:                               ;   in Loop: Header=BB32_13 Depth=1
	v_mad_u64_u32 v[16:17], s[28:29], s58, v14, v[10:11]
	v_mad_u64_u32 v[16:17], s[28:29], s58, v16, v[12:13]
	s_mov_b64 s[72:73], 0
	s_branch .LBB32_60
.LBB32_58:                              ;   in Loop: Header=BB32_60 Depth=2
	s_or_b64 exec, exec, s[74:75]
	s_or_b64 s[28:29], s[28:29], exec
.LBB32_59:                              ;   in Loop: Header=BB32_60 Depth=2
	s_or_b64 exec, exec, s[30:31]
	v_add_u32_e32 v14, 64, v14
	v_cmp_le_i32_e32 vcc, s76, v14
	s_xor_b64 s[28:29], s[28:29], -1
	s_or_b64 s[28:29], vcc, s[28:29]
	s_and_b64 s[28:29], exec, s[28:29]
	s_or_b64 s[72:73], s[28:29], s[72:73]
	v_add_u32_e32 v16, s88, v16
	s_andn2_b64 exec, exec, s[72:73]
	s_cbranch_execz .LBB32_65
.LBB32_60:                              ;   Parent Loop BB32_13 Depth=1
                                        ; =>  This Inner Loop Header: Depth=2
	v_ashrrev_i32_e32 v15, 31, v14
	v_lshlrev_b64 v[18:19], 2, v[14:15]
	v_mov_b32_e32 v15, s39
	v_add_co_u32_e32 v18, vcc, s38, v18
	v_addc_co_u32_e32 v19, vcc, v15, v19, vcc
	global_load_dword v15, v[18:19], off
	s_waitcnt vmcnt(0)
	v_subrev_u32_e32 v15, s55, v15
	v_cmp_gt_i32_e64 s[28:29], s91, v15
	v_cmp_ge_i32_e64 s[30:31], v15, v41
	v_cmp_lt_i32_e32 vcc, v15, v41
	s_or_b64 s[30:31], s[28:29], s[30:31]
                                        ; implicit-def: $sgpr28_sgpr29
	s_and_saveexec_b64 s[74:75], s[30:31]
	s_xor_b64 s[30:31], exec, s[74:75]
; %bb.61:                               ;   in Loop: Header=BB32_60 Depth=2
	v_min_i32_e32 v15, v15, v42
	v_cndmask_b32_e32 v42, v15, v42, vcc
	s_and_b64 s[28:29], vcc, exec
                                        ; implicit-def: $vgpr15
; %bb.62:                               ;   in Loop: Header=BB32_60 Depth=2
	s_andn2_saveexec_b64 s[30:31], s[30:31]
	s_cbranch_execz .LBB32_59
; %bb.63:                               ;   in Loop: Header=BB32_60 Depth=2
	v_subrev_u32_e32 v15, s91, v15
	v_lshlrev_b32_e32 v15, 2, v15
	ds_write_b32 v15, v40 offset:10240
	s_and_saveexec_b64 s[74:75], s[4:5]
	s_cbranch_execz .LBB32_58
; %bb.64:                               ;   in Loop: Header=BB32_60 Depth=2
	v_ashrrev_i32_e32 v17, 31, v16
	v_lshlrev_b64 v[18:19], 3, v[16:17]
	v_mov_b32_e32 v17, s41
	v_add_co_u32_e32 v18, vcc, s40, v18
	v_addc_co_u32_e32 v19, vcc, v17, v19, vcc
	global_load_dwordx2 v[18:19], v[18:19], off
	v_or3_b32 v15, v15, v13, v6
	v_lshlrev_b32_e32 v15, 3, v15
	s_waitcnt vmcnt(0)
	v_mul_f64 v[18:19], v[4:5], v[18:19]
	ds_add_f64 v15, v[18:19]
	s_branch .LBB32_58
.LBB32_65:                              ;   in Loop: Header=BB32_13 Depth=1
	s_or_b64 exec, exec, s[72:73]
.LBB32_66:                              ;   in Loop: Header=BB32_13 Depth=1
	s_or_b64 exec, exec, s[70:71]
.LBB32_67:                              ;   in Loop: Header=BB32_13 Depth=1
	s_and_saveexec_b64 s[28:29], s[6:7]
	s_cbranch_execz .LBB32_72
; %bb.68:                               ;   in Loop: Header=BB32_13 Depth=1
	s_mov_b64 s[30:31], exec
	s_brev_b32 s70, -2
.LBB32_69:                              ;   Parent Loop BB32_13 Depth=1
                                        ; =>  This Inner Loop Header: Depth=2
	s_ff1_i32_b64 s71, s[30:31]
	v_readlane_b32 s74, v42, s71
	s_lshl_b64 s[72:73], 1, s71
	s_min_i32 s70, s70, s74
	s_andn2_b64 s[30:31], s[30:31], s[72:73]
	s_cmp_lg_u64 s[30:31], 0
	s_cbranch_scc1 .LBB32_69
; %bb.70:                               ;   in Loop: Header=BB32_13 Depth=1
	v_mbcnt_lo_u32_b32 v14, exec_lo, 0
	v_mbcnt_hi_u32_b32 v14, exec_hi, v14
	v_cmp_eq_u32_e32 vcc, 0, v14
	s_and_saveexec_b64 s[30:31], vcc
	s_xor_b64 s[30:31], exec, s[30:31]
	s_cbranch_execz .LBB32_72
; %bb.71:                               ;   in Loop: Header=BB32_13 Depth=1
	v_mov_b32_e32 v14, s70
	ds_min_i32 v0, v14 offset:11264
.LBB32_72:                              ;   in Loop: Header=BB32_13 Depth=1
	s_or_b64 exec, exec, s[28:29]
	s_waitcnt lgkmcnt(0)
	s_barrier
	ds_read_b32 v14, v25
	s_waitcnt lgkmcnt(0)
	s_barrier
	s_and_saveexec_b64 s[28:29], s[10:11]
	s_cbranch_execz .LBB32_74
; %bb.73:                               ;   in Loop: Header=BB32_13 Depth=1
	ds_read_b32 v15, v26
	s_waitcnt lgkmcnt(0)
	v_add_u32_e32 v14, v15, v14
.LBB32_74:                              ;   in Loop: Header=BB32_13 Depth=1
	s_or_b64 exec, exec, s[28:29]
	s_barrier
	ds_write_b32 v25, v14
	s_waitcnt lgkmcnt(0)
	s_barrier
	s_and_saveexec_b64 s[28:29], s[12:13]
	s_cbranch_execz .LBB32_76
; %bb.75:                               ;   in Loop: Header=BB32_13 Depth=1
	ds_read_b32 v15, v27
	s_waitcnt lgkmcnt(0)
	v_add_u32_e32 v14, v15, v14
.LBB32_76:                              ;   in Loop: Header=BB32_13 Depth=1
	s_or_b64 exec, exec, s[28:29]
	s_barrier
	ds_write_b32 v25, v14
	;; [unrolled: 12-line block ×8, first 2 shown]
	s_waitcnt lgkmcnt(0)
	s_barrier
	ds_read_b32 v16, v0 offset:11260
	v_mov_b32_e32 v15, 0
	s_and_saveexec_b64 s[28:29], s[8:9]
	s_cbranch_execz .LBB32_90
; %bb.89:                               ;   in Loop: Header=BB32_13 Depth=1
	ds_read_b32 v15, v26
.LBB32_90:                              ;   in Loop: Header=BB32_13 Depth=1
	s_or_b64 exec, exec, s[28:29]
	s_waitcnt lgkmcnt(0)
	v_cmp_eq_u32_e32 vcc, v14, v15
	s_and_b64 s[30:31], s[8:9], vcc
	s_barrier
	s_and_saveexec_b64 s[28:29], s[30:31]
	s_cbranch_execz .LBB32_92
; %bb.91:                               ;   in Loop: Header=BB32_13 Depth=1
	ds_write_b32 v25, v0
.LBB32_92:                              ;   in Loop: Header=BB32_13 Depth=1
	s_or_b64 exec, exec, s[28:29]
	v_add_u32_e32 v17, -1, v39
	s_add_i32 s70, s54, s91
	s_mov_b64 s[28:29], 0
	v_mov_b32_e32 v18, v38
	v_mov_b32_e32 v19, v37
	;; [unrolled: 1-line block ×3, first 2 shown]
	s_waitcnt lgkmcnt(0)
	s_barrier
	s_branch .LBB32_94
.LBB32_93:                              ;   in Loop: Header=BB32_94 Depth=2
	s_or_b64 exec, exec, s[30:31]
	v_add_u32_e32 v14, 64, v20
	v_cmp_lt_u32_e32 vcc, s90, v20
	v_add_u32_e32 v19, 0x800, v19
	v_add_u32_e32 v18, 0x100, v18
	s_or_b64 s[28:29], vcc, s[28:29]
	v_mov_b32_e32 v20, v14
	s_andn2_b64 exec, exec, s[28:29]
	s_cbranch_execz .LBB32_12
.LBB32_94:                              ;   Parent Loop BB32_13 Depth=1
                                        ; =>  This Inner Loop Header: Depth=2
	ds_read_b32 v14, v18
	s_waitcnt lgkmcnt(0)
	v_cmp_ne_u32_e32 vcc, 0, v14
	s_and_saveexec_b64 s[30:31], vcc
	s_cbranch_execz .LBB32_93
; %bb.95:                               ;   in Loop: Header=BB32_94 Depth=2
	v_add_u32_e32 v14, v17, v14
	v_ashrrev_i32_e32 v15, 31, v14
	v_lshlrev_b64 v[22:23], 2, v[14:15]
	v_mov_b32_e32 v15, s61
	v_add_co_u32_e32 v22, vcc, s60, v22
	v_add_u32_e32 v21, s70, v20
	v_addc_co_u32_e32 v23, vcc, v15, v23, vcc
	global_store_dword v[22:23], v21, off
	s_and_b64 exec, exec, s[4:5]
	s_cbranch_execz .LBB32_93
; %bb.96:                               ;   in Loop: Header=BB32_94 Depth=2
	v_mad_u64_u32 v[14:15], s[72:73], v14, s58, v[10:11]
	ds_read_b64 v[22:23], v19
	v_mad_u64_u32 v[14:15], s[72:73], v14, s58, v[12:13]
	v_ashrrev_i32_e32 v15, 31, v14
	v_lshlrev_b64 v[14:15], 3, v[14:15]
	v_mov_b32_e32 v21, s63
	v_add_co_u32_e32 v14, vcc, s62, v14
	v_addc_co_u32_e32 v15, vcc, v21, v15, vcc
	s_waitcnt lgkmcnt(0)
	global_store_dwordx2 v[14:15], v[22:23], off
	s_branch .LBB32_93
.LBB32_97:
	s_endpgm
	.section	.rodata,"a",@progbits
	.p2align	6, 0x0
	.amdhsa_kernel _ZN9rocsparseL38bsrgemm_block_per_row_atomic_multipassILj256ELj256ELj2EiidEEv20rocsparse_direction_T3_S2_PKS2_S4_NS_24const_host_device_scalarIT4_EEPKT2_S4_PKS6_SA_S4_SC_S7_SA_S4_SC_SA_PS2_PS6_PS8_21rocsparse_index_base_SG_SG_SG_bbb
		.amdhsa_group_segment_fixed_size 11272
		.amdhsa_private_segment_fixed_size 0
		.amdhsa_kernarg_size 172
		.amdhsa_user_sgpr_count 6
		.amdhsa_user_sgpr_private_segment_buffer 1
		.amdhsa_user_sgpr_dispatch_ptr 0
		.amdhsa_user_sgpr_queue_ptr 0
		.amdhsa_user_sgpr_kernarg_segment_ptr 1
		.amdhsa_user_sgpr_dispatch_id 0
		.amdhsa_user_sgpr_flat_scratch_init 0
		.amdhsa_user_sgpr_kernarg_preload_length 0
		.amdhsa_user_sgpr_kernarg_preload_offset 0
		.amdhsa_user_sgpr_private_segment_size 0
		.amdhsa_uses_dynamic_stack 0
		.amdhsa_system_sgpr_private_segment_wavefront_offset 0
		.amdhsa_system_sgpr_workgroup_id_x 1
		.amdhsa_system_sgpr_workgroup_id_y 0
		.amdhsa_system_sgpr_workgroup_id_z 0
		.amdhsa_system_sgpr_workgroup_info 0
		.amdhsa_system_vgpr_workitem_id 0
		.amdhsa_next_free_vgpr 50
		.amdhsa_next_free_sgpr 93
		.amdhsa_accum_offset 52
		.amdhsa_reserve_vcc 1
		.amdhsa_reserve_flat_scratch 0
		.amdhsa_float_round_mode_32 0
		.amdhsa_float_round_mode_16_64 0
		.amdhsa_float_denorm_mode_32 3
		.amdhsa_float_denorm_mode_16_64 3
		.amdhsa_dx10_clamp 1
		.amdhsa_ieee_mode 1
		.amdhsa_fp16_overflow 0
		.amdhsa_tg_split 0
		.amdhsa_exception_fp_ieee_invalid_op 0
		.amdhsa_exception_fp_denorm_src 0
		.amdhsa_exception_fp_ieee_div_zero 0
		.amdhsa_exception_fp_ieee_overflow 0
		.amdhsa_exception_fp_ieee_underflow 0
		.amdhsa_exception_fp_ieee_inexact 0
		.amdhsa_exception_int_div_zero 0
	.end_amdhsa_kernel
	.section	.text._ZN9rocsparseL38bsrgemm_block_per_row_atomic_multipassILj256ELj256ELj2EiidEEv20rocsparse_direction_T3_S2_PKS2_S4_NS_24const_host_device_scalarIT4_EEPKT2_S4_PKS6_SA_S4_SC_S7_SA_S4_SC_SA_PS2_PS6_PS8_21rocsparse_index_base_SG_SG_SG_bbb,"axG",@progbits,_ZN9rocsparseL38bsrgemm_block_per_row_atomic_multipassILj256ELj256ELj2EiidEEv20rocsparse_direction_T3_S2_PKS2_S4_NS_24const_host_device_scalarIT4_EEPKT2_S4_PKS6_SA_S4_SC_S7_SA_S4_SC_SA_PS2_PS6_PS8_21rocsparse_index_base_SG_SG_SG_bbb,comdat
.Lfunc_end32:
	.size	_ZN9rocsparseL38bsrgemm_block_per_row_atomic_multipassILj256ELj256ELj2EiidEEv20rocsparse_direction_T3_S2_PKS2_S4_NS_24const_host_device_scalarIT4_EEPKT2_S4_PKS6_SA_S4_SC_S7_SA_S4_SC_SA_PS2_PS6_PS8_21rocsparse_index_base_SG_SG_SG_bbb, .Lfunc_end32-_ZN9rocsparseL38bsrgemm_block_per_row_atomic_multipassILj256ELj256ELj2EiidEEv20rocsparse_direction_T3_S2_PKS2_S4_NS_24const_host_device_scalarIT4_EEPKT2_S4_PKS6_SA_S4_SC_S7_SA_S4_SC_SA_PS2_PS6_PS8_21rocsparse_index_base_SG_SG_SG_bbb
                                        ; -- End function
	.section	.AMDGPU.csdata,"",@progbits
; Kernel info:
; codeLenInByte = 3060
; NumSgprs: 97
; NumVgprs: 50
; NumAgprs: 0
; TotalNumVgprs: 50
; ScratchSize: 0
; MemoryBound: 0
; FloatMode: 240
; IeeeMode: 1
; LDSByteSize: 11272 bytes/workgroup (compile time only)
; SGPRBlocks: 12
; VGPRBlocks: 6
; NumSGPRsForWavesPerEU: 97
; NumVGPRsForWavesPerEU: 50
; AccumOffset: 52
; Occupancy: 5
; WaveLimiterHint : 1
; COMPUTE_PGM_RSRC2:SCRATCH_EN: 0
; COMPUTE_PGM_RSRC2:USER_SGPR: 6
; COMPUTE_PGM_RSRC2:TRAP_HANDLER: 0
; COMPUTE_PGM_RSRC2:TGID_X_EN: 1
; COMPUTE_PGM_RSRC2:TGID_Y_EN: 0
; COMPUTE_PGM_RSRC2:TGID_Z_EN: 0
; COMPUTE_PGM_RSRC2:TIDIG_COMP_CNT: 0
; COMPUTE_PGM_RSRC3_GFX90A:ACCUM_OFFSET: 12
; COMPUTE_PGM_RSRC3_GFX90A:TG_SPLIT: 0
	.section	.text._ZN9rocsparseL23bsrgemm_fill_wf_per_rowILj256ELj64ELj8ELj137ELj4EiidEEv20rocsparse_direction_T5_S2_S2_PKS2_S4_NS_24const_host_device_scalarIT6_EEPKT4_S4_PKS6_SA_S4_SC_S7_SA_S4_SC_SA_PS2_PS6_21rocsparse_index_base_SF_SF_SF_bbb,"axG",@progbits,_ZN9rocsparseL23bsrgemm_fill_wf_per_rowILj256ELj64ELj8ELj137ELj4EiidEEv20rocsparse_direction_T5_S2_S2_PKS2_S4_NS_24const_host_device_scalarIT6_EEPKT4_S4_PKS6_SA_S4_SC_S7_SA_S4_SC_SA_PS2_PS6_21rocsparse_index_base_SF_SF_SF_bbb,comdat
	.globl	_ZN9rocsparseL23bsrgemm_fill_wf_per_rowILj256ELj64ELj8ELj137ELj4EiidEEv20rocsparse_direction_T5_S2_S2_PKS2_S4_NS_24const_host_device_scalarIT6_EEPKT4_S4_PKS6_SA_S4_SC_S7_SA_S4_SC_SA_PS2_PS6_21rocsparse_index_base_SF_SF_SF_bbb ; -- Begin function _ZN9rocsparseL23bsrgemm_fill_wf_per_rowILj256ELj64ELj8ELj137ELj4EiidEEv20rocsparse_direction_T5_S2_S2_PKS2_S4_NS_24const_host_device_scalarIT6_EEPKT4_S4_PKS6_SA_S4_SC_S7_SA_S4_SC_SA_PS2_PS6_21rocsparse_index_base_SF_SF_SF_bbb
	.p2align	8
	.type	_ZN9rocsparseL23bsrgemm_fill_wf_per_rowILj256ELj64ELj8ELj137ELj4EiidEEv20rocsparse_direction_T5_S2_S2_PKS2_S4_NS_24const_host_device_scalarIT6_EEPKT4_S4_PKS6_SA_S4_SC_S7_SA_S4_SC_SA_PS2_PS6_21rocsparse_index_base_SF_SF_SF_bbb,@function
_ZN9rocsparseL23bsrgemm_fill_wf_per_rowILj256ELj64ELj8ELj137ELj4EiidEEv20rocsparse_direction_T5_S2_S2_PKS2_S4_NS_24const_host_device_scalarIT6_EEPKT4_S4_PKS6_SA_S4_SC_S7_SA_S4_SC_SA_PS2_PS6_21rocsparse_index_base_SF_SF_SF_bbb: ; @_ZN9rocsparseL23bsrgemm_fill_wf_per_rowILj256ELj64ELj8ELj137ELj4EiidEEv20rocsparse_direction_T5_S2_S2_PKS2_S4_NS_24const_host_device_scalarIT6_EEPKT4_S4_PKS6_SA_S4_SC_S7_SA_S4_SC_SA_PS2_PS6_21rocsparse_index_base_SF_SF_SF_bbb
; %bb.0:
	s_load_dword s7, s[4:5], 0xa0
	s_load_dwordx2 s[10:11], s[4:5], 0x20
	s_load_dwordx2 s[2:3], s[4:5], 0x58
	s_waitcnt lgkmcnt(0)
	s_and_b32 s0, 1, s7
	s_bitcmp1_b32 s7, 16
	s_cselect_b64 s[8:9], -1, 0
	s_cmp_eq_u32 s0, 1
	s_cselect_b64 s[0:1], -1, 0
	s_and_b64 s[12:13], s[0:1], exec
	s_cselect_b32 s13, s11, 0
	s_cselect_b32 s12, s10, 0
	s_xor_b64 s[14:15], s[0:1], -1
	s_or_b64 s[14:15], s[14:15], s[8:9]
	s_and_b64 vcc, exec, s[14:15]
	v_pk_mov_b32 v[10:11], s[12:13], s[12:13] op_sel:[0,1]
	s_cbranch_vccnz .LBB33_2
; %bb.1:
	v_pk_mov_b32 v[2:3], s[10:11], s[10:11] op_sel:[0,1]
	flat_load_dwordx2 v[10:11], v[2:3]
.LBB33_2:
	s_bitcmp1_b32 s7, 8
	s_load_dwordx4 s[36:39], s[4:5], 0x90
	s_cselect_b64 s[34:35], -1, 0
	s_and_b64 s[10:11], s[34:35], exec
	s_cselect_b32 s11, s3, 0
	s_cselect_b32 s10, s2, 0
	s_xor_b64 s[12:13], s[34:35], -1
	s_or_b64 s[8:9], s[12:13], s[8:9]
	s_and_b64 vcc, exec, s[8:9]
	v_pk_mov_b32 v[2:3], s[10:11], s[10:11] op_sel:[0,1]
	s_cbranch_vccnz .LBB33_4
; %bb.3:
	v_pk_mov_b32 v[2:3], s[2:3], s[2:3] op_sel:[0,1]
	flat_load_dwordx2 v[2:3], v[2:3]
.LBB33_4:
	s_load_dwordx4 s[40:43], s[4:5], 0x80
	s_load_dwordx8 s[16:23], s[4:5], 0x60
	s_load_dwordx4 s[44:47], s[4:5], 0x48
	s_load_dwordx8 s[8:15], s[4:5], 0x0
	s_load_dwordx8 s[24:31], s[4:5], 0x28
	v_and_b32_e32 v6, 63, v0
	v_lshrrev_b32_e32 v1, 6, v0
	v_mov_b32_e32 v4, 0x1000
	v_lshl_or_b32 v7, v1, 5, v4
	v_cmp_gt_u32_e32 vcc, 8, v6
	s_and_saveexec_b64 s[2:3], vcc
	s_cbranch_execz .LBB33_6
; %bb.5:
	v_lshl_add_u32 v4, v6, 2, v7
	s_waitcnt lgkmcnt(0)
	v_mov_b32_e32 v5, s10
	ds_write_b32 v4, v5
.LBB33_6:
	s_or_b64 exec, exec, s[2:3]
	v_lshlrev_b32_e32 v32, 10, v1
	v_mov_b32_e32 v4, 0
	v_or_b32_e32 v8, 0xffffffc0, v6
	v_lshl_or_b32 v9, v6, 3, v32
	s_mov_b64 s[2:3], 0
	v_mov_b32_e32 v5, v4
.LBB33_7:                               ; =>This Inner Loop Header: Depth=1
	v_add_co_u32_e32 v8, vcc, 64, v8
	s_xor_b64 s[4:5], vcc, -1
	s_and_b64 s[4:5], exec, s[4:5]
	ds_write_b64 v9, v[4:5]
	s_or_b64 s[2:3], s[4:5], s[2:3]
	v_add_u32_e32 v9, 0x200, v9
	s_andn2_b64 exec, exec, s[2:3]
	s_cbranch_execnz .LBB33_7
; %bb.8:
	s_or_b64 exec, exec, s[2:3]
	v_lshl_or_b32 v8, s6, 2, v1
	s_waitcnt lgkmcnt(0)
	v_cmp_gt_i32_e32 vcc, s9, v8
	s_barrier
	s_and_saveexec_b64 s[2:3], vcc
	s_cbranch_execz .LBB33_65
; %bb.9:
	s_cmp_eq_u64 s[14:15], 0
	s_cbranch_scc1 .LBB33_11
; %bb.10:
	s_load_dword s2, s[12:13], 0x0
	v_mov_b32_e32 v9, s15
	s_waitcnt lgkmcnt(0)
	v_add_u32_e32 v4, s2, v8
	v_ashrrev_i32_e32 v5, 31, v4
	v_lshlrev_b64 v[4:5], 2, v[4:5]
	v_add_co_u32_e32 v4, vcc, s14, v4
	v_addc_co_u32_e32 v5, vcc, v9, v5, vcc
	global_load_dword v8, v[4:5], off
.LBB33_11:
	s_waitcnt vmcnt(0)
	v_ashrrev_i32_e32 v9, 31, v8
	v_lshrrev_b32_e32 v5, 4, v6
	v_and_b32_e32 v4, 3, v0
	v_bfe_u32 v6, v0, 2, 2
	s_andn2_b64 vcc, exec, s[0:1]
	v_lshlrev_b64 v[8:9], 2, v[8:9]
	s_cbranch_vccnz .LBB33_42
; %bb.12:
	v_mov_b32_e32 v13, s25
	v_add_co_u32_e32 v12, vcc, s24, v8
	v_addc_co_u32_e32 v13, vcc, v13, v9, vcc
	global_load_dwordx2 v[12:13], v[12:13], off
	v_subrev_u32_e32 v14, s36, v5
	s_waitcnt vmcnt(0)
	v_subrev_u32_e32 v33, s36, v13
	v_add_u32_e32 v12, v12, v14
	v_cmp_lt_i32_e32 vcc, v12, v33
	s_and_saveexec_b64 s[6:7], vcc
	s_cbranch_execz .LBB33_41
; %bb.13:
	s_cmp_lg_u32 s8, 0
	v_max_i32_e32 v13, v4, v6
	s_cselect_b64 s[2:3], -1, 0
	s_cmp_gt_i32 s11, 0
	v_cmp_gt_i32_e64 s[0:1], s11, v13
	s_cselect_b64 s[4:5], -1, 0
	s_mul_i32 s9, s11, s11
	v_cndmask_b32_e64 v13, 0, 1, s[2:3]
	v_mad_u64_u32 v[14:15], s[12:13], s9, v12, v[6:7]
	v_mad_u64_u32 v[16:17], s[12:13], s11, v12, v[6:7]
	v_cmp_ne_u32_e64 s[2:3], 1, v13
	v_cndmask_b32_e64 v13, 0, 1, s[4:5]
	v_and_b32_e32 v34, 15, v0
	s_lshl_b32 s33, s9, 2
	v_mul_lo_u32 v16, s11, v16
	s_mov_b64 s[12:13], 0
	v_mov_b32_e32 v15, s27
	v_mov_b32_e32 v35, s31
	v_cmp_ne_u32_e64 s[4:5], 1, v13
	s_branch .LBB33_15
.LBB33_14:                              ;   in Loop: Header=BB33_15 Depth=1
	s_or_b64 exec, exec, s[14:15]
	v_add_u32_e32 v12, 4, v12
	v_cmp_ge_i32_e32 vcc, v12, v33
	v_add_u32_e32 v14, s33, v14
	s_or_b64 s[12:13], vcc, s[12:13]
	v_add_u32_e32 v16, s33, v16
	s_andn2_b64 exec, exec, s[12:13]
	s_cbranch_execz .LBB33_41
.LBB33_15:                              ; =>This Loop Header: Depth=1
                                        ;     Child Loop BB33_18 Depth 2
                                        ;       Child Loop BB33_22 Depth 3
                                        ;       Child Loop BB33_28 Depth 3
                                        ;       Child Loop BB33_31 Depth 3
	v_ashrrev_i32_e32 v13, 31, v12
	v_lshlrev_b64 v[18:19], 2, v[12:13]
	v_add_co_u32_e32 v18, vcc, s26, v18
	v_addc_co_u32_e32 v19, vcc, v15, v19, vcc
	global_load_dword v13, v[18:19], off
	s_waitcnt vmcnt(0)
	v_subrev_u32_e32 v18, s36, v13
	v_ashrrev_i32_e32 v19, 31, v18
	v_lshlrev_b64 v[18:19], 2, v[18:19]
	v_add_co_u32_e32 v18, vcc, s30, v18
	v_addc_co_u32_e32 v19, vcc, v35, v19, vcc
	global_load_dwordx2 v[20:21], v[18:19], off
	s_waitcnt vmcnt(0)
	v_cmp_lt_i32_e32 vcc, v20, v21
	s_and_saveexec_b64 s[14:15], vcc
	s_cbranch_execz .LBB33_14
; %bb.16:                               ;   in Loop: Header=BB33_15 Depth=1
	v_ashrrev_i32_e32 v17, 31, v16
	v_lshlrev_b64 v[18:19], 3, v[16:17]
	v_subrev_u32_e32 v20, s37, v20
	v_mov_b32_e32 v13, s29
	v_add_co_u32_e32 v18, vcc, s28, v18
	v_mad_u64_u32 v[22:23], s[24:25], s11, v20, v[4:5]
	v_mad_u64_u32 v[24:25], s[24:25], s9, v20, v[4:5]
	v_addc_co_u32_e32 v19, vcc, v13, v19, vcc
	v_subrev_u32_e32 v13, s37, v21
	v_mul_lo_u32 v22, s11, v22
	s_mov_b64 s[24:25], 0
	s_branch .LBB33_18
.LBB33_17:                              ;   in Loop: Header=BB33_18 Depth=2
	s_or_b64 exec, exec, s[48:49]
	v_add_u32_e32 v20, 1, v20
	v_cmp_ge_i32_e32 vcc, v20, v13
	v_add_u32_e32 v22, s9, v22
	s_or_b64 s[24:25], vcc, s[24:25]
	v_add_u32_e32 v24, s9, v24
	s_andn2_b64 exec, exec, s[24:25]
	s_cbranch_execz .LBB33_14
.LBB33_18:                              ;   Parent Loop BB33_15 Depth=1
                                        ; =>  This Loop Header: Depth=2
                                        ;       Child Loop BB33_22 Depth 3
                                        ;       Child Loop BB33_28 Depth 3
	;; [unrolled: 1-line block ×3, first 2 shown]
	s_and_saveexec_b64 s[48:49], s[0:1]
	s_cbranch_execz .LBB33_17
; %bb.19:                               ;   in Loop: Header=BB33_18 Depth=2
	v_ashrrev_i32_e32 v21, 31, v20
	v_lshlrev_b64 v[26:27], 2, v[20:21]
	v_mov_b32_e32 v17, s45
	v_add_co_u32_e32 v26, vcc, s44, v26
	v_addc_co_u32_e32 v27, vcc, v17, v27, vcc
	global_load_dword v17, v[26:27], off
	s_and_b64 vcc, exec, s[2:3]
	s_cbranch_vccnz .LBB33_24
; %bb.20:                               ;   in Loop: Header=BB33_18 Depth=2
	s_and_b64 vcc, exec, s[4:5]
	s_cbranch_vccnz .LBB33_25
; %bb.21:                               ;   in Loop: Header=BB33_18 Depth=2
	v_ashrrev_i32_e32 v23, 31, v22
	v_lshlrev_b64 v[26:27], 3, v[22:23]
	v_mov_b32_e32 v21, s47
	v_add_co_u32_e32 v28, vcc, s46, v26
	v_addc_co_u32_e32 v29, vcc, v21, v27, vcc
	v_pk_mov_b32 v[26:27], 0, 0
	v_mov_b32_e32 v30, v14
	s_mov_b32 s27, s11
.LBB33_22:                              ;   Parent Loop BB33_15 Depth=1
                                        ;     Parent Loop BB33_18 Depth=2
                                        ; =>    This Inner Loop Header: Depth=3
	v_ashrrev_i32_e32 v31, 31, v30
	v_lshlrev_b64 v[38:39], 3, v[30:31]
	v_mov_b32_e32 v21, s29
	v_add_co_u32_e32 v38, vcc, s28, v38
	v_addc_co_u32_e32 v39, vcc, v21, v39, vcc
	global_load_dwordx2 v[36:37], v[28:29], off
	s_add_i32 s27, s27, -1
	global_load_dwordx2 v[38:39], v[38:39], off
	v_add_co_u32_e32 v28, vcc, 8, v28
	v_addc_co_u32_e32 v29, vcc, 0, v29, vcc
	v_add_u32_e32 v30, s11, v30
	s_cmp_lg_u32 s27, 0
	s_waitcnt vmcnt(0)
	v_fmac_f64_e32 v[26:27], v[38:39], v[36:37]
	s_cbranch_scc1 .LBB33_22
; %bb.23:                               ;   in Loop: Header=BB33_18 Depth=2
	s_cbranch_execz .LBB33_26
	s_branch .LBB33_29
.LBB33_24:                              ;   in Loop: Header=BB33_18 Depth=2
                                        ; implicit-def: $vgpr26_vgpr27
	s_branch .LBB33_26
.LBB33_25:                              ;   in Loop: Header=BB33_18 Depth=2
	v_pk_mov_b32 v[26:27], 0, 0
	s_cbranch_execnz .LBB33_29
.LBB33_26:                              ;   in Loop: Header=BB33_18 Depth=2
	v_pk_mov_b32 v[26:27], 0, 0
	s_and_b64 vcc, exec, s[4:5]
	s_cbranch_vccnz .LBB33_29
; %bb.27:                               ;   in Loop: Header=BB33_18 Depth=2
	v_pk_mov_b32 v[28:29], v[18:19], v[18:19] op_sel:[0,1]
	v_mov_b32_e32 v30, v24
	s_mov_b32 s27, s11
.LBB33_28:                              ;   Parent Loop BB33_15 Depth=1
                                        ;     Parent Loop BB33_18 Depth=2
                                        ; =>    This Inner Loop Header: Depth=3
	v_ashrrev_i32_e32 v31, 31, v30
	v_lshlrev_b64 v[38:39], 3, v[30:31]
	v_mov_b32_e32 v21, s47
	v_add_co_u32_e32 v38, vcc, s46, v38
	v_addc_co_u32_e32 v39, vcc, v21, v39, vcc
	global_load_dwordx2 v[36:37], v[28:29], off
	s_add_i32 s27, s27, -1
	global_load_dwordx2 v[38:39], v[38:39], off
	v_add_co_u32_e32 v28, vcc, 8, v28
	v_addc_co_u32_e32 v29, vcc, 0, v29, vcc
	v_add_u32_e32 v30, s11, v30
	s_cmp_eq_u32 s27, 0
	s_waitcnt vmcnt(0)
	v_fmac_f64_e32 v[26:27], v[36:37], v[38:39]
	s_cbranch_scc0 .LBB33_28
.LBB33_29:                              ;   in Loop: Header=BB33_18 Depth=2
	s_waitcnt vmcnt(0)
	v_subrev_u32_e32 v17, s37, v17
	v_mul_f64 v[26:27], v[10:11], v[26:27]
	v_and_b32_e32 v21, 7, v17
	s_mov_b64 s[50:51], 0
	s_branch .LBB33_31
.LBB33_30:                              ;   in Loop: Header=BB33_31 Depth=3
	s_or_b64 exec, exec, s[52:53]
	s_xor_b64 s[52:53], s[54:55], -1
	s_and_b64 s[52:53], exec, s[52:53]
	s_or_b64 s[50:51], s[52:53], s[50:51]
	s_andn2_b64 exec, exec, s[50:51]
	s_cbranch_execz .LBB33_17
.LBB33_31:                              ;   Parent Loop BB33_15 Depth=1
                                        ;     Parent Loop BB33_18 Depth=2
                                        ; =>    This Inner Loop Header: Depth=3
	v_lshl_add_u32 v23, v21, 2, v7
	ds_read_b32 v25, v23
                                        ; implicit-def: $sgpr54_sgpr55
	s_waitcnt lgkmcnt(0)
	v_cmp_ne_u32_e32 vcc, v25, v17
	s_and_saveexec_b64 s[52:53], vcc
	s_xor_b64 s[52:53], exec, s[52:53]
	s_cbranch_execz .LBB33_39
; %bb.32:                               ;   in Loop: Header=BB33_31 Depth=3
	v_cmp_ne_u32_e32 vcc, s10, v25
                                        ; implicit-def: $sgpr54_sgpr55
	s_and_saveexec_b64 s[56:57], vcc
	s_xor_b64 s[56:57], exec, s[56:57]
; %bb.33:                               ;   in Loop: Header=BB33_31 Depth=3
	v_add_u32_e32 v21, 1, v21
	v_and_b32_e32 v21, 7, v21
	s_mov_b64 s[54:55], -1
                                        ; implicit-def: $vgpr23
; %bb.34:                               ;   in Loop: Header=BB33_31 Depth=3
	s_andn2_saveexec_b64 s[56:57], s[56:57]
	s_cbranch_execz .LBB33_38
; %bb.35:                               ;   in Loop: Header=BB33_31 Depth=3
	v_mov_b32_e32 v25, s10
	ds_cmpst_rtn_b32 v23, v23, v25, v17
	s_mov_b64 s[60:61], -1
	s_waitcnt lgkmcnt(0)
	v_cmp_eq_u32_e32 vcc, s10, v23
	s_and_saveexec_b64 s[58:59], vcc
	s_cbranch_execz .LBB33_37
; %bb.36:                               ;   in Loop: Header=BB33_31 Depth=3
	v_lshlrev_b32_e32 v23, 3, v34
	v_lshl_or_b32 v23, v21, 7, v23
	v_add_u32_e32 v23, v32, v23
	ds_add_f64 v23, v[26:27]
	s_xor_b64 s[60:61], exec, -1
.LBB33_37:                              ;   in Loop: Header=BB33_31 Depth=3
	s_or_b64 exec, exec, s[58:59]
	s_andn2_b64 s[54:55], s[54:55], exec
	s_and_b64 s[58:59], s[60:61], exec
	s_or_b64 s[54:55], s[54:55], s[58:59]
.LBB33_38:                              ;   in Loop: Header=BB33_31 Depth=3
	s_or_b64 exec, exec, s[56:57]
	s_and_b64 s[54:55], s[54:55], exec
.LBB33_39:                              ;   in Loop: Header=BB33_31 Depth=3
	s_andn2_saveexec_b64 s[52:53], s[52:53]
	s_cbranch_execz .LBB33_30
; %bb.40:                               ;   in Loop: Header=BB33_31 Depth=3
	v_lshlrev_b32_e32 v23, 3, v34
	v_lshl_or_b32 v23, v21, 7, v23
	v_add_u32_e32 v23, v32, v23
	ds_add_f64 v23, v[26:27]
	s_andn2_b64 s[54:55], s[54:55], exec
	s_branch .LBB33_30
.LBB33_41:
	s_or_b64 exec, exec, s[6:7]
.LBB33_42:
	s_andn2_b64 vcc, exec, s[34:35]
	s_waitcnt lgkmcnt(0)
	s_barrier
	s_cbranch_vccnz .LBB33_60
; %bb.43:
	v_mov_b32_e32 v11, s17
	v_add_co_u32_e32 v10, vcc, s16, v8
	v_addc_co_u32_e32 v11, vcc, v11, v9, vcc
	global_load_dwordx2 v[10:11], v[10:11], off
	v_subrev_u32_e32 v12, s39, v5
	s_waitcnt vmcnt(0)
	v_subrev_u32_e32 v13, s39, v11
	v_add_u32_e32 v10, v10, v12
	v_cmp_lt_i32_e32 vcc, v10, v13
	s_and_saveexec_b64 s[2:3], vcc
	s_cbranch_execz .LBB33_59
; %bb.44:
	v_max_i32_e32 v11, v4, v6
	s_cmp_eq_u32 s8, 0
	v_cmp_gt_i32_e32 vcc, s11, v11
	v_and_b32_e32 v11, 15, v0
	s_cselect_b64 s[0:1], -1, 0
	v_cndmask_b32_e64 v0, v4, v6, s[0:1]
	v_cndmask_b32_e64 v12, v6, v4, s[0:1]
	s_mov_b64 s[4:5], 0
	v_lshlrev_b32_e32 v16, 3, v11
	s_branch .LBB33_46
.LBB33_45:                              ;   in Loop: Header=BB33_46 Depth=1
	s_or_b64 exec, exec, s[6:7]
	v_add_u32_e32 v10, 4, v10
	v_cmp_ge_i32_e64 s[0:1], v10, v13
	s_or_b64 s[4:5], s[0:1], s[4:5]
	s_andn2_b64 exec, exec, s[4:5]
	s_cbranch_execz .LBB33_59
.LBB33_46:                              ; =>This Loop Header: Depth=1
                                        ;     Child Loop BB33_49 Depth 2
	s_and_saveexec_b64 s[6:7], vcc
	s_cbranch_execz .LBB33_45
; %bb.47:                               ;   in Loop: Header=BB33_46 Depth=1
	v_ashrrev_i32_e32 v11, 31, v10
	v_lshlrev_b64 v[14:15], 2, v[10:11]
	v_mov_b32_e32 v11, s19
	v_add_co_u32_e64 v14, s[0:1], s18, v14
	v_addc_co_u32_e64 v15, s[0:1], v11, v15, s[0:1]
	global_load_dword v11, v[14:15], off
	v_mad_u64_u32 v[14:15], s[0:1], v10, s11, v[0:1]
	v_mad_u64_u32 v[14:15], s[0:1], v14, s11, v[12:13]
	v_ashrrev_i32_e32 v15, 31, v14
	v_lshlrev_b64 v[14:15], 3, v[14:15]
	v_mov_b32_e32 v17, s21
	v_add_co_u32_e64 v14, s[0:1], s20, v14
	v_addc_co_u32_e64 v15, s[0:1], v17, v15, s[0:1]
	global_load_dwordx2 v[14:15], v[14:15], off
	s_mov_b64 s[12:13], 0
	s_waitcnt vmcnt(1)
	v_subrev_u32_e32 v11, s39, v11
	v_and_b32_e32 v17, 7, v11
	s_waitcnt vmcnt(0)
	v_mul_f64 v[14:15], v[2:3], v[14:15]
	s_branch .LBB33_49
.LBB33_48:                              ;   in Loop: Header=BB33_49 Depth=2
	s_or_b64 exec, exec, s[0:1]
	s_xor_b64 s[0:1], s[16:17], -1
	s_and_b64 s[0:1], exec, s[0:1]
	s_or_b64 s[12:13], s[0:1], s[12:13]
	s_andn2_b64 exec, exec, s[12:13]
	s_cbranch_execz .LBB33_45
.LBB33_49:                              ;   Parent Loop BB33_46 Depth=1
                                        ; =>  This Inner Loop Header: Depth=2
	v_lshl_add_u32 v18, v17, 2, v7
	ds_read_b32 v19, v18
                                        ; implicit-def: $sgpr16_sgpr17
	s_waitcnt lgkmcnt(0)
	v_cmp_ne_u32_e64 s[0:1], v19, v11
	s_and_saveexec_b64 s[14:15], s[0:1]
	s_xor_b64 s[14:15], exec, s[14:15]
	s_cbranch_execz .LBB33_57
; %bb.50:                               ;   in Loop: Header=BB33_49 Depth=2
	v_cmp_ne_u32_e64 s[0:1], s10, v19
                                        ; implicit-def: $sgpr16_sgpr17
	s_and_saveexec_b64 s[24:25], s[0:1]
	s_xor_b64 s[0:1], exec, s[24:25]
; %bb.51:                               ;   in Loop: Header=BB33_49 Depth=2
	v_add_u32_e32 v17, 1, v17
	v_and_b32_e32 v17, 7, v17
	s_mov_b64 s[16:17], -1
                                        ; implicit-def: $vgpr18
; %bb.52:                               ;   in Loop: Header=BB33_49 Depth=2
	s_andn2_saveexec_b64 s[24:25], s[0:1]
	s_cbranch_execz .LBB33_56
; %bb.53:                               ;   in Loop: Header=BB33_49 Depth=2
	v_mov_b32_e32 v19, s10
	ds_cmpst_rtn_b32 v18, v18, v19, v11
	s_mov_b64 s[26:27], -1
	s_waitcnt lgkmcnt(0)
	v_cmp_eq_u32_e64 s[0:1], s10, v18
	s_and_saveexec_b64 s[28:29], s[0:1]
	s_cbranch_execz .LBB33_55
; %bb.54:                               ;   in Loop: Header=BB33_49 Depth=2
	v_lshl_or_b32 v18, v17, 7, v16
	v_add_u32_e32 v18, v32, v18
	ds_add_f64 v18, v[14:15]
	s_xor_b64 s[26:27], exec, -1
.LBB33_55:                              ;   in Loop: Header=BB33_49 Depth=2
	s_or_b64 exec, exec, s[28:29]
	s_andn2_b64 s[0:1], s[16:17], exec
	s_and_b64 s[16:17], s[26:27], exec
	s_or_b64 s[16:17], s[0:1], s[16:17]
.LBB33_56:                              ;   in Loop: Header=BB33_49 Depth=2
	s_or_b64 exec, exec, s[24:25]
	s_and_b64 s[16:17], s[16:17], exec
.LBB33_57:                              ;   in Loop: Header=BB33_49 Depth=2
	s_andn2_saveexec_b64 s[0:1], s[14:15]
	s_cbranch_execz .LBB33_48
; %bb.58:                               ;   in Loop: Header=BB33_49 Depth=2
	v_lshl_or_b32 v18, v17, 7, v16
	v_add_u32_e32 v18, v32, v18
	ds_add_f64 v18, v[14:15]
	s_andn2_b64 s[16:17], s[16:17], exec
	s_branch .LBB33_48
.LBB33_59:
	s_or_b64 exec, exec, s[2:3]
.LBB33_60:
	v_mov_b32_e32 v0, s23
	v_add_co_u32_e32 v2, vcc, s22, v8
	v_addc_co_u32_e32 v3, vcc, v0, v9, vcc
	s_waitcnt lgkmcnt(0)
	s_barrier
	global_load_dword v0, v[2:3], off
	s_cmp_eq_u32 s8, 0
	v_max_i32_e32 v3, v4, v6
	v_lshlrev_b32_e32 v1, 5, v1
	v_lshlrev_b32_e32 v8, 2, v5
	s_movk_i32 s2, 0x1000
	s_cselect_b64 s[0:1], -1, 0
	v_cmp_gt_i32_e32 vcc, s11, v3
	v_or3_b32 v3, v1, v8, s2
	v_cndmask_b32_e64 v1, v6, v4, s[0:1]
	v_lshlrev_b32_e32 v1, 3, v1
	v_cndmask_b32_e64 v9, v4, v6, s[0:1]
	v_lshl_or_b32 v1, v5, 7, v1
	v_lshl_or_b32 v1, v9, 5, v1
	v_or_b32_e32 v2, -4, v5
	v_add_u32_e32 v5, v32, v1
	s_mov_b64 s[2:3], 0
	s_waitcnt vmcnt(0)
	v_subrev_u32_e32 v8, s38, v0
	s_branch .LBB33_62
.LBB33_61:                              ;   in Loop: Header=BB33_62 Depth=1
	s_or_b64 exec, exec, s[4:5]
	v_add_co_u32_e64 v2, s[0:1], 4, v2
	s_xor_b64 s[0:1], s[0:1], -1
	s_and_b64 s[0:1], exec, s[0:1]
	v_add_u32_e32 v5, 0x200, v5
	s_or_b64 s[2:3], s[0:1], s[2:3]
	v_add_u32_e32 v3, 16, v3
	s_andn2_b64 exec, exec, s[2:3]
	s_cbranch_execz .LBB33_65
.LBB33_62:                              ; =>This Inner Loop Header: Depth=1
	ds_read_b32 v1, v3
	s_waitcnt lgkmcnt(0)
	v_cmp_gt_i32_e64 s[0:1], s10, v1
	s_and_saveexec_b64 s[4:5], s[0:1]
	s_cbranch_execz .LBB33_61
; %bb.63:                               ;   in Loop: Header=BB33_62 Depth=1
	ds_read_b128 v[10:13], v7
	ds_read_b128 v[14:17], v7 offset:16
	s_waitcnt lgkmcnt(1)
	v_cmp_gt_i32_e64 s[0:1], v1, v10
	v_cndmask_b32_e64 v0, 0, 1, s[0:1]
	v_cmp_gt_i32_e64 s[0:1], v1, v11
	v_addc_co_u32_e64 v0, s[0:1], v8, v0, s[0:1]
	v_cmp_gt_i32_e64 s[0:1], v1, v12
	v_cndmask_b32_e64 v9, 0, 1, s[0:1]
	v_cmp_gt_i32_e64 s[0:1], v1, v13
	v_addc_co_u32_e64 v0, s[0:1], v0, v9, s[0:1]
	s_waitcnt lgkmcnt(0)
	v_cmp_gt_i32_e64 s[0:1], v1, v14
	v_cndmask_b32_e64 v9, 0, 1, s[0:1]
	v_cmp_gt_i32_e64 s[0:1], v1, v15
	v_addc_co_u32_e64 v0, s[0:1], v0, v9, s[0:1]
	v_cmp_gt_i32_e64 s[0:1], v1, v16
	v_cndmask_b32_e64 v9, 0, 1, s[0:1]
	v_cmp_gt_i32_e64 s[0:1], v1, v17
	v_addc_co_u32_e64 v0, s[0:1], v0, v9, s[0:1]
	v_add_u32_e32 v9, s38, v1
	v_ashrrev_i32_e32 v1, 31, v0
	v_lshlrev_b64 v[10:11], 2, v[0:1]
	v_mov_b32_e32 v1, s41
	v_add_co_u32_e64 v10, s[0:1], s40, v10
	v_addc_co_u32_e64 v11, s[0:1], v1, v11, s[0:1]
	global_store_dword v[10:11], v9, off
	s_and_b64 exec, exec, vcc
	s_cbranch_execz .LBB33_61
; %bb.64:                               ;   in Loop: Header=BB33_62 Depth=1
	v_mad_u64_u32 v[0:1], s[0:1], v0, s11, v[6:7]
	v_mad_u64_u32 v[0:1], s[0:1], v0, s11, v[4:5]
	ds_read_b64 v[10:11], v5
	v_ashrrev_i32_e32 v1, 31, v0
	v_lshlrev_b64 v[0:1], 3, v[0:1]
	v_mov_b32_e32 v9, s43
	v_add_co_u32_e64 v0, s[0:1], s42, v0
	v_addc_co_u32_e64 v1, s[0:1], v9, v1, s[0:1]
	s_waitcnt lgkmcnt(0)
	global_store_dwordx2 v[0:1], v[10:11], off
	s_branch .LBB33_61
.LBB33_65:
	s_endpgm
	.section	.rodata,"a",@progbits
	.p2align	6, 0x0
	.amdhsa_kernel _ZN9rocsparseL23bsrgemm_fill_wf_per_rowILj256ELj64ELj8ELj137ELj4EiidEEv20rocsparse_direction_T5_S2_S2_PKS2_S4_NS_24const_host_device_scalarIT6_EEPKT4_S4_PKS6_SA_S4_SC_S7_SA_S4_SC_SA_PS2_PS6_21rocsparse_index_base_SF_SF_SF_bbb
		.amdhsa_group_segment_fixed_size 4224
		.amdhsa_private_segment_fixed_size 0
		.amdhsa_kernarg_size 164
		.amdhsa_user_sgpr_count 6
		.amdhsa_user_sgpr_private_segment_buffer 1
		.amdhsa_user_sgpr_dispatch_ptr 0
		.amdhsa_user_sgpr_queue_ptr 0
		.amdhsa_user_sgpr_kernarg_segment_ptr 1
		.amdhsa_user_sgpr_dispatch_id 0
		.amdhsa_user_sgpr_flat_scratch_init 0
		.amdhsa_user_sgpr_kernarg_preload_length 0
		.amdhsa_user_sgpr_kernarg_preload_offset 0
		.amdhsa_user_sgpr_private_segment_size 0
		.amdhsa_uses_dynamic_stack 0
		.amdhsa_system_sgpr_private_segment_wavefront_offset 0
		.amdhsa_system_sgpr_workgroup_id_x 1
		.amdhsa_system_sgpr_workgroup_id_y 0
		.amdhsa_system_sgpr_workgroup_id_z 0
		.amdhsa_system_sgpr_workgroup_info 0
		.amdhsa_system_vgpr_workitem_id 0
		.amdhsa_next_free_vgpr 40
		.amdhsa_next_free_sgpr 62
		.amdhsa_accum_offset 40
		.amdhsa_reserve_vcc 1
		.amdhsa_reserve_flat_scratch 0
		.amdhsa_float_round_mode_32 0
		.amdhsa_float_round_mode_16_64 0
		.amdhsa_float_denorm_mode_32 3
		.amdhsa_float_denorm_mode_16_64 3
		.amdhsa_dx10_clamp 1
		.amdhsa_ieee_mode 1
		.amdhsa_fp16_overflow 0
		.amdhsa_tg_split 0
		.amdhsa_exception_fp_ieee_invalid_op 0
		.amdhsa_exception_fp_denorm_src 0
		.amdhsa_exception_fp_ieee_div_zero 0
		.amdhsa_exception_fp_ieee_overflow 0
		.amdhsa_exception_fp_ieee_underflow 0
		.amdhsa_exception_fp_ieee_inexact 0
		.amdhsa_exception_int_div_zero 0
	.end_amdhsa_kernel
	.section	.text._ZN9rocsparseL23bsrgemm_fill_wf_per_rowILj256ELj64ELj8ELj137ELj4EiidEEv20rocsparse_direction_T5_S2_S2_PKS2_S4_NS_24const_host_device_scalarIT6_EEPKT4_S4_PKS6_SA_S4_SC_S7_SA_S4_SC_SA_PS2_PS6_21rocsparse_index_base_SF_SF_SF_bbb,"axG",@progbits,_ZN9rocsparseL23bsrgemm_fill_wf_per_rowILj256ELj64ELj8ELj137ELj4EiidEEv20rocsparse_direction_T5_S2_S2_PKS2_S4_NS_24const_host_device_scalarIT6_EEPKT4_S4_PKS6_SA_S4_SC_S7_SA_S4_SC_SA_PS2_PS6_21rocsparse_index_base_SF_SF_SF_bbb,comdat
.Lfunc_end33:
	.size	_ZN9rocsparseL23bsrgemm_fill_wf_per_rowILj256ELj64ELj8ELj137ELj4EiidEEv20rocsparse_direction_T5_S2_S2_PKS2_S4_NS_24const_host_device_scalarIT6_EEPKT4_S4_PKS6_SA_S4_SC_S7_SA_S4_SC_SA_PS2_PS6_21rocsparse_index_base_SF_SF_SF_bbb, .Lfunc_end33-_ZN9rocsparseL23bsrgemm_fill_wf_per_rowILj256ELj64ELj8ELj137ELj4EiidEEv20rocsparse_direction_T5_S2_S2_PKS2_S4_NS_24const_host_device_scalarIT6_EEPKT4_S4_PKS6_SA_S4_SC_S7_SA_S4_SC_SA_PS2_PS6_21rocsparse_index_base_SF_SF_SF_bbb
                                        ; -- End function
	.section	.AMDGPU.csdata,"",@progbits
; Kernel info:
; codeLenInByte = 2360
; NumSgprs: 66
; NumVgprs: 40
; NumAgprs: 0
; TotalNumVgprs: 40
; ScratchSize: 0
; MemoryBound: 0
; FloatMode: 240
; IeeeMode: 1
; LDSByteSize: 4224 bytes/workgroup (compile time only)
; SGPRBlocks: 8
; VGPRBlocks: 4
; NumSGPRsForWavesPerEU: 66
; NumVGPRsForWavesPerEU: 40
; AccumOffset: 40
; Occupancy: 8
; WaveLimiterHint : 1
; COMPUTE_PGM_RSRC2:SCRATCH_EN: 0
; COMPUTE_PGM_RSRC2:USER_SGPR: 6
; COMPUTE_PGM_RSRC2:TRAP_HANDLER: 0
; COMPUTE_PGM_RSRC2:TGID_X_EN: 1
; COMPUTE_PGM_RSRC2:TGID_Y_EN: 0
; COMPUTE_PGM_RSRC2:TGID_Z_EN: 0
; COMPUTE_PGM_RSRC2:TIDIG_COMP_CNT: 0
; COMPUTE_PGM_RSRC3_GFX90A:ACCUM_OFFSET: 9
; COMPUTE_PGM_RSRC3_GFX90A:TG_SPLIT: 0
	.section	.text._ZN9rocsparseL23bsrgemm_fill_wf_per_rowILj256ELj64ELj16ELj137ELj4EiidEEv20rocsparse_direction_T5_S2_S2_PKS2_S4_NS_24const_host_device_scalarIT6_EEPKT4_S4_PKS6_SA_S4_SC_S7_SA_S4_SC_SA_PS2_PS6_21rocsparse_index_base_SF_SF_SF_bbb,"axG",@progbits,_ZN9rocsparseL23bsrgemm_fill_wf_per_rowILj256ELj64ELj16ELj137ELj4EiidEEv20rocsparse_direction_T5_S2_S2_PKS2_S4_NS_24const_host_device_scalarIT6_EEPKT4_S4_PKS6_SA_S4_SC_S7_SA_S4_SC_SA_PS2_PS6_21rocsparse_index_base_SF_SF_SF_bbb,comdat
	.globl	_ZN9rocsparseL23bsrgemm_fill_wf_per_rowILj256ELj64ELj16ELj137ELj4EiidEEv20rocsparse_direction_T5_S2_S2_PKS2_S4_NS_24const_host_device_scalarIT6_EEPKT4_S4_PKS6_SA_S4_SC_S7_SA_S4_SC_SA_PS2_PS6_21rocsparse_index_base_SF_SF_SF_bbb ; -- Begin function _ZN9rocsparseL23bsrgemm_fill_wf_per_rowILj256ELj64ELj16ELj137ELj4EiidEEv20rocsparse_direction_T5_S2_S2_PKS2_S4_NS_24const_host_device_scalarIT6_EEPKT4_S4_PKS6_SA_S4_SC_S7_SA_S4_SC_SA_PS2_PS6_21rocsparse_index_base_SF_SF_SF_bbb
	.p2align	8
	.type	_ZN9rocsparseL23bsrgemm_fill_wf_per_rowILj256ELj64ELj16ELj137ELj4EiidEEv20rocsparse_direction_T5_S2_S2_PKS2_S4_NS_24const_host_device_scalarIT6_EEPKT4_S4_PKS6_SA_S4_SC_S7_SA_S4_SC_SA_PS2_PS6_21rocsparse_index_base_SF_SF_SF_bbb,@function
_ZN9rocsparseL23bsrgemm_fill_wf_per_rowILj256ELj64ELj16ELj137ELj4EiidEEv20rocsparse_direction_T5_S2_S2_PKS2_S4_NS_24const_host_device_scalarIT6_EEPKT4_S4_PKS6_SA_S4_SC_S7_SA_S4_SC_SA_PS2_PS6_21rocsparse_index_base_SF_SF_SF_bbb: ; @_ZN9rocsparseL23bsrgemm_fill_wf_per_rowILj256ELj64ELj16ELj137ELj4EiidEEv20rocsparse_direction_T5_S2_S2_PKS2_S4_NS_24const_host_device_scalarIT6_EEPKT4_S4_PKS6_SA_S4_SC_S7_SA_S4_SC_SA_PS2_PS6_21rocsparse_index_base_SF_SF_SF_bbb
; %bb.0:
	s_load_dword s7, s[4:5], 0xa0
	s_load_dwordx2 s[10:11], s[4:5], 0x20
	s_load_dwordx2 s[2:3], s[4:5], 0x58
	s_waitcnt lgkmcnt(0)
	s_and_b32 s0, 1, s7
	s_bitcmp1_b32 s7, 16
	s_cselect_b64 s[8:9], -1, 0
	s_cmp_eq_u32 s0, 1
	s_cselect_b64 s[0:1], -1, 0
	s_and_b64 s[12:13], s[0:1], exec
	s_cselect_b32 s13, s11, 0
	s_cselect_b32 s12, s10, 0
	s_xor_b64 s[14:15], s[0:1], -1
	s_or_b64 s[14:15], s[14:15], s[8:9]
	s_and_b64 vcc, exec, s[14:15]
	v_pk_mov_b32 v[10:11], s[12:13], s[12:13] op_sel:[0,1]
	s_cbranch_vccnz .LBB34_2
; %bb.1:
	v_pk_mov_b32 v[2:3], s[10:11], s[10:11] op_sel:[0,1]
	flat_load_dwordx2 v[10:11], v[2:3]
.LBB34_2:
	s_bitcmp1_b32 s7, 8
	s_load_dwordx4 s[36:39], s[4:5], 0x90
	s_cselect_b64 s[34:35], -1, 0
	s_and_b64 s[10:11], s[34:35], exec
	s_cselect_b32 s11, s3, 0
	s_cselect_b32 s10, s2, 0
	s_xor_b64 s[12:13], s[34:35], -1
	s_or_b64 s[8:9], s[12:13], s[8:9]
	s_and_b64 vcc, exec, s[8:9]
	v_pk_mov_b32 v[6:7], s[10:11], s[10:11] op_sel:[0,1]
	s_cbranch_vccnz .LBB34_4
; %bb.3:
	v_pk_mov_b32 v[2:3], s[2:3], s[2:3] op_sel:[0,1]
	flat_load_dwordx2 v[6:7], v[2:3]
.LBB34_4:
	s_load_dwordx4 s[40:43], s[4:5], 0x80
	s_load_dwordx8 s[16:23], s[4:5], 0x60
	s_load_dwordx4 s[44:47], s[4:5], 0x48
	s_load_dwordx8 s[8:15], s[4:5], 0x0
	s_load_dwordx8 s[24:31], s[4:5], 0x28
	v_and_b32_e32 v4, 63, v0
	v_and_b32_e32 v2, 0xc0, v0
	v_lshrrev_b32_e32 v1, 6, v0
	v_or_b32_e32 v5, 0x2000, v2
	v_cmp_gt_u32_e32 vcc, 16, v4
	s_and_saveexec_b64 s[2:3], vcc
	s_cbranch_execz .LBB34_6
; %bb.5:
	v_lshl_add_u32 v2, v4, 2, v5
	s_waitcnt lgkmcnt(0)
	v_mov_b32_e32 v3, s10
	ds_write_b32 v2, v3
.LBB34_6:
	s_or_b64 exec, exec, s[2:3]
	v_lshlrev_b32_e32 v32, 11, v1
	v_mov_b32_e32 v2, 0
	v_or_b32_e32 v8, 0xffffffc0, v4
	v_lshl_or_b32 v9, v4, 3, v32
	s_mov_b64 s[2:3], 0
	v_mov_b32_e32 v3, v2
	s_movk_i32 s4, 0xbf
.LBB34_7:                               ; =>This Inner Loop Header: Depth=1
	v_add_u32_e32 v8, 64, v8
	v_cmp_lt_u32_e32 vcc, s4, v8
	ds_write_b64 v9, v[2:3]
	s_or_b64 s[2:3], vcc, s[2:3]
	v_add_u32_e32 v9, 0x200, v9
	s_andn2_b64 exec, exec, s[2:3]
	s_cbranch_execnz .LBB34_7
; %bb.8:
	s_or_b64 exec, exec, s[2:3]
	v_lshl_or_b32 v8, s6, 2, v1
	s_waitcnt lgkmcnt(0)
	v_cmp_gt_i32_e32 vcc, s9, v8
	s_barrier
	s_and_saveexec_b64 s[2:3], vcc
	s_cbranch_execz .LBB34_65
; %bb.9:
	s_cmp_eq_u64 s[14:15], 0
	s_cbranch_scc1 .LBB34_11
; %bb.10:
	s_load_dword s2, s[12:13], 0x0
	v_mov_b32_e32 v9, s15
	s_waitcnt lgkmcnt(0)
	v_add_u32_e32 v2, s2, v8
	v_ashrrev_i32_e32 v3, 31, v2
	v_lshlrev_b64 v[2:3], 2, v[2:3]
	v_add_co_u32_e32 v2, vcc, s14, v2
	v_addc_co_u32_e32 v3, vcc, v9, v3, vcc
	global_load_dword v8, v[2:3], off
.LBB34_11:
	s_waitcnt vmcnt(0)
	v_ashrrev_i32_e32 v9, 31, v8
	v_lshrrev_b32_e32 v3, 4, v4
	v_and_b32_e32 v2, 3, v0
	v_bfe_u32 v4, v0, 2, 2
	s_andn2_b64 vcc, exec, s[0:1]
	v_lshlrev_b64 v[8:9], 2, v[8:9]
	s_cbranch_vccnz .LBB34_42
; %bb.12:
	v_mov_b32_e32 v13, s25
	v_add_co_u32_e32 v12, vcc, s24, v8
	v_addc_co_u32_e32 v13, vcc, v13, v9, vcc
	global_load_dwordx2 v[12:13], v[12:13], off
	v_subrev_u32_e32 v14, s36, v3
	s_waitcnt vmcnt(0)
	v_subrev_u32_e32 v33, s36, v13
	v_add_u32_e32 v12, v12, v14
	v_cmp_lt_i32_e32 vcc, v12, v33
	s_and_saveexec_b64 s[6:7], vcc
	s_cbranch_execz .LBB34_41
; %bb.13:
	s_cmp_lg_u32 s8, 0
	v_max_i32_e32 v13, v2, v4
	s_cselect_b64 s[2:3], -1, 0
	s_cmp_gt_i32 s11, 0
	v_cmp_gt_i32_e64 s[0:1], s11, v13
	s_cselect_b64 s[4:5], -1, 0
	s_mul_i32 s9, s11, s11
	v_cndmask_b32_e64 v13, 0, 1, s[2:3]
	v_mad_u64_u32 v[14:15], s[12:13], s9, v12, v[4:5]
	v_mad_u64_u32 v[16:17], s[12:13], s11, v12, v[4:5]
	v_cmp_ne_u32_e64 s[2:3], 1, v13
	v_cndmask_b32_e64 v13, 0, 1, s[4:5]
	v_and_b32_e32 v34, 15, v0
	s_lshl_b32 s33, s9, 2
	v_mul_lo_u32 v16, s11, v16
	s_mov_b64 s[12:13], 0
	v_mov_b32_e32 v15, s27
	v_mov_b32_e32 v35, s31
	v_cmp_ne_u32_e64 s[4:5], 1, v13
	s_branch .LBB34_15
.LBB34_14:                              ;   in Loop: Header=BB34_15 Depth=1
	s_or_b64 exec, exec, s[14:15]
	v_add_u32_e32 v12, 4, v12
	v_cmp_ge_i32_e32 vcc, v12, v33
	v_add_u32_e32 v14, s33, v14
	s_or_b64 s[12:13], vcc, s[12:13]
	v_add_u32_e32 v16, s33, v16
	s_andn2_b64 exec, exec, s[12:13]
	s_cbranch_execz .LBB34_41
.LBB34_15:                              ; =>This Loop Header: Depth=1
                                        ;     Child Loop BB34_18 Depth 2
                                        ;       Child Loop BB34_22 Depth 3
                                        ;       Child Loop BB34_28 Depth 3
                                        ;       Child Loop BB34_31 Depth 3
	v_ashrrev_i32_e32 v13, 31, v12
	v_lshlrev_b64 v[18:19], 2, v[12:13]
	v_add_co_u32_e32 v18, vcc, s26, v18
	v_addc_co_u32_e32 v19, vcc, v15, v19, vcc
	global_load_dword v13, v[18:19], off
	s_waitcnt vmcnt(0)
	v_subrev_u32_e32 v18, s36, v13
	v_ashrrev_i32_e32 v19, 31, v18
	v_lshlrev_b64 v[18:19], 2, v[18:19]
	v_add_co_u32_e32 v18, vcc, s30, v18
	v_addc_co_u32_e32 v19, vcc, v35, v19, vcc
	global_load_dwordx2 v[20:21], v[18:19], off
	s_waitcnt vmcnt(0)
	v_cmp_lt_i32_e32 vcc, v20, v21
	s_and_saveexec_b64 s[14:15], vcc
	s_cbranch_execz .LBB34_14
; %bb.16:                               ;   in Loop: Header=BB34_15 Depth=1
	v_ashrrev_i32_e32 v17, 31, v16
	v_lshlrev_b64 v[18:19], 3, v[16:17]
	v_subrev_u32_e32 v20, s37, v20
	v_mov_b32_e32 v13, s29
	v_add_co_u32_e32 v18, vcc, s28, v18
	v_mad_u64_u32 v[22:23], s[24:25], s11, v20, v[2:3]
	v_mad_u64_u32 v[24:25], s[24:25], s9, v20, v[2:3]
	v_addc_co_u32_e32 v19, vcc, v13, v19, vcc
	v_subrev_u32_e32 v13, s37, v21
	v_mul_lo_u32 v22, s11, v22
	s_mov_b64 s[24:25], 0
	s_branch .LBB34_18
.LBB34_17:                              ;   in Loop: Header=BB34_18 Depth=2
	s_or_b64 exec, exec, s[48:49]
	v_add_u32_e32 v20, 1, v20
	v_cmp_ge_i32_e32 vcc, v20, v13
	v_add_u32_e32 v22, s9, v22
	s_or_b64 s[24:25], vcc, s[24:25]
	v_add_u32_e32 v24, s9, v24
	s_andn2_b64 exec, exec, s[24:25]
	s_cbranch_execz .LBB34_14
.LBB34_18:                              ;   Parent Loop BB34_15 Depth=1
                                        ; =>  This Loop Header: Depth=2
                                        ;       Child Loop BB34_22 Depth 3
                                        ;       Child Loop BB34_28 Depth 3
	;; [unrolled: 1-line block ×3, first 2 shown]
	s_and_saveexec_b64 s[48:49], s[0:1]
	s_cbranch_execz .LBB34_17
; %bb.19:                               ;   in Loop: Header=BB34_18 Depth=2
	v_ashrrev_i32_e32 v21, 31, v20
	v_lshlrev_b64 v[26:27], 2, v[20:21]
	v_mov_b32_e32 v17, s45
	v_add_co_u32_e32 v26, vcc, s44, v26
	v_addc_co_u32_e32 v27, vcc, v17, v27, vcc
	global_load_dword v17, v[26:27], off
	s_and_b64 vcc, exec, s[2:3]
	s_cbranch_vccnz .LBB34_24
; %bb.20:                               ;   in Loop: Header=BB34_18 Depth=2
	s_and_b64 vcc, exec, s[4:5]
	s_cbranch_vccnz .LBB34_25
; %bb.21:                               ;   in Loop: Header=BB34_18 Depth=2
	v_ashrrev_i32_e32 v23, 31, v22
	v_lshlrev_b64 v[26:27], 3, v[22:23]
	v_mov_b32_e32 v21, s47
	v_add_co_u32_e32 v28, vcc, s46, v26
	v_addc_co_u32_e32 v29, vcc, v21, v27, vcc
	v_pk_mov_b32 v[26:27], 0, 0
	v_mov_b32_e32 v30, v14
	s_mov_b32 s27, s11
.LBB34_22:                              ;   Parent Loop BB34_15 Depth=1
                                        ;     Parent Loop BB34_18 Depth=2
                                        ; =>    This Inner Loop Header: Depth=3
	v_ashrrev_i32_e32 v31, 31, v30
	v_lshlrev_b64 v[38:39], 3, v[30:31]
	v_mov_b32_e32 v21, s29
	v_add_co_u32_e32 v38, vcc, s28, v38
	v_addc_co_u32_e32 v39, vcc, v21, v39, vcc
	global_load_dwordx2 v[36:37], v[28:29], off
	s_add_i32 s27, s27, -1
	global_load_dwordx2 v[38:39], v[38:39], off
	v_add_co_u32_e32 v28, vcc, 8, v28
	v_addc_co_u32_e32 v29, vcc, 0, v29, vcc
	v_add_u32_e32 v30, s11, v30
	s_cmp_lg_u32 s27, 0
	s_waitcnt vmcnt(0)
	v_fmac_f64_e32 v[26:27], v[38:39], v[36:37]
	s_cbranch_scc1 .LBB34_22
; %bb.23:                               ;   in Loop: Header=BB34_18 Depth=2
	s_cbranch_execz .LBB34_26
	s_branch .LBB34_29
.LBB34_24:                              ;   in Loop: Header=BB34_18 Depth=2
                                        ; implicit-def: $vgpr26_vgpr27
	s_branch .LBB34_26
.LBB34_25:                              ;   in Loop: Header=BB34_18 Depth=2
	v_pk_mov_b32 v[26:27], 0, 0
	s_cbranch_execnz .LBB34_29
.LBB34_26:                              ;   in Loop: Header=BB34_18 Depth=2
	v_pk_mov_b32 v[26:27], 0, 0
	s_and_b64 vcc, exec, s[4:5]
	s_cbranch_vccnz .LBB34_29
; %bb.27:                               ;   in Loop: Header=BB34_18 Depth=2
	v_pk_mov_b32 v[28:29], v[18:19], v[18:19] op_sel:[0,1]
	v_mov_b32_e32 v30, v24
	s_mov_b32 s27, s11
.LBB34_28:                              ;   Parent Loop BB34_15 Depth=1
                                        ;     Parent Loop BB34_18 Depth=2
                                        ; =>    This Inner Loop Header: Depth=3
	v_ashrrev_i32_e32 v31, 31, v30
	v_lshlrev_b64 v[38:39], 3, v[30:31]
	v_mov_b32_e32 v21, s47
	v_add_co_u32_e32 v38, vcc, s46, v38
	v_addc_co_u32_e32 v39, vcc, v21, v39, vcc
	global_load_dwordx2 v[36:37], v[28:29], off
	s_add_i32 s27, s27, -1
	global_load_dwordx2 v[38:39], v[38:39], off
	v_add_co_u32_e32 v28, vcc, 8, v28
	v_addc_co_u32_e32 v29, vcc, 0, v29, vcc
	v_add_u32_e32 v30, s11, v30
	s_cmp_eq_u32 s27, 0
	s_waitcnt vmcnt(0)
	v_fmac_f64_e32 v[26:27], v[36:37], v[38:39]
	s_cbranch_scc0 .LBB34_28
.LBB34_29:                              ;   in Loop: Header=BB34_18 Depth=2
	s_waitcnt vmcnt(0)
	v_subrev_u32_e32 v17, s37, v17
	v_lshl_add_u32 v21, v17, 3, v17
	v_mul_f64 v[26:27], v[10:11], v[26:27]
	v_and_b32_e32 v21, 15, v21
	s_mov_b64 s[50:51], 0
	s_branch .LBB34_31
.LBB34_30:                              ;   in Loop: Header=BB34_31 Depth=3
	s_or_b64 exec, exec, s[52:53]
	s_xor_b64 s[52:53], s[54:55], -1
	s_and_b64 s[52:53], exec, s[52:53]
	s_or_b64 s[50:51], s[52:53], s[50:51]
	s_andn2_b64 exec, exec, s[50:51]
	s_cbranch_execz .LBB34_17
.LBB34_31:                              ;   Parent Loop BB34_15 Depth=1
                                        ;     Parent Loop BB34_18 Depth=2
                                        ; =>    This Inner Loop Header: Depth=3
	v_lshl_add_u32 v23, v21, 2, v5
	ds_read_b32 v25, v23
                                        ; implicit-def: $sgpr54_sgpr55
	s_waitcnt lgkmcnt(0)
	v_cmp_ne_u32_e32 vcc, v25, v17
	s_and_saveexec_b64 s[52:53], vcc
	s_xor_b64 s[52:53], exec, s[52:53]
	s_cbranch_execz .LBB34_39
; %bb.32:                               ;   in Loop: Header=BB34_31 Depth=3
	v_cmp_ne_u32_e32 vcc, s10, v25
                                        ; implicit-def: $sgpr54_sgpr55
	s_and_saveexec_b64 s[56:57], vcc
	s_xor_b64 s[56:57], exec, s[56:57]
; %bb.33:                               ;   in Loop: Header=BB34_31 Depth=3
	v_add_u32_e32 v21, 1, v21
	v_and_b32_e32 v21, 15, v21
	s_mov_b64 s[54:55], -1
                                        ; implicit-def: $vgpr23
; %bb.34:                               ;   in Loop: Header=BB34_31 Depth=3
	s_andn2_saveexec_b64 s[56:57], s[56:57]
	s_cbranch_execz .LBB34_38
; %bb.35:                               ;   in Loop: Header=BB34_31 Depth=3
	v_mov_b32_e32 v25, s10
	ds_cmpst_rtn_b32 v23, v23, v25, v17
	s_mov_b64 s[60:61], -1
	s_waitcnt lgkmcnt(0)
	v_cmp_eq_u32_e32 vcc, s10, v23
	s_and_saveexec_b64 s[58:59], vcc
	s_cbranch_execz .LBB34_37
; %bb.36:                               ;   in Loop: Header=BB34_31 Depth=3
	v_lshlrev_b32_e32 v23, 3, v34
	v_lshl_or_b32 v23, v21, 7, v23
	v_add_u32_e32 v23, v32, v23
	ds_add_f64 v23, v[26:27]
	s_xor_b64 s[60:61], exec, -1
.LBB34_37:                              ;   in Loop: Header=BB34_31 Depth=3
	s_or_b64 exec, exec, s[58:59]
	s_andn2_b64 s[54:55], s[54:55], exec
	s_and_b64 s[58:59], s[60:61], exec
	s_or_b64 s[54:55], s[54:55], s[58:59]
.LBB34_38:                              ;   in Loop: Header=BB34_31 Depth=3
	s_or_b64 exec, exec, s[56:57]
	s_and_b64 s[54:55], s[54:55], exec
.LBB34_39:                              ;   in Loop: Header=BB34_31 Depth=3
	s_andn2_saveexec_b64 s[52:53], s[52:53]
	s_cbranch_execz .LBB34_30
; %bb.40:                               ;   in Loop: Header=BB34_31 Depth=3
	v_lshlrev_b32_e32 v23, 3, v34
	v_lshl_or_b32 v23, v21, 7, v23
	v_add_u32_e32 v23, v32, v23
	ds_add_f64 v23, v[26:27]
	s_andn2_b64 s[54:55], s[54:55], exec
	s_branch .LBB34_30
.LBB34_41:
	s_or_b64 exec, exec, s[6:7]
.LBB34_42:
	s_andn2_b64 vcc, exec, s[34:35]
	s_waitcnt lgkmcnt(0)
	s_barrier
	s_cbranch_vccnz .LBB34_60
; %bb.43:
	v_mov_b32_e32 v11, s17
	v_add_co_u32_e32 v10, vcc, s16, v8
	v_addc_co_u32_e32 v11, vcc, v11, v9, vcc
	global_load_dwordx2 v[10:11], v[10:11], off
	v_subrev_u32_e32 v12, s39, v3
	s_waitcnt vmcnt(0)
	v_subrev_u32_e32 v13, s39, v11
	v_add_u32_e32 v10, v10, v12
	v_cmp_lt_i32_e32 vcc, v10, v13
	s_and_saveexec_b64 s[2:3], vcc
	s_cbranch_execz .LBB34_59
; %bb.44:
	v_max_i32_e32 v11, v2, v4
	s_cmp_eq_u32 s8, 0
	v_cmp_gt_i32_e32 vcc, s11, v11
	v_and_b32_e32 v11, 15, v0
	s_cselect_b64 s[0:1], -1, 0
	v_cndmask_b32_e64 v0, v2, v4, s[0:1]
	v_cndmask_b32_e64 v12, v4, v2, s[0:1]
	s_mov_b64 s[4:5], 0
	v_lshlrev_b32_e32 v16, 3, v11
	s_branch .LBB34_46
.LBB34_45:                              ;   in Loop: Header=BB34_46 Depth=1
	s_or_b64 exec, exec, s[6:7]
	v_add_u32_e32 v10, 4, v10
	v_cmp_ge_i32_e64 s[0:1], v10, v13
	s_or_b64 s[4:5], s[0:1], s[4:5]
	s_andn2_b64 exec, exec, s[4:5]
	s_cbranch_execz .LBB34_59
.LBB34_46:                              ; =>This Loop Header: Depth=1
                                        ;     Child Loop BB34_49 Depth 2
	s_and_saveexec_b64 s[6:7], vcc
	s_cbranch_execz .LBB34_45
; %bb.47:                               ;   in Loop: Header=BB34_46 Depth=1
	v_ashrrev_i32_e32 v11, 31, v10
	v_lshlrev_b64 v[14:15], 2, v[10:11]
	v_mov_b32_e32 v11, s19
	v_add_co_u32_e64 v14, s[0:1], s18, v14
	v_addc_co_u32_e64 v15, s[0:1], v11, v15, s[0:1]
	global_load_dword v11, v[14:15], off
	v_mad_u64_u32 v[14:15], s[0:1], v10, s11, v[0:1]
	v_mad_u64_u32 v[14:15], s[0:1], v14, s11, v[12:13]
	v_ashrrev_i32_e32 v15, 31, v14
	v_lshlrev_b64 v[14:15], 3, v[14:15]
	v_mov_b32_e32 v17, s21
	v_add_co_u32_e64 v14, s[0:1], s20, v14
	v_addc_co_u32_e64 v15, s[0:1], v17, v15, s[0:1]
	global_load_dwordx2 v[14:15], v[14:15], off
	s_mov_b64 s[12:13], 0
	s_waitcnt vmcnt(1)
	v_subrev_u32_e32 v11, s39, v11
	v_lshl_add_u32 v17, v11, 3, v11
	v_and_b32_e32 v17, 15, v17
	s_waitcnt vmcnt(0)
	v_mul_f64 v[14:15], v[6:7], v[14:15]
	s_branch .LBB34_49
.LBB34_48:                              ;   in Loop: Header=BB34_49 Depth=2
	s_or_b64 exec, exec, s[0:1]
	s_xor_b64 s[0:1], s[16:17], -1
	s_and_b64 s[0:1], exec, s[0:1]
	s_or_b64 s[12:13], s[0:1], s[12:13]
	s_andn2_b64 exec, exec, s[12:13]
	s_cbranch_execz .LBB34_45
.LBB34_49:                              ;   Parent Loop BB34_46 Depth=1
                                        ; =>  This Inner Loop Header: Depth=2
	v_lshl_add_u32 v18, v17, 2, v5
	ds_read_b32 v19, v18
                                        ; implicit-def: $sgpr16_sgpr17
	s_waitcnt lgkmcnt(0)
	v_cmp_ne_u32_e64 s[0:1], v19, v11
	s_and_saveexec_b64 s[14:15], s[0:1]
	s_xor_b64 s[14:15], exec, s[14:15]
	s_cbranch_execz .LBB34_57
; %bb.50:                               ;   in Loop: Header=BB34_49 Depth=2
	v_cmp_ne_u32_e64 s[0:1], s10, v19
                                        ; implicit-def: $sgpr16_sgpr17
	s_and_saveexec_b64 s[24:25], s[0:1]
	s_xor_b64 s[0:1], exec, s[24:25]
; %bb.51:                               ;   in Loop: Header=BB34_49 Depth=2
	v_add_u32_e32 v17, 1, v17
	v_and_b32_e32 v17, 15, v17
	s_mov_b64 s[16:17], -1
                                        ; implicit-def: $vgpr18
; %bb.52:                               ;   in Loop: Header=BB34_49 Depth=2
	s_andn2_saveexec_b64 s[24:25], s[0:1]
	s_cbranch_execz .LBB34_56
; %bb.53:                               ;   in Loop: Header=BB34_49 Depth=2
	v_mov_b32_e32 v19, s10
	ds_cmpst_rtn_b32 v18, v18, v19, v11
	s_mov_b64 s[26:27], -1
	s_waitcnt lgkmcnt(0)
	v_cmp_eq_u32_e64 s[0:1], s10, v18
	s_and_saveexec_b64 s[28:29], s[0:1]
	s_cbranch_execz .LBB34_55
; %bb.54:                               ;   in Loop: Header=BB34_49 Depth=2
	v_lshl_or_b32 v18, v17, 7, v16
	v_add_u32_e32 v18, v32, v18
	ds_add_f64 v18, v[14:15]
	s_xor_b64 s[26:27], exec, -1
.LBB34_55:                              ;   in Loop: Header=BB34_49 Depth=2
	s_or_b64 exec, exec, s[28:29]
	s_andn2_b64 s[0:1], s[16:17], exec
	s_and_b64 s[16:17], s[26:27], exec
	s_or_b64 s[16:17], s[0:1], s[16:17]
.LBB34_56:                              ;   in Loop: Header=BB34_49 Depth=2
	s_or_b64 exec, exec, s[24:25]
	s_and_b64 s[16:17], s[16:17], exec
.LBB34_57:                              ;   in Loop: Header=BB34_49 Depth=2
	s_andn2_saveexec_b64 s[0:1], s[14:15]
	s_cbranch_execz .LBB34_48
; %bb.58:                               ;   in Loop: Header=BB34_49 Depth=2
	v_lshl_or_b32 v18, v17, 7, v16
	v_add_u32_e32 v18, v32, v18
	ds_add_f64 v18, v[14:15]
	s_andn2_b64 s[16:17], s[16:17], exec
	s_branch .LBB34_48
.LBB34_59:
	s_or_b64 exec, exec, s[2:3]
.LBB34_60:
	v_mov_b32_e32 v0, s23
	v_add_co_u32_e32 v6, vcc, s22, v8
	v_addc_co_u32_e32 v7, vcc, v0, v9, vcc
	s_waitcnt lgkmcnt(0)
	s_barrier
	global_load_dword v0, v[6:7], off
	s_cmp_eq_u32 s8, 0
	v_max_i32_e32 v7, v2, v4
	v_lshlrev_b32_e32 v1, 6, v1
	v_lshlrev_b32_e32 v8, 2, v3
	s_movk_i32 s2, 0x2000
	s_cselect_b64 s[0:1], -1, 0
	v_cmp_gt_i32_e32 vcc, s11, v7
	v_or3_b32 v7, v1, v8, s2
	v_cndmask_b32_e64 v1, v4, v2, s[0:1]
	v_lshlrev_b32_e32 v1, 3, v1
	v_cndmask_b32_e64 v9, v2, v4, s[0:1]
	v_lshl_or_b32 v1, v3, 7, v1
	v_lshl_or_b32 v1, v9, 5, v1
	v_or_b32_e32 v6, -4, v3
	v_add_u32_e32 v3, v32, v1
	s_mov_b64 s[2:3], 0
	s_waitcnt vmcnt(0)
	v_subrev_u32_e32 v8, s38, v0
	s_branch .LBB34_62
.LBB34_61:                              ;   in Loop: Header=BB34_62 Depth=1
	s_or_b64 exec, exec, s[4:5]
	v_add_u32_e32 v6, 4, v6
	v_cmp_lt_u32_e64 s[0:1], 11, v6
	v_add_u32_e32 v3, 0x200, v3
	s_or_b64 s[2:3], s[0:1], s[2:3]
	v_add_u32_e32 v7, 16, v7
	s_andn2_b64 exec, exec, s[2:3]
	s_cbranch_execz .LBB34_65
.LBB34_62:                              ; =>This Inner Loop Header: Depth=1
	ds_read_b32 v1, v7
	s_waitcnt lgkmcnt(0)
	v_cmp_gt_i32_e64 s[0:1], s10, v1
	s_and_saveexec_b64 s[4:5], s[0:1]
	s_cbranch_execz .LBB34_61
; %bb.63:                               ;   in Loop: Header=BB34_62 Depth=1
	ds_read_b128 v[10:13], v5
	ds_read_b128 v[14:17], v5 offset:16
	ds_read_b128 v[18:21], v5 offset:32
	;; [unrolled: 1-line block ×3, first 2 shown]
	s_waitcnt lgkmcnt(3)
	v_cmp_gt_i32_e64 s[0:1], v1, v10
	v_cndmask_b32_e64 v0, 0, 1, s[0:1]
	v_cmp_gt_i32_e64 s[0:1], v1, v11
	v_addc_co_u32_e64 v0, s[0:1], v8, v0, s[0:1]
	v_cmp_gt_i32_e64 s[0:1], v1, v12
	v_cndmask_b32_e64 v9, 0, 1, s[0:1]
	v_cmp_gt_i32_e64 s[0:1], v1, v13
	v_addc_co_u32_e64 v0, s[0:1], v0, v9, s[0:1]
	s_waitcnt lgkmcnt(2)
	v_cmp_gt_i32_e64 s[0:1], v1, v14
	v_cndmask_b32_e64 v9, 0, 1, s[0:1]
	v_cmp_gt_i32_e64 s[0:1], v1, v15
	v_addc_co_u32_e64 v0, s[0:1], v0, v9, s[0:1]
	v_cmp_gt_i32_e64 s[0:1], v1, v16
	v_cndmask_b32_e64 v9, 0, 1, s[0:1]
	v_cmp_gt_i32_e64 s[0:1], v1, v17
	v_addc_co_u32_e64 v0, s[0:1], v0, v9, s[0:1]
	;; [unrolled: 9-line block ×4, first 2 shown]
	v_add_u32_e32 v9, s38, v1
	v_ashrrev_i32_e32 v1, 31, v0
	v_lshlrev_b64 v[10:11], 2, v[0:1]
	v_mov_b32_e32 v1, s41
	v_add_co_u32_e64 v10, s[0:1], s40, v10
	v_addc_co_u32_e64 v11, s[0:1], v1, v11, s[0:1]
	global_store_dword v[10:11], v9, off
	s_and_b64 exec, exec, vcc
	s_cbranch_execz .LBB34_61
; %bb.64:                               ;   in Loop: Header=BB34_62 Depth=1
	v_mad_u64_u32 v[0:1], s[0:1], v0, s11, v[4:5]
	v_mad_u64_u32 v[0:1], s[0:1], v0, s11, v[2:3]
	ds_read_b64 v[10:11], v3
	v_ashrrev_i32_e32 v1, 31, v0
	v_lshlrev_b64 v[0:1], 3, v[0:1]
	v_mov_b32_e32 v9, s43
	v_add_co_u32_e64 v0, s[0:1], s42, v0
	v_addc_co_u32_e64 v1, s[0:1], v9, v1, s[0:1]
	s_waitcnt lgkmcnt(0)
	global_store_dwordx2 v[0:1], v[10:11], off
	s_branch .LBB34_61
.LBB34_65:
	s_endpgm
	.section	.rodata,"a",@progbits
	.p2align	6, 0x0
	.amdhsa_kernel _ZN9rocsparseL23bsrgemm_fill_wf_per_rowILj256ELj64ELj16ELj137ELj4EiidEEv20rocsparse_direction_T5_S2_S2_PKS2_S4_NS_24const_host_device_scalarIT6_EEPKT4_S4_PKS6_SA_S4_SC_S7_SA_S4_SC_SA_PS2_PS6_21rocsparse_index_base_SF_SF_SF_bbb
		.amdhsa_group_segment_fixed_size 8448
		.amdhsa_private_segment_fixed_size 0
		.amdhsa_kernarg_size 164
		.amdhsa_user_sgpr_count 6
		.amdhsa_user_sgpr_private_segment_buffer 1
		.amdhsa_user_sgpr_dispatch_ptr 0
		.amdhsa_user_sgpr_queue_ptr 0
		.amdhsa_user_sgpr_kernarg_segment_ptr 1
		.amdhsa_user_sgpr_dispatch_id 0
		.amdhsa_user_sgpr_flat_scratch_init 0
		.amdhsa_user_sgpr_kernarg_preload_length 0
		.amdhsa_user_sgpr_kernarg_preload_offset 0
		.amdhsa_user_sgpr_private_segment_size 0
		.amdhsa_uses_dynamic_stack 0
		.amdhsa_system_sgpr_private_segment_wavefront_offset 0
		.amdhsa_system_sgpr_workgroup_id_x 1
		.amdhsa_system_sgpr_workgroup_id_y 0
		.amdhsa_system_sgpr_workgroup_id_z 0
		.amdhsa_system_sgpr_workgroup_info 0
		.amdhsa_system_vgpr_workitem_id 0
		.amdhsa_next_free_vgpr 40
		.amdhsa_next_free_sgpr 62
		.amdhsa_accum_offset 40
		.amdhsa_reserve_vcc 1
		.amdhsa_reserve_flat_scratch 0
		.amdhsa_float_round_mode_32 0
		.amdhsa_float_round_mode_16_64 0
		.amdhsa_float_denorm_mode_32 3
		.amdhsa_float_denorm_mode_16_64 3
		.amdhsa_dx10_clamp 1
		.amdhsa_ieee_mode 1
		.amdhsa_fp16_overflow 0
		.amdhsa_tg_split 0
		.amdhsa_exception_fp_ieee_invalid_op 0
		.amdhsa_exception_fp_denorm_src 0
		.amdhsa_exception_fp_ieee_div_zero 0
		.amdhsa_exception_fp_ieee_overflow 0
		.amdhsa_exception_fp_ieee_underflow 0
		.amdhsa_exception_fp_ieee_inexact 0
		.amdhsa_exception_int_div_zero 0
	.end_amdhsa_kernel
	.section	.text._ZN9rocsparseL23bsrgemm_fill_wf_per_rowILj256ELj64ELj16ELj137ELj4EiidEEv20rocsparse_direction_T5_S2_S2_PKS2_S4_NS_24const_host_device_scalarIT6_EEPKT4_S4_PKS6_SA_S4_SC_S7_SA_S4_SC_SA_PS2_PS6_21rocsparse_index_base_SF_SF_SF_bbb,"axG",@progbits,_ZN9rocsparseL23bsrgemm_fill_wf_per_rowILj256ELj64ELj16ELj137ELj4EiidEEv20rocsparse_direction_T5_S2_S2_PKS2_S4_NS_24const_host_device_scalarIT6_EEPKT4_S4_PKS6_SA_S4_SC_S7_SA_S4_SC_SA_PS2_PS6_21rocsparse_index_base_SF_SF_SF_bbb,comdat
.Lfunc_end34:
	.size	_ZN9rocsparseL23bsrgemm_fill_wf_per_rowILj256ELj64ELj16ELj137ELj4EiidEEv20rocsparse_direction_T5_S2_S2_PKS2_S4_NS_24const_host_device_scalarIT6_EEPKT4_S4_PKS6_SA_S4_SC_S7_SA_S4_SC_SA_PS2_PS6_21rocsparse_index_base_SF_SF_SF_bbb, .Lfunc_end34-_ZN9rocsparseL23bsrgemm_fill_wf_per_rowILj256ELj64ELj16ELj137ELj4EiidEEv20rocsparse_direction_T5_S2_S2_PKS2_S4_NS_24const_host_device_scalarIT6_EEPKT4_S4_PKS6_SA_S4_SC_S7_SA_S4_SC_SA_PS2_PS6_21rocsparse_index_base_SF_SF_SF_bbb
                                        ; -- End function
	.section	.AMDGPU.csdata,"",@progbits
; Kernel info:
; codeLenInByte = 2524
; NumSgprs: 66
; NumVgprs: 40
; NumAgprs: 0
; TotalNumVgprs: 40
; ScratchSize: 0
; MemoryBound: 0
; FloatMode: 240
; IeeeMode: 1
; LDSByteSize: 8448 bytes/workgroup (compile time only)
; SGPRBlocks: 8
; VGPRBlocks: 4
; NumSGPRsForWavesPerEU: 66
; NumVGPRsForWavesPerEU: 40
; AccumOffset: 40
; Occupancy: 7
; WaveLimiterHint : 1
; COMPUTE_PGM_RSRC2:SCRATCH_EN: 0
; COMPUTE_PGM_RSRC2:USER_SGPR: 6
; COMPUTE_PGM_RSRC2:TRAP_HANDLER: 0
; COMPUTE_PGM_RSRC2:TGID_X_EN: 1
; COMPUTE_PGM_RSRC2:TGID_Y_EN: 0
; COMPUTE_PGM_RSRC2:TGID_Z_EN: 0
; COMPUTE_PGM_RSRC2:TIDIG_COMP_CNT: 0
; COMPUTE_PGM_RSRC3_GFX90A:ACCUM_OFFSET: 9
; COMPUTE_PGM_RSRC3_GFX90A:TG_SPLIT: 0
	.section	.text._ZN9rocsparseL38bsrgemm_block_per_row_atomic_multipassILj256ELj32ELj4EiidEEv20rocsparse_direction_T3_S2_PKS2_S4_NS_24const_host_device_scalarIT4_EEPKT2_S4_PKS6_SA_S4_SC_S7_SA_S4_SC_SA_PS2_PS6_PS8_21rocsparse_index_base_SG_SG_SG_bbb,"axG",@progbits,_ZN9rocsparseL38bsrgemm_block_per_row_atomic_multipassILj256ELj32ELj4EiidEEv20rocsparse_direction_T3_S2_PKS2_S4_NS_24const_host_device_scalarIT4_EEPKT2_S4_PKS6_SA_S4_SC_S7_SA_S4_SC_SA_PS2_PS6_PS8_21rocsparse_index_base_SG_SG_SG_bbb,comdat
	.globl	_ZN9rocsparseL38bsrgemm_block_per_row_atomic_multipassILj256ELj32ELj4EiidEEv20rocsparse_direction_T3_S2_PKS2_S4_NS_24const_host_device_scalarIT4_EEPKT2_S4_PKS6_SA_S4_SC_S7_SA_S4_SC_SA_PS2_PS6_PS8_21rocsparse_index_base_SG_SG_SG_bbb ; -- Begin function _ZN9rocsparseL38bsrgemm_block_per_row_atomic_multipassILj256ELj32ELj4EiidEEv20rocsparse_direction_T3_S2_PKS2_S4_NS_24const_host_device_scalarIT4_EEPKT2_S4_PKS6_SA_S4_SC_S7_SA_S4_SC_SA_PS2_PS6_PS8_21rocsparse_index_base_SG_SG_SG_bbb
	.p2align	8
	.type	_ZN9rocsparseL38bsrgemm_block_per_row_atomic_multipassILj256ELj32ELj4EiidEEv20rocsparse_direction_T3_S2_PKS2_S4_NS_24const_host_device_scalarIT4_EEPKT2_S4_PKS6_SA_S4_SC_S7_SA_S4_SC_SA_PS2_PS6_PS8_21rocsparse_index_base_SG_SG_SG_bbb,@function
_ZN9rocsparseL38bsrgemm_block_per_row_atomic_multipassILj256ELj32ELj4EiidEEv20rocsparse_direction_T3_S2_PKS2_S4_NS_24const_host_device_scalarIT4_EEPKT2_S4_PKS6_SA_S4_SC_S7_SA_S4_SC_SA_PS2_PS6_PS8_21rocsparse_index_base_SG_SG_SG_bbb: ; @_ZN9rocsparseL38bsrgemm_block_per_row_atomic_multipassILj256ELj32ELj4EiidEEv20rocsparse_direction_T3_S2_PKS2_S4_NS_24const_host_device_scalarIT4_EEPKT2_S4_PKS6_SA_S4_SC_S7_SA_S4_SC_SA_PS2_PS6_PS8_21rocsparse_index_base_SG_SG_SG_bbb
; %bb.0:
	s_load_dword s7, s[4:5], 0xa8
	s_load_dwordx4 s[44:47], s[4:5], 0x98
	s_load_dwordx2 s[8:9], s[4:5], 0x20
	s_waitcnt lgkmcnt(0)
	s_and_b32 s0, 1, s7
	s_bitcmp1_b32 s7, 16
	s_cselect_b64 s[2:3], -1, 0
	s_cmp_eq_u32 s0, 1
	s_load_dwordx2 s[0:1], s[4:5], 0x58
	s_cselect_b64 s[22:23], -1, 0
	s_and_b64 s[10:11], s[22:23], exec
	s_cselect_b32 s11, s9, 0
	s_cselect_b32 s10, s8, 0
	s_xor_b64 s[12:13], s[22:23], -1
	s_or_b64 s[12:13], s[12:13], s[2:3]
	s_and_b64 vcc, exec, s[12:13]
	v_pk_mov_b32 v[2:3], s[10:11], s[10:11] op_sel:[0,1]
	s_cbranch_vccnz .LBB35_2
; %bb.1:
	v_pk_mov_b32 v[2:3], s[8:9], s[8:9] op_sel:[0,1]
	flat_load_dwordx2 v[2:3], v[2:3]
.LBB35_2:
	s_bitcmp1_b32 s7, 8
	s_load_dwordx2 s[8:9], s[4:5], 0x18
	s_cselect_b64 s[34:35], -1, 0
	s_and_b64 s[10:11], s[34:35], exec
	s_waitcnt lgkmcnt(0)
	s_cselect_b32 s11, s1, 0
	s_cselect_b32 s10, s0, 0
	s_xor_b64 s[12:13], s[34:35], -1
	s_or_b64 s[2:3], s[12:13], s[2:3]
	s_and_b64 vcc, exec, s[2:3]
	v_pk_mov_b32 v[4:5], s[10:11], s[10:11] op_sel:[0,1]
	s_cbranch_vccnz .LBB35_4
; %bb.3:
	v_pk_mov_b32 v[4:5], s[0:1], s[0:1] op_sel:[0,1]
	flat_load_dwordx2 v[4:5], v[4:5]
.LBB35_4:
	s_load_dwordx2 s[2:3], s[4:5], 0x28
	s_cmp_eq_u64 s[8:9], 0
	s_cbranch_scc1 .LBB35_6
; %bb.5:
	s_load_dwordx2 s[0:1], s[4:5], 0x10
	s_waitcnt lgkmcnt(0)
	s_load_dword s0, s[0:1], 0x0
	s_mov_b32 s1, 0
	s_waitcnt lgkmcnt(0)
	s_add_i32 s0, s0, s6
	s_lshl_b64 s[0:1], s[0:1], 2
	s_add_u32 s0, s8, s0
	s_addc_u32 s1, s9, s1
	s_load_dword s6, s[0:1], 0x0
.LBB35_6:
	v_cndmask_b32_e64 v1, 0, 1, s[22:23]
	s_mov_b32 s33, 0
	v_cmp_ne_u32_e64 s[0:1], 1, v1
	s_andn2_b64 vcc, exec, s[22:23]
	s_mov_b32 s82, 0
	s_cbranch_vccz .LBB35_9
; %bb.7:
	s_and_b64 vcc, exec, s[0:1]
	s_cbranch_vccz .LBB35_10
.LBB35_8:
	s_load_dwordx4 s[48:51], s[4:5], 0x0
	s_waitcnt lgkmcnt(0)
	s_cmp_lt_i32 s49, 1
	s_cbranch_scc0 .LBB35_11
	s_branch .LBB35_93
.LBB35_9:
	s_waitcnt lgkmcnt(0)
	s_ashr_i32 s7, s6, 31
	s_lshl_b64 s[8:9], s[6:7], 2
	s_add_u32 s8, s2, s8
	s_addc_u32 s9, s3, s9
	s_load_dword s7, s[8:9], 0x0
	s_waitcnt lgkmcnt(0)
	s_sub_i32 s82, s7, s44
	s_and_b64 vcc, exec, s[0:1]
	s_cbranch_vccnz .LBB35_8
.LBB35_10:
	s_waitcnt lgkmcnt(0)
	s_ashr_i32 s7, s6, 31
	s_lshl_b64 s[0:1], s[6:7], 2
	s_add_u32 s0, s2, s0
	s_addc_u32 s1, s3, s1
	s_load_dword s0, s[0:1], 0x4
	s_waitcnt lgkmcnt(0)
	s_sub_i32 s33, s0, s44
	s_load_dwordx4 s[48:51], s[4:5], 0x0
	s_waitcnt lgkmcnt(0)
	s_cmp_lt_i32 s49, 1
	s_cbranch_scc1 .LBB35_93
.LBB35_11:
	s_load_dwordx2 s[56:57], s[4:5], 0x90
	s_load_dwordx4 s[52:55], s[4:5], 0x80
	s_load_dwordx8 s[24:31], s[4:5], 0x60
	s_load_dwordx2 s[58:59], s[4:5], 0x50
	s_load_dwordx8 s[36:43], s[4:5], 0x30
	s_ashr_i32 s7, s6, 31
	s_lshl_b64 s[8:9], s[6:7], 2
	s_waitcnt lgkmcnt(0)
	s_add_u32 s0, s30, s8
	s_addc_u32 s1, s31, s9
	s_load_dword s0, s[0:1], 0x0
	v_and_b32_e32 v1, 15, v0
	v_and_b32_e32 v6, 3, v0
	v_bfe_u32 v8, v0, 2, 2
	v_lshrrev_b32_e32 v7, 4, v0
	s_waitcnt lgkmcnt(0)
	s_sub_i32 s66, s0, s46
	s_cmp_lt_i32 s82, s33
	s_cselect_b64 s[64:65], -1, 0
	s_cmp_eq_u32 s48, 0
	s_cselect_b64 vcc, -1, 0
	s_cmp_lg_u32 s48, 0
	s_cselect_b64 s[30:31], -1, 0
	s_cmp_gt_i32 s50, 0
	s_cselect_b64 s[60:61], -1, 0
	s_add_u32 s62, s24, s8
	s_movk_i32 s2, 0x200
	v_max_i32_e32 v9, v6, v8
	s_addc_u32 s63, s25, s9
	v_cmp_eq_u32_e64 s[8:9], 15, v1
	v_and_b32_e32 v1, 31, v0
	v_mov_b32_e32 v14, 0x1800
	v_cmp_gt_u32_e64 s[0:1], 32, v0
	v_cmp_gt_u32_e64 s[2:3], s2, v0
	v_cmp_eq_u32_e64 s[4:5], 0, v0
	v_cmp_gt_i32_e64 s[6:7], s50, v9
	v_lshlrev_b32_e32 v9, 3, v0
	s_movk_i32 s67, 0x1000
	v_and_b32_e32 v13, 12, v0
	v_lshlrev_b32_e32 v10, 2, v1
	v_add_co_u32_e64 v12, s[10:11], -1, v1
	v_lshl_or_b32 v27, v0, 2, v14
	v_cmp_ne_u32_e64 s[12:13], 0, v1
	v_cmp_lt_u32_e64 s[14:15], 1, v1
	v_cmp_lt_u32_e64 s[16:17], 3, v1
	;; [unrolled: 1-line block ×4, first 2 shown]
	s_and_b64 s[64:65], s[22:23], s[64:65]
	v_or_b32_e32 v32, 0xffffff00, v0
	v_lshlrev_b32_e32 v0, 7, v7
	v_lshlrev_b32_e32 v1, 3, v8
	s_add_u32 s48, s40, 4
	v_or3_b32 v33, v0, v1, s67
	s_mul_i32 s83, s50, s50
	v_and_b32_e32 v0, 0x7e0, v9
	s_mov_b32 s85, 0
	v_or_b32_e32 v11, 0x1000, v9
	v_subrev_u32_e32 v24, s47, v7
	v_or_b32_e32 v25, 0x1800, v10
	v_lshl_add_u32 v26, v12, 2, v14
	v_add_u32_e32 v28, 0x17f8, v10
	v_add_u32_e32 v29, 0x17f0, v10
	v_add_u32_e32 v30, 0x17e0, v10
	v_add_u32_e32 v31, 0x17c0, v10
	v_cndmask_b32_e32 v10, v6, v8, vcc
	v_cndmask_b32_e32 v12, v8, v6, vcc
	s_addc_u32 s51, s41, 0
	v_or_b32_e32 v34, 0x1000, v0
	s_lshl_b32 s84, s83, 4
	v_lshl_or_b32 v35, v7, 2, v14
	v_mov_b32_e32 v38, 32
	v_mov_b32_e32 v36, s66
	;; [unrolled: 1-line block ×4, first 2 shown]
	s_branch .LBB35_13
.LBB35_12:                              ;   in Loop: Header=BB35_13 Depth=1
	s_or_b64 exec, exec, s[22:23]
	s_barrier
	ds_read_b32 v1, v0 offset:6272
	v_add_u32_e32 v36, v16, v36
	s_waitcnt lgkmcnt(0)
	s_barrier
	v_cmp_le_i32_e32 vcc, s49, v1
	v_readfirstlane_b32 s85, v1
	v_add_u32_e32 v38, 32, v1
	s_cbranch_vccnz .LBB35_93
.LBB35_13:                              ; =>This Loop Header: Depth=1
                                        ;     Child Loop BB35_17 Depth 2
                                        ;     Child Loop BB35_23 Depth 2
                                        ;       Child Loop BB35_36 Depth 3
                                        ;         Child Loop BB35_45 Depth 4
                                        ;         Child Loop BB35_50 Depth 4
                                        ;     Child Loop BB35_61 Depth 2
                                        ;     Child Loop BB35_70 Depth 2
	;; [unrolled: 1-line block ×3, first 2 shown]
	s_and_saveexec_b64 s[22:23], s[0:1]
	s_cbranch_execz .LBB35_15
; %bb.14:                               ;   in Loop: Header=BB35_13 Depth=1
	ds_write_b32 v27, v0
.LBB35_15:                              ;   in Loop: Header=BB35_13 Depth=1
	s_or_b64 exec, exec, s[22:23]
	s_and_saveexec_b64 s[22:23], s[2:3]
	s_cbranch_execz .LBB35_18
; %bb.16:                               ;   in Loop: Header=BB35_13 Depth=1
	s_mov_b64 s[24:25], 0
	v_mov_b32_e32 v14, v9
	v_mov_b32_e32 v15, v32
.LBB35_17:                              ;   Parent Loop BB35_13 Depth=1
                                        ; =>  This Inner Loop Header: Depth=2
	v_add_co_u32_e32 v15, vcc, 0x100, v15
	s_xor_b64 s[66:67], vcc, -1
	v_mov_b32_e32 v1, v0
	s_and_b64 s[66:67], exec, s[66:67]
	ds_write_b64 v14, v[0:1]
	s_or_b64 s[24:25], s[66:67], s[24:25]
	v_add_u32_e32 v14, 0x800, v14
	s_andn2_b64 exec, exec, s[24:25]
	s_cbranch_execnz .LBB35_17
.LBB35_18:                              ;   in Loop: Header=BB35_13 Depth=1
	s_or_b64 exec, exec, s[22:23]
	s_and_saveexec_b64 s[22:23], s[4:5]
	s_cbranch_execz .LBB35_20
; %bb.19:                               ;   in Loop: Header=BB35_13 Depth=1
	v_mov_b32_e32 v1, s49
	ds_write_b32 v0, v1 offset:6272
.LBB35_20:                              ;   in Loop: Header=BB35_13 Depth=1
	s_or_b64 exec, exec, s[22:23]
	s_andn2_b64 vcc, exec, s[64:65]
	v_mov_b32_e32 v1, s49
	s_waitcnt lgkmcnt(0)
	s_barrier
	s_cbranch_vccnz .LBB35_56
; %bb.21:                               ;   in Loop: Header=BB35_13 Depth=1
	s_cmp_lg_u32 s85, 0
	s_cselect_b64 s[66:67], -1, 0
	v_mov_b32_e32 v1, s49
	s_mov_b32 s86, s82
	s_branch .LBB35_23
.LBB35_22:                              ;   in Loop: Header=BB35_23 Depth=2
	s_or_b64 exec, exec, s[24:25]
	s_add_i32 s86, s86, 16
	s_cmp_lt_i32 s86, s33
	s_cbranch_scc0 .LBB35_56
.LBB35_23:                              ;   Parent Loop BB35_13 Depth=1
                                        ; =>  This Loop Header: Depth=2
                                        ;       Child Loop BB35_36 Depth 3
                                        ;         Child Loop BB35_45 Depth 4
                                        ;         Child Loop BB35_50 Depth 4
	v_add_u32_e32 v14, s86, v7
	v_cmp_gt_i32_e64 s[22:23], s33, v14
	s_barrier
	s_and_saveexec_b64 s[24:25], s[22:23]
	s_cbranch_execz .LBB35_27
; %bb.24:                               ;   in Loop: Header=BB35_23 Depth=2
	v_pk_mov_b32 v[16:17], 0, 0
	s_and_saveexec_b64 s[68:69], s[6:7]
	s_cbranch_execz .LBB35_26
; %bb.25:                               ;   in Loop: Header=BB35_23 Depth=2
	v_mad_u64_u32 v[16:17], s[70:71], v14, s50, v[8:9]
	v_mad_u64_u32 v[16:17], s[70:71], v16, s50, v[6:7]
	v_ashrrev_i32_e32 v17, 31, v16
	v_lshlrev_b64 v[16:17], 3, v[16:17]
	v_mov_b32_e32 v15, s39
	v_add_co_u32_e32 v16, vcc, s38, v16
	v_addc_co_u32_e32 v17, vcc, v15, v17, vcc
	global_load_dwordx2 v[16:17], v[16:17], off
.LBB35_26:                              ;   in Loop: Header=BB35_23 Depth=2
	s_or_b64 exec, exec, s[68:69]
	s_waitcnt vmcnt(0)
	ds_write_b64 v11, v[16:17]
.LBB35_27:                              ;   in Loop: Header=BB35_23 Depth=2
	s_or_b64 exec, exec, s[24:25]
	v_mov_b32_e32 v16, 0
	s_waitcnt lgkmcnt(0)
	s_barrier
	s_and_saveexec_b64 s[68:69], s[22:23]
	s_cbranch_execz .LBB35_53
; %bb.28:                               ;   in Loop: Header=BB35_23 Depth=2
	v_ashrrev_i32_e32 v15, 31, v14
	v_lshlrev_b64 v[16:17], 2, v[14:15]
	v_mov_b32_e32 v15, s37
	v_add_co_u32_e32 v18, vcc, s36, v16
	v_addc_co_u32_e32 v19, vcc, v15, v17, vcc
	global_load_dword v15, v[18:19], off
	s_and_b64 vcc, exec, s[66:67]
	s_waitcnt vmcnt(0)
	v_subrev_u32_e32 v18, s44, v15
	v_ashrrev_i32_e32 v19, 31, v18
	s_cbranch_vccz .LBB35_55
; %bb.29:                               ;   in Loop: Header=BB35_23 Depth=2
	v_mov_b32_e32 v15, s57
	v_add_co_u32_e32 v16, vcc, s56, v16
	v_addc_co_u32_e32 v17, vcc, v15, v17, vcc
	global_load_dword v16, v[16:17], off
	s_cbranch_execnz .LBB35_31
.LBB35_30:                              ;   in Loop: Header=BB35_23 Depth=2
	s_waitcnt vmcnt(0)
	v_lshlrev_b64 v[16:17], 2, v[18:19]
	v_mov_b32_e32 v15, s41
	v_add_co_u32_e32 v16, vcc, s40, v16
	v_addc_co_u32_e32 v17, vcc, v15, v17, vcc
	global_load_dword v15, v[16:17], off
	s_waitcnt vmcnt(0)
	v_subrev_u32_e32 v16, s45, v15
.LBB35_31:                              ;   in Loop: Header=BB35_23 Depth=2
	v_lshlrev_b64 v[18:19], 2, v[18:19]
	v_mov_b32_e32 v15, s51
	v_add_co_u32_e32 v18, vcc, s48, v18
	v_addc_co_u32_e32 v19, vcc, v15, v19, vcc
	global_load_dword v15, v[18:19], off
	s_waitcnt vmcnt(0)
	v_subrev_u32_e32 v15, s45, v15
	v_cmp_lt_i32_e32 vcc, v16, v15
	s_and_saveexec_b64 s[70:71], vcc
	s_cbranch_execz .LBB35_52
; %bb.32:                               ;   in Loop: Header=BB35_23 Depth=2
	v_mad_u64_u32 v[18:19], s[24:25], s50, v16, v[6:7]
	v_mul_lo_u32 v39, s50, v18
	v_mad_u64_u32 v[18:19], s[24:25], s83, v16, v[6:7]
	s_mov_b64 s[72:73], 0
	v_mov_b32_e32 v19, v16
	s_branch .LBB35_36
.LBB35_33:                              ;   in Loop: Header=BB35_36 Depth=3
	v_lshlrev_b32_e32 v17, 4, v17
	v_or3_b32 v17, v17, v13, v6
	v_lshlrev_b32_e32 v17, 3, v17
	v_mul_f64 v[20:21], v[2:3], v[20:21]
	ds_add_f64 v17, v[20:21]
.LBB35_34:                              ;   in Loop: Header=BB35_36 Depth=3
	s_or_b64 exec, exec, s[78:79]
	s_or_b64 s[74:75], s[74:75], exec
.LBB35_35:                              ;   in Loop: Header=BB35_36 Depth=3
	s_or_b64 exec, exec, s[76:77]
	v_add_u32_e32 v16, 1, v16
	v_cmp_ge_i32_e32 vcc, v16, v15
	s_xor_b64 s[24:25], s[74:75], -1
	s_or_b64 s[24:25], s[24:25], vcc
	s_and_b64 s[24:25], exec, s[24:25]
	v_add_u32_e32 v39, s83, v39
	s_or_b64 s[72:73], s[24:25], s[72:73]
	v_add_u32_e32 v18, s83, v18
	s_andn2_b64 exec, exec, s[72:73]
	s_cbranch_execz .LBB35_51
.LBB35_36:                              ;   Parent Loop BB35_13 Depth=1
                                        ;     Parent Loop BB35_23 Depth=2
                                        ; =>    This Loop Header: Depth=3
                                        ;         Child Loop BB35_45 Depth 4
                                        ;         Child Loop BB35_50 Depth 4
	v_ashrrev_i32_e32 v17, 31, v16
	v_lshlrev_b64 v[20:21], 2, v[16:17]
	v_mov_b32_e32 v17, s43
	v_add_co_u32_e32 v20, vcc, s42, v20
	v_addc_co_u32_e32 v21, vcc, v17, v21, vcc
	global_load_dword v17, v[20:21], off
                                        ; implicit-def: $sgpr74_sgpr75
	s_waitcnt vmcnt(0)
	v_subrev_u32_e32 v17, s45, v17
	v_cmp_gt_i32_e64 s[24:25], s85, v17
	v_cmp_ge_i32_e32 vcc, v17, v38
	s_or_b64 s[24:25], s[24:25], vcc
	s_and_saveexec_b64 s[76:77], s[24:25]
	s_xor_b64 s[24:25], exec, s[76:77]
	s_cbranch_execz .LBB35_40
; %bb.37:                               ;   in Loop: Header=BB35_36 Depth=3
	s_mov_b64 s[74:75], -1
	s_and_saveexec_b64 s[76:77], vcc
; %bb.38:                               ;   in Loop: Header=BB35_36 Depth=3
	v_min_i32_e32 v1, v17, v1
	s_xor_b64 s[74:75], exec, -1
	v_mov_b32_e32 v19, v16
; %bb.39:                               ;   in Loop: Header=BB35_36 Depth=3
	s_or_b64 exec, exec, s[76:77]
	s_and_b64 s[74:75], s[74:75], exec
                                        ; implicit-def: $vgpr17
.LBB35_40:                              ;   in Loop: Header=BB35_36 Depth=3
	s_andn2_saveexec_b64 s[76:77], s[24:25]
	s_cbranch_execz .LBB35_35
; %bb.41:                               ;   in Loop: Header=BB35_36 Depth=3
	v_subrev_u32_e32 v17, s85, v17
	v_lshlrev_b32_e32 v20, 2, v17
	ds_write_b32 v20, v37 offset:6144
	s_and_saveexec_b64 s[78:79], s[6:7]
	s_cbranch_execz .LBB35_34
; %bb.42:                               ;   in Loop: Header=BB35_36 Depth=3
	v_cndmask_b32_e64 v20, 0, 1, s[60:61]
	s_andn2_b64 vcc, exec, s[30:31]
	v_cmp_ne_u32_e64 s[24:25], 1, v20
	s_cbranch_vccnz .LBB35_47
; %bb.43:                               ;   in Loop: Header=BB35_36 Depth=3
	v_pk_mov_b32 v[20:21], 0, 0
	s_and_b64 vcc, exec, s[24:25]
	s_cbranch_vccnz .LBB35_46
; %bb.44:                               ;   in Loop: Header=BB35_36 Depth=3
	v_mov_b32_e32 v22, v39
	s_mov_b32 s80, s50
	v_mov_b32_e32 v40, v33
.LBB35_45:                              ;   Parent Loop BB35_13 Depth=1
                                        ;     Parent Loop BB35_23 Depth=2
                                        ;       Parent Loop BB35_36 Depth=3
                                        ; =>      This Inner Loop Header: Depth=4
	v_ashrrev_i32_e32 v23, 31, v22
	v_lshlrev_b64 v[42:43], 3, v[22:23]
	v_mov_b32_e32 v41, s59
	v_add_co_u32_e32 v42, vcc, s58, v42
	v_addc_co_u32_e32 v43, vcc, v41, v43, vcc
	global_load_dwordx2 v[42:43], v[42:43], off
	ds_read_b64 v[44:45], v40
	s_add_i32 s80, s80, -1
	v_add_u32_e32 v40, 32, v40
	v_add_u32_e32 v22, 1, v22
	s_cmp_lg_u32 s80, 0
	s_waitcnt vmcnt(0) lgkmcnt(0)
	v_fmac_f64_e32 v[20:21], v[44:45], v[42:43]
	s_cbranch_scc1 .LBB35_45
.LBB35_46:                              ;   in Loop: Header=BB35_36 Depth=3
	s_cbranch_execnz .LBB35_33
	s_branch .LBB35_48
.LBB35_47:                              ;   in Loop: Header=BB35_36 Depth=3
                                        ; implicit-def: $vgpr20_vgpr21
.LBB35_48:                              ;   in Loop: Header=BB35_36 Depth=3
	v_pk_mov_b32 v[20:21], 0, 0
	s_and_b64 vcc, exec, s[24:25]
	s_cbranch_vccnz .LBB35_33
; %bb.49:                               ;   in Loop: Header=BB35_36 Depth=3
	v_mov_b32_e32 v40, v34
	v_mov_b32_e32 v22, v18
	s_mov_b32 s24, s50
.LBB35_50:                              ;   Parent Loop BB35_13 Depth=1
                                        ;     Parent Loop BB35_23 Depth=2
                                        ;       Parent Loop BB35_36 Depth=3
                                        ; =>      This Inner Loop Header: Depth=4
	v_ashrrev_i32_e32 v23, 31, v22
	v_lshlrev_b64 v[42:43], 3, v[22:23]
	v_mov_b32_e32 v41, s59
	v_add_co_u32_e32 v42, vcc, s58, v42
	v_addc_co_u32_e32 v43, vcc, v41, v43, vcc
	global_load_dwordx2 v[42:43], v[42:43], off
	ds_read_b64 v[44:45], v40
	s_add_i32 s24, s24, -1
	v_add_u32_e32 v40, 8, v40
	v_add_u32_e32 v22, s50, v22
	s_cmp_eq_u32 s24, 0
	s_waitcnt vmcnt(0) lgkmcnt(0)
	v_fmac_f64_e32 v[20:21], v[44:45], v[42:43]
	s_cbranch_scc0 .LBB35_50
	s_branch .LBB35_33
.LBB35_51:                              ;   in Loop: Header=BB35_23 Depth=2
	s_or_b64 exec, exec, s[72:73]
	v_mov_b32_e32 v16, v19
.LBB35_52:                              ;   in Loop: Header=BB35_23 Depth=2
	s_or_b64 exec, exec, s[70:71]
.LBB35_53:                              ;   in Loop: Header=BB35_23 Depth=2
	s_or_b64 exec, exec, s[68:69]
	s_waitcnt lgkmcnt(0)
	s_barrier
	s_and_saveexec_b64 s[24:25], s[22:23]
	s_cbranch_execz .LBB35_22
; %bb.54:                               ;   in Loop: Header=BB35_23 Depth=2
	v_ashrrev_i32_e32 v15, 31, v14
	v_lshlrev_b64 v[14:15], 2, v[14:15]
	v_mov_b32_e32 v17, s57
	v_add_co_u32_e32 v14, vcc, s56, v14
	v_addc_co_u32_e32 v15, vcc, v17, v15, vcc
	global_store_dword v[14:15], v16, off
	s_branch .LBB35_22
.LBB35_55:                              ;   in Loop: Header=BB35_23 Depth=2
                                        ; implicit-def: $vgpr16
	s_branch .LBB35_30
.LBB35_56:                              ;   in Loop: Header=BB35_13 Depth=1
	s_andn2_b64 vcc, exec, s[34:35]
	s_cbranch_vccnz .LBB35_68
; %bb.57:                               ;   in Loop: Header=BB35_13 Depth=1
	s_load_dwordx2 s[22:23], s[62:63], 0x0
	s_waitcnt lgkmcnt(0)
	s_sub_i32 s72, s23, s47
	v_add_u32_e32 v14, s22, v24
	v_cmp_gt_i32_e32 vcc, s72, v14
	s_and_saveexec_b64 s[66:67], vcc
	s_cbranch_execz .LBB35_67
; %bb.58:                               ;   in Loop: Header=BB35_13 Depth=1
	v_mad_u64_u32 v[16:17], s[22:23], s50, v14, v[10:11]
	v_mad_u64_u32 v[16:17], s[22:23], s50, v16, v[12:13]
	s_mov_b64 s[68:69], 0
	s_branch .LBB35_61
.LBB35_59:                              ;   in Loop: Header=BB35_61 Depth=2
	s_or_b64 exec, exec, s[70:71]
	s_or_b64 s[22:23], s[22:23], exec
.LBB35_60:                              ;   in Loop: Header=BB35_61 Depth=2
	s_or_b64 exec, exec, s[24:25]
	v_add_u32_e32 v14, 16, v14
	v_cmp_le_i32_e32 vcc, s72, v14
	s_xor_b64 s[22:23], s[22:23], -1
	s_or_b64 s[22:23], vcc, s[22:23]
	s_and_b64 s[22:23], exec, s[22:23]
	s_or_b64 s[68:69], s[22:23], s[68:69]
	v_add_u32_e32 v16, s84, v16
	s_andn2_b64 exec, exec, s[68:69]
	s_cbranch_execz .LBB35_66
.LBB35_61:                              ;   Parent Loop BB35_13 Depth=1
                                        ; =>  This Inner Loop Header: Depth=2
	v_ashrrev_i32_e32 v15, 31, v14
	v_lshlrev_b64 v[18:19], 2, v[14:15]
	v_mov_b32_e32 v15, s27
	v_add_co_u32_e32 v18, vcc, s26, v18
	v_addc_co_u32_e32 v19, vcc, v15, v19, vcc
	global_load_dword v15, v[18:19], off
	s_waitcnt vmcnt(0)
	v_subrev_u32_e32 v15, s47, v15
	v_cmp_gt_i32_e64 s[22:23], s85, v15
	v_cmp_ge_i32_e64 s[24:25], v15, v38
	v_cmp_lt_i32_e32 vcc, v15, v38
	s_or_b64 s[24:25], s[22:23], s[24:25]
                                        ; implicit-def: $sgpr22_sgpr23
	s_and_saveexec_b64 s[70:71], s[24:25]
	s_xor_b64 s[24:25], exec, s[70:71]
; %bb.62:                               ;   in Loop: Header=BB35_61 Depth=2
	v_min_i32_e32 v15, v15, v1
	v_cndmask_b32_e32 v1, v15, v1, vcc
	s_and_b64 s[22:23], vcc, exec
                                        ; implicit-def: $vgpr15
; %bb.63:                               ;   in Loop: Header=BB35_61 Depth=2
	s_andn2_saveexec_b64 s[24:25], s[24:25]
	s_cbranch_execz .LBB35_60
; %bb.64:                               ;   in Loop: Header=BB35_61 Depth=2
	v_subrev_u32_e32 v15, s85, v15
	v_lshlrev_b32_e32 v17, 2, v15
	ds_write_b32 v17, v37 offset:6144
	s_and_saveexec_b64 s[70:71], s[6:7]
	s_cbranch_execz .LBB35_59
; %bb.65:                               ;   in Loop: Header=BB35_61 Depth=2
	v_ashrrev_i32_e32 v17, 31, v16
	v_lshlrev_b64 v[18:19], 3, v[16:17]
	v_mov_b32_e32 v17, s29
	v_add_co_u32_e32 v18, vcc, s28, v18
	v_addc_co_u32_e32 v19, vcc, v17, v19, vcc
	global_load_dwordx2 v[18:19], v[18:19], off
	v_lshlrev_b32_e32 v15, 4, v15
	v_or3_b32 v15, v15, v13, v6
	v_lshlrev_b32_e32 v15, 3, v15
	s_waitcnt vmcnt(0)
	v_mul_f64 v[18:19], v[4:5], v[18:19]
	ds_add_f64 v15, v[18:19]
	s_branch .LBB35_59
.LBB35_66:                              ;   in Loop: Header=BB35_13 Depth=1
	s_or_b64 exec, exec, s[68:69]
.LBB35_67:                              ;   in Loop: Header=BB35_13 Depth=1
	s_or_b64 exec, exec, s[66:67]
.LBB35_68:                              ;   in Loop: Header=BB35_13 Depth=1
	s_and_saveexec_b64 s[22:23], s[8:9]
	s_cbranch_execz .LBB35_73
; %bb.69:                               ;   in Loop: Header=BB35_13 Depth=1
	s_mov_b64 s[24:25], exec
	s_brev_b32 s66, -2
.LBB35_70:                              ;   Parent Loop BB35_13 Depth=1
                                        ; =>  This Inner Loop Header: Depth=2
	s_ff1_i32_b64 s67, s[24:25]
	v_readlane_b32 s70, v1, s67
	s_lshl_b64 s[68:69], 1, s67
	s_min_i32 s66, s66, s70
	s_andn2_b64 s[24:25], s[24:25], s[68:69]
	s_cmp_lg_u64 s[24:25], 0
	s_cbranch_scc1 .LBB35_70
; %bb.71:                               ;   in Loop: Header=BB35_13 Depth=1
	v_mbcnt_lo_u32_b32 v1, exec_lo, 0
	v_mbcnt_hi_u32_b32 v1, exec_hi, v1
	v_cmp_eq_u32_e32 vcc, 0, v1
	s_and_saveexec_b64 s[24:25], vcc
	s_xor_b64 s[24:25], exec, s[24:25]
	s_cbranch_execz .LBB35_73
; %bb.72:                               ;   in Loop: Header=BB35_13 Depth=1
	v_mov_b32_e32 v1, s66
	ds_min_i32 v0, v1 offset:6272
.LBB35_73:                              ;   in Loop: Header=BB35_13 Depth=1
	s_or_b64 exec, exec, s[22:23]
	s_waitcnt lgkmcnt(0)
	s_barrier
	ds_read_b32 v1, v25
	s_waitcnt lgkmcnt(0)
	s_barrier
	s_and_saveexec_b64 s[22:23], s[12:13]
	s_cbranch_execz .LBB35_75
; %bb.74:                               ;   in Loop: Header=BB35_13 Depth=1
	ds_read_b32 v14, v26
	s_waitcnt lgkmcnt(0)
	v_add_u32_e32 v1, v14, v1
.LBB35_75:                              ;   in Loop: Header=BB35_13 Depth=1
	s_or_b64 exec, exec, s[22:23]
	s_barrier
	ds_write_b32 v25, v1
	s_waitcnt lgkmcnt(0)
	s_barrier
	s_and_saveexec_b64 s[22:23], s[14:15]
	s_cbranch_execz .LBB35_77
; %bb.76:                               ;   in Loop: Header=BB35_13 Depth=1
	ds_read_b32 v14, v28
	s_waitcnt lgkmcnt(0)
	v_add_u32_e32 v1, v14, v1
.LBB35_77:                              ;   in Loop: Header=BB35_13 Depth=1
	s_or_b64 exec, exec, s[22:23]
	s_barrier
	ds_write_b32 v25, v1
	;; [unrolled: 12-line block ×5, first 2 shown]
	s_waitcnt lgkmcnt(0)
	s_barrier
	ds_read_b32 v16, v0 offset:6268
	v_mov_b32_e32 v14, 0
	s_and_saveexec_b64 s[22:23], s[10:11]
	s_cbranch_execz .LBB35_85
; %bb.84:                               ;   in Loop: Header=BB35_13 Depth=1
	ds_read_b32 v14, v26
.LBB35_85:                              ;   in Loop: Header=BB35_13 Depth=1
	s_or_b64 exec, exec, s[22:23]
	s_waitcnt lgkmcnt(0)
	v_cmp_eq_u32_e32 vcc, v1, v14
	s_and_b64 s[24:25], s[10:11], vcc
	s_barrier
	s_and_saveexec_b64 s[22:23], s[24:25]
	s_cbranch_execz .LBB35_87
; %bb.86:                               ;   in Loop: Header=BB35_13 Depth=1
	ds_write_b32 v25, v0
.LBB35_87:                              ;   in Loop: Header=BB35_13 Depth=1
	s_or_b64 exec, exec, s[22:23]
	s_waitcnt lgkmcnt(0)
	s_barrier
	s_and_saveexec_b64 s[22:23], s[2:3]
	s_cbranch_execz .LBB35_12
; %bb.88:                               ;   in Loop: Header=BB35_13 Depth=1
	v_add_u32_e32 v1, -1, v36
	s_add_i32 s68, s46, s85
	s_mov_b64 s[24:25], 0
	v_mov_b32_e32 v17, v35
	v_mov_b32_e32 v18, v9
	;; [unrolled: 1-line block ×3, first 2 shown]
	s_branch .LBB35_90
.LBB35_89:                              ;   in Loop: Header=BB35_90 Depth=2
	s_or_b64 exec, exec, s[66:67]
	v_add_u32_e32 v14, 16, v19
	v_cmp_lt_u32_e32 vcc, 15, v19
	v_add_u32_e32 v18, 0x800, v18
	v_add_u32_e32 v17, 64, v17
	s_or_b64 s[24:25], vcc, s[24:25]
	v_mov_b32_e32 v19, v14
	s_andn2_b64 exec, exec, s[24:25]
	s_cbranch_execz .LBB35_12
.LBB35_90:                              ;   Parent Loop BB35_13 Depth=1
                                        ; =>  This Inner Loop Header: Depth=2
	ds_read_b32 v14, v17
	s_waitcnt lgkmcnt(0)
	v_cmp_ne_u32_e32 vcc, 0, v14
	s_and_saveexec_b64 s[66:67], vcc
	s_cbranch_execz .LBB35_89
; %bb.91:                               ;   in Loop: Header=BB35_90 Depth=2
	v_add_u32_e32 v14, v1, v14
	v_ashrrev_i32_e32 v15, 31, v14
	v_lshlrev_b64 v[20:21], 2, v[14:15]
	v_mov_b32_e32 v15, s53
	v_add_co_u32_e32 v20, vcc, s52, v20
	v_add_u32_e32 v22, s68, v19
	v_addc_co_u32_e32 v21, vcc, v15, v21, vcc
	global_store_dword v[20:21], v22, off
	s_and_b64 exec, exec, s[6:7]
	s_cbranch_execz .LBB35_89
; %bb.92:                               ;   in Loop: Header=BB35_90 Depth=2
	v_mad_u64_u32 v[14:15], s[70:71], v14, s50, v[10:11]
	ds_read_b64 v[20:21], v18
	v_mad_u64_u32 v[14:15], s[70:71], v14, s50, v[12:13]
	v_ashrrev_i32_e32 v15, 31, v14
	v_lshlrev_b64 v[14:15], 3, v[14:15]
	v_mov_b32_e32 v22, s55
	v_add_co_u32_e32 v14, vcc, s54, v14
	v_addc_co_u32_e32 v15, vcc, v22, v15, vcc
	s_waitcnt lgkmcnt(0)
	global_store_dwordx2 v[14:15], v[20:21], off
	s_branch .LBB35_89
.LBB35_93:
	s_endpgm
	.section	.rodata,"a",@progbits
	.p2align	6, 0x0
	.amdhsa_kernel _ZN9rocsparseL38bsrgemm_block_per_row_atomic_multipassILj256ELj32ELj4EiidEEv20rocsparse_direction_T3_S2_PKS2_S4_NS_24const_host_device_scalarIT4_EEPKT2_S4_PKS6_SA_S4_SC_S7_SA_S4_SC_SA_PS2_PS6_PS8_21rocsparse_index_base_SG_SG_SG_bbb
		.amdhsa_group_segment_fixed_size 6280
		.amdhsa_private_segment_fixed_size 0
		.amdhsa_kernarg_size 172
		.amdhsa_user_sgpr_count 6
		.amdhsa_user_sgpr_private_segment_buffer 1
		.amdhsa_user_sgpr_dispatch_ptr 0
		.amdhsa_user_sgpr_queue_ptr 0
		.amdhsa_user_sgpr_kernarg_segment_ptr 1
		.amdhsa_user_sgpr_dispatch_id 0
		.amdhsa_user_sgpr_flat_scratch_init 0
		.amdhsa_user_sgpr_kernarg_preload_length 0
		.amdhsa_user_sgpr_kernarg_preload_offset 0
		.amdhsa_user_sgpr_private_segment_size 0
		.amdhsa_uses_dynamic_stack 0
		.amdhsa_system_sgpr_private_segment_wavefront_offset 0
		.amdhsa_system_sgpr_workgroup_id_x 1
		.amdhsa_system_sgpr_workgroup_id_y 0
		.amdhsa_system_sgpr_workgroup_id_z 0
		.amdhsa_system_sgpr_workgroup_info 0
		.amdhsa_system_vgpr_workitem_id 0
		.amdhsa_next_free_vgpr 46
		.amdhsa_next_free_sgpr 87
		.amdhsa_accum_offset 48
		.amdhsa_reserve_vcc 1
		.amdhsa_reserve_flat_scratch 0
		.amdhsa_float_round_mode_32 0
		.amdhsa_float_round_mode_16_64 0
		.amdhsa_float_denorm_mode_32 3
		.amdhsa_float_denorm_mode_16_64 3
		.amdhsa_dx10_clamp 1
		.amdhsa_ieee_mode 1
		.amdhsa_fp16_overflow 0
		.amdhsa_tg_split 0
		.amdhsa_exception_fp_ieee_invalid_op 0
		.amdhsa_exception_fp_denorm_src 0
		.amdhsa_exception_fp_ieee_div_zero 0
		.amdhsa_exception_fp_ieee_overflow 0
		.amdhsa_exception_fp_ieee_underflow 0
		.amdhsa_exception_fp_ieee_inexact 0
		.amdhsa_exception_int_div_zero 0
	.end_amdhsa_kernel
	.section	.text._ZN9rocsparseL38bsrgemm_block_per_row_atomic_multipassILj256ELj32ELj4EiidEEv20rocsparse_direction_T3_S2_PKS2_S4_NS_24const_host_device_scalarIT4_EEPKT2_S4_PKS6_SA_S4_SC_S7_SA_S4_SC_SA_PS2_PS6_PS8_21rocsparse_index_base_SG_SG_SG_bbb,"axG",@progbits,_ZN9rocsparseL38bsrgemm_block_per_row_atomic_multipassILj256ELj32ELj4EiidEEv20rocsparse_direction_T3_S2_PKS2_S4_NS_24const_host_device_scalarIT4_EEPKT2_S4_PKS6_SA_S4_SC_S7_SA_S4_SC_SA_PS2_PS6_PS8_21rocsparse_index_base_SG_SG_SG_bbb,comdat
.Lfunc_end35:
	.size	_ZN9rocsparseL38bsrgemm_block_per_row_atomic_multipassILj256ELj32ELj4EiidEEv20rocsparse_direction_T3_S2_PKS2_S4_NS_24const_host_device_scalarIT4_EEPKT2_S4_PKS6_SA_S4_SC_S7_SA_S4_SC_SA_PS2_PS6_PS8_21rocsparse_index_base_SG_SG_SG_bbb, .Lfunc_end35-_ZN9rocsparseL38bsrgemm_block_per_row_atomic_multipassILj256ELj32ELj4EiidEEv20rocsparse_direction_T3_S2_PKS2_S4_NS_24const_host_device_scalarIT4_EEPKT2_S4_PKS6_SA_S4_SC_S7_SA_S4_SC_SA_PS2_PS6_PS8_21rocsparse_index_base_SG_SG_SG_bbb
                                        ; -- End function
	.section	.AMDGPU.csdata,"",@progbits
; Kernel info:
; codeLenInByte = 2856
; NumSgprs: 91
; NumVgprs: 46
; NumAgprs: 0
; TotalNumVgprs: 46
; ScratchSize: 0
; MemoryBound: 0
; FloatMode: 240
; IeeeMode: 1
; LDSByteSize: 6280 bytes/workgroup (compile time only)
; SGPRBlocks: 11
; VGPRBlocks: 5
; NumSGPRsForWavesPerEU: 91
; NumVGPRsForWavesPerEU: 46
; AccumOffset: 48
; Occupancy: 8
; WaveLimiterHint : 1
; COMPUTE_PGM_RSRC2:SCRATCH_EN: 0
; COMPUTE_PGM_RSRC2:USER_SGPR: 6
; COMPUTE_PGM_RSRC2:TRAP_HANDLER: 0
; COMPUTE_PGM_RSRC2:TGID_X_EN: 1
; COMPUTE_PGM_RSRC2:TGID_Y_EN: 0
; COMPUTE_PGM_RSRC2:TGID_Z_EN: 0
; COMPUTE_PGM_RSRC2:TIDIG_COMP_CNT: 0
; COMPUTE_PGM_RSRC3_GFX90A:ACCUM_OFFSET: 11
; COMPUTE_PGM_RSRC3_GFX90A:TG_SPLIT: 0
	.section	.text._ZN9rocsparseL38bsrgemm_block_per_row_atomic_multipassILj256ELj64ELj4EiidEEv20rocsparse_direction_T3_S2_PKS2_S4_NS_24const_host_device_scalarIT4_EEPKT2_S4_PKS6_SA_S4_SC_S7_SA_S4_SC_SA_PS2_PS6_PS8_21rocsparse_index_base_SG_SG_SG_bbb,"axG",@progbits,_ZN9rocsparseL38bsrgemm_block_per_row_atomic_multipassILj256ELj64ELj4EiidEEv20rocsparse_direction_T3_S2_PKS2_S4_NS_24const_host_device_scalarIT4_EEPKT2_S4_PKS6_SA_S4_SC_S7_SA_S4_SC_SA_PS2_PS6_PS8_21rocsparse_index_base_SG_SG_SG_bbb,comdat
	.globl	_ZN9rocsparseL38bsrgemm_block_per_row_atomic_multipassILj256ELj64ELj4EiidEEv20rocsparse_direction_T3_S2_PKS2_S4_NS_24const_host_device_scalarIT4_EEPKT2_S4_PKS6_SA_S4_SC_S7_SA_S4_SC_SA_PS2_PS6_PS8_21rocsparse_index_base_SG_SG_SG_bbb ; -- Begin function _ZN9rocsparseL38bsrgemm_block_per_row_atomic_multipassILj256ELj64ELj4EiidEEv20rocsparse_direction_T3_S2_PKS2_S4_NS_24const_host_device_scalarIT4_EEPKT2_S4_PKS6_SA_S4_SC_S7_SA_S4_SC_SA_PS2_PS6_PS8_21rocsparse_index_base_SG_SG_SG_bbb
	.p2align	8
	.type	_ZN9rocsparseL38bsrgemm_block_per_row_atomic_multipassILj256ELj64ELj4EiidEEv20rocsparse_direction_T3_S2_PKS2_S4_NS_24const_host_device_scalarIT4_EEPKT2_S4_PKS6_SA_S4_SC_S7_SA_S4_SC_SA_PS2_PS6_PS8_21rocsparse_index_base_SG_SG_SG_bbb,@function
_ZN9rocsparseL38bsrgemm_block_per_row_atomic_multipassILj256ELj64ELj4EiidEEv20rocsparse_direction_T3_S2_PKS2_S4_NS_24const_host_device_scalarIT4_EEPKT2_S4_PKS6_SA_S4_SC_S7_SA_S4_SC_SA_PS2_PS6_PS8_21rocsparse_index_base_SG_SG_SG_bbb: ; @_ZN9rocsparseL38bsrgemm_block_per_row_atomic_multipassILj256ELj64ELj4EiidEEv20rocsparse_direction_T3_S2_PKS2_S4_NS_24const_host_device_scalarIT4_EEPKT2_S4_PKS6_SA_S4_SC_S7_SA_S4_SC_SA_PS2_PS6_PS8_21rocsparse_index_base_SG_SG_SG_bbb
; %bb.0:
	s_load_dword s7, s[4:5], 0xa8
	s_load_dwordx4 s[28:31], s[4:5], 0x98
	s_load_dwordx2 s[8:9], s[4:5], 0x20
	s_waitcnt lgkmcnt(0)
	s_and_b32 s0, 1, s7
	s_bitcmp1_b32 s7, 16
	s_cselect_b64 s[2:3], -1, 0
	s_cmp_eq_u32 s0, 1
	s_load_dwordx2 s[0:1], s[4:5], 0x58
	s_cselect_b64 s[22:23], -1, 0
	s_and_b64 s[10:11], s[22:23], exec
	s_cselect_b32 s11, s9, 0
	s_cselect_b32 s10, s8, 0
	s_xor_b64 s[12:13], s[22:23], -1
	s_or_b64 s[12:13], s[12:13], s[2:3]
	s_and_b64 vcc, exec, s[12:13]
	v_pk_mov_b32 v[2:3], s[10:11], s[10:11] op_sel:[0,1]
	s_cbranch_vccnz .LBB36_2
; %bb.1:
	v_pk_mov_b32 v[2:3], s[8:9], s[8:9] op_sel:[0,1]
	flat_load_dwordx2 v[2:3], v[2:3]
.LBB36_2:
	s_bitcmp1_b32 s7, 8
	s_load_dwordx2 s[8:9], s[4:5], 0x18
	s_cselect_b64 s[34:35], -1, 0
	s_and_b64 s[10:11], s[34:35], exec
	s_waitcnt lgkmcnt(0)
	s_cselect_b32 s11, s1, 0
	s_cselect_b32 s10, s0, 0
	s_xor_b64 s[12:13], s[34:35], -1
	s_or_b64 s[2:3], s[12:13], s[2:3]
	s_and_b64 vcc, exec, s[2:3]
	v_pk_mov_b32 v[4:5], s[10:11], s[10:11] op_sel:[0,1]
	s_cbranch_vccnz .LBB36_4
; %bb.3:
	v_pk_mov_b32 v[4:5], s[0:1], s[0:1] op_sel:[0,1]
	flat_load_dwordx2 v[4:5], v[4:5]
.LBB36_4:
	s_load_dwordx2 s[2:3], s[4:5], 0x28
	s_cmp_eq_u64 s[8:9], 0
	s_cbranch_scc1 .LBB36_6
; %bb.5:
	s_load_dwordx2 s[0:1], s[4:5], 0x10
	s_waitcnt lgkmcnt(0)
	s_load_dword s0, s[0:1], 0x0
	s_mov_b32 s1, 0
	s_waitcnt lgkmcnt(0)
	s_add_i32 s0, s0, s6
	s_lshl_b64 s[0:1], s[0:1], 2
	s_add_u32 s0, s8, s0
	s_addc_u32 s1, s9, s1
	s_load_dword s6, s[0:1], 0x0
.LBB36_6:
	v_cndmask_b32_e64 v1, 0, 1, s[22:23]
	s_mov_b32 s33, 0
	v_cmp_ne_u32_e64 s[0:1], 1, v1
	s_andn2_b64 vcc, exec, s[22:23]
	s_mov_b32 s82, 0
	s_cbranch_vccz .LBB36_9
; %bb.7:
	s_and_b64 vcc, exec, s[0:1]
	s_cbranch_vccz .LBB36_10
.LBB36_8:
	s_load_dwordx4 s[52:55], s[4:5], 0x0
	s_waitcnt lgkmcnt(0)
	s_cmp_lt_i32 s53, 1
	s_cbranch_scc0 .LBB36_11
	s_branch .LBB36_93
.LBB36_9:
	s_waitcnt lgkmcnt(0)
	s_ashr_i32 s7, s6, 31
	s_lshl_b64 s[8:9], s[6:7], 2
	s_add_u32 s8, s2, s8
	s_addc_u32 s9, s3, s9
	s_load_dword s7, s[8:9], 0x0
	s_waitcnt lgkmcnt(0)
	s_sub_i32 s82, s7, s28
	s_and_b64 vcc, exec, s[0:1]
	s_cbranch_vccnz .LBB36_8
.LBB36_10:
	s_waitcnt lgkmcnt(0)
	s_ashr_i32 s7, s6, 31
	s_lshl_b64 s[0:1], s[6:7], 2
	s_add_u32 s0, s2, s0
	s_addc_u32 s1, s3, s1
	s_load_dword s0, s[0:1], 0x4
	s_waitcnt lgkmcnt(0)
	s_sub_i32 s33, s0, s28
	s_load_dwordx4 s[52:55], s[4:5], 0x0
	s_waitcnt lgkmcnt(0)
	s_cmp_lt_i32 s53, 1
	s_cbranch_scc1 .LBB36_93
.LBB36_11:
	s_load_dwordx2 s[60:61], s[4:5], 0x90
	s_load_dwordx4 s[56:59], s[4:5], 0x80
	s_load_dwordx8 s[36:43], s[4:5], 0x60
	s_load_dwordx2 s[62:63], s[4:5], 0x50
	s_load_dwordx8 s[44:51], s[4:5], 0x30
	s_ashr_i32 s7, s6, 31
	s_lshl_b64 s[6:7], s[6:7], 2
	s_waitcnt lgkmcnt(0)
	s_add_u32 s0, s42, s6
	s_addc_u32 s1, s43, s7
	s_load_dword s0, s[0:1], 0x0
	v_and_b32_e32 v1, 15, v0
	v_and_b32_e32 v6, 3, v0
	v_bfe_u32 v8, v0, 2, 2
	v_lshrrev_b32_e32 v7, 4, v0
	s_waitcnt lgkmcnt(0)
	s_sub_i32 s26, s0, s30
	s_cmp_lt_i32 s82, s33
	s_cselect_b64 s[24:25], -1, 0
	s_cmp_eq_u32 s52, 0
	s_cselect_b64 vcc, -1, 0
	s_cmp_lg_u32 s52, 0
	s_cselect_b64 s[42:43], -1, 0
	s_cmp_gt_i32 s54, 0
	s_cselect_b64 s[64:65], -1, 0
	s_add_u32 s36, s36, s6
	v_max_i32_e32 v9, v6, v8
	s_addc_u32 s37, s37, s7
	v_cmp_eq_u32_e64 s[6:7], 15, v1
	v_and_b32_e32 v1, 63, v0
	v_mov_b32_e32 v14, 0x2800
	v_cmp_gt_u32_e64 s[0:1], 64, v0
	v_cmp_eq_u32_e64 s[2:3], 0, v0
	v_cmp_gt_i32_e64 s[4:5], s54, v9
	v_lshlrev_b32_e32 v9, 3, v0
	s_movk_i32 s27, 0x2000
	v_and_b32_e32 v13, 12, v0
	v_lshlrev_b32_e32 v10, 2, v1
	v_add_co_u32_e64 v12, s[8:9], -1, v1
	v_lshl_or_b32 v27, v0, 2, v14
	v_cmp_ne_u32_e64 s[10:11], 0, v1
	v_cmp_lt_u32_e64 s[12:13], 1, v1
	v_cmp_lt_u32_e64 s[14:15], 3, v1
	;; [unrolled: 1-line block ×5, first 2 shown]
	v_or_b32_e32 v33, 0xffffff00, v0
	v_lshlrev_b32_e32 v0, 7, v7
	v_lshlrev_b32_e32 v1, 3, v8
	s_and_b64 s[22:23], s[22:23], s[24:25]
	v_or3_b32 v34, v0, v1, s27
	v_and_b32_e32 v0, 0x7e0, v9
	v_lshl_add_u32 v26, v12, 2, v14
	s_add_u32 s52, s48, 4
	s_mul_i32 s83, s54, s54
	v_or_b32_e32 v35, 0x2000, v0
	v_lshl_or_b32 v36, v7, 2, v14
	v_mov_b32_e32 v0, 0
	v_cndmask_b32_e64 v14, 0, 1, s[22:23]
	s_mov_b32 s86, 0
	v_or_b32_e32 v11, 0x2000, v9
	v_subrev_u32_e32 v24, s31, v7
	v_or_b32_e32 v25, 0x2800, v10
	v_add_u32_e32 v28, 0x27f8, v10
	v_add_u32_e32 v29, 0x27f0, v10
	;; [unrolled: 1-line block ×5, first 2 shown]
	v_cndmask_b32_e32 v10, v6, v8, vcc
	v_cndmask_b32_e32 v12, v8, v6, vcc
	s_addc_u32 s55, s49, 0
	s_lshl_b32 s84, s83, 4
	v_mov_b32_e32 v39, 64
	v_mov_b32_e32 v37, s26
	;; [unrolled: 1-line block ×3, first 2 shown]
	s_movk_i32 s85, 0x2ff
	v_cmp_ne_u32_e64 s[22:23], 1, v14
	v_mov_b32_e32 v38, 1
	s_branch .LBB36_13
.LBB36_12:                              ;   in Loop: Header=BB36_13 Depth=1
	s_or_b64 exec, exec, s[24:25]
	s_barrier
	ds_read_b32 v14, v0 offset:10496
	v_add_u32_e32 v37, v16, v37
	s_waitcnt lgkmcnt(0)
	s_barrier
	v_cmp_le_i32_e32 vcc, s53, v14
	v_readfirstlane_b32 s86, v14
	v_add_u32_e32 v39, 64, v14
	s_cbranch_vccnz .LBB36_93
.LBB36_13:                              ; =>This Loop Header: Depth=1
                                        ;     Child Loop BB36_16 Depth 2
                                        ;     Child Loop BB36_22 Depth 2
                                        ;       Child Loop BB36_35 Depth 3
                                        ;         Child Loop BB36_44 Depth 4
                                        ;         Child Loop BB36_49 Depth 4
                                        ;     Child Loop BB36_60 Depth 2
                                        ;     Child Loop BB36_69 Depth 2
	;; [unrolled: 1-line block ×3, first 2 shown]
	s_and_saveexec_b64 s[24:25], s[0:1]
	s_cbranch_execz .LBB36_15
; %bb.14:                               ;   in Loop: Header=BB36_13 Depth=1
	ds_write_b32 v27, v0
.LBB36_15:                              ;   in Loop: Header=BB36_13 Depth=1
	s_or_b64 exec, exec, s[24:25]
	s_mov_b64 s[24:25], 0
	v_mov_b32_e32 v14, v9
	v_mov_b32_e32 v15, v33
.LBB36_16:                              ;   Parent Loop BB36_13 Depth=1
                                        ; =>  This Inner Loop Header: Depth=2
	v_add_u32_e32 v15, 0x100, v15
	v_cmp_lt_u32_e32 vcc, s85, v15
	ds_write_b64 v14, v[0:1]
	s_or_b64 s[24:25], vcc, s[24:25]
	v_add_u32_e32 v14, 0x800, v14
	s_andn2_b64 exec, exec, s[24:25]
	s_cbranch_execnz .LBB36_16
; %bb.17:                               ;   in Loop: Header=BB36_13 Depth=1
	s_or_b64 exec, exec, s[24:25]
	s_and_saveexec_b64 s[24:25], s[2:3]
	s_cbranch_execz .LBB36_19
; %bb.18:                               ;   in Loop: Header=BB36_13 Depth=1
	v_mov_b32_e32 v14, s53
	ds_write_b32 v0, v14 offset:10496
.LBB36_19:                              ;   in Loop: Header=BB36_13 Depth=1
	s_or_b64 exec, exec, s[24:25]
	s_and_b64 vcc, exec, s[22:23]
	v_mov_b32_e32 v40, s53
	s_waitcnt lgkmcnt(0)
	s_barrier
	s_cbranch_vccnz .LBB36_55
; %bb.20:                               ;   in Loop: Header=BB36_13 Depth=1
	s_cmp_lg_u32 s86, 0
	s_cselect_b64 s[66:67], -1, 0
	v_mov_b32_e32 v40, s53
	s_mov_b32 s87, s82
	s_branch .LBB36_22
.LBB36_21:                              ;   in Loop: Header=BB36_22 Depth=2
	s_or_b64 exec, exec, s[26:27]
	s_add_i32 s87, s87, 16
	s_cmp_lt_i32 s87, s33
	s_cbranch_scc0 .LBB36_55
.LBB36_22:                              ;   Parent Loop BB36_13 Depth=1
                                        ; =>  This Loop Header: Depth=2
                                        ;       Child Loop BB36_35 Depth 3
                                        ;         Child Loop BB36_44 Depth 4
                                        ;         Child Loop BB36_49 Depth 4
	v_add_u32_e32 v14, s87, v7
	v_cmp_gt_i32_e64 s[24:25], s33, v14
	s_barrier
	s_and_saveexec_b64 s[26:27], s[24:25]
	s_cbranch_execz .LBB36_26
; %bb.23:                               ;   in Loop: Header=BB36_22 Depth=2
	v_pk_mov_b32 v[16:17], 0, 0
	s_and_saveexec_b64 s[68:69], s[4:5]
	s_cbranch_execz .LBB36_25
; %bb.24:                               ;   in Loop: Header=BB36_22 Depth=2
	v_mad_u64_u32 v[16:17], s[70:71], v14, s54, v[8:9]
	v_mad_u64_u32 v[16:17], s[70:71], v16, s54, v[6:7]
	v_ashrrev_i32_e32 v17, 31, v16
	v_lshlrev_b64 v[16:17], 3, v[16:17]
	v_mov_b32_e32 v15, s47
	v_add_co_u32_e32 v16, vcc, s46, v16
	v_addc_co_u32_e32 v17, vcc, v15, v17, vcc
	global_load_dwordx2 v[16:17], v[16:17], off
.LBB36_25:                              ;   in Loop: Header=BB36_22 Depth=2
	s_or_b64 exec, exec, s[68:69]
	s_waitcnt vmcnt(0)
	ds_write_b64 v11, v[16:17]
.LBB36_26:                              ;   in Loop: Header=BB36_22 Depth=2
	s_or_b64 exec, exec, s[26:27]
	v_mov_b32_e32 v16, 0
	s_waitcnt lgkmcnt(0)
	s_barrier
	s_and_saveexec_b64 s[68:69], s[24:25]
	s_cbranch_execz .LBB36_52
; %bb.27:                               ;   in Loop: Header=BB36_22 Depth=2
	v_ashrrev_i32_e32 v15, 31, v14
	v_lshlrev_b64 v[16:17], 2, v[14:15]
	v_mov_b32_e32 v15, s45
	v_add_co_u32_e32 v18, vcc, s44, v16
	v_addc_co_u32_e32 v19, vcc, v15, v17, vcc
	global_load_dword v15, v[18:19], off
	s_and_b64 vcc, exec, s[66:67]
	s_waitcnt vmcnt(0)
	v_subrev_u32_e32 v18, s28, v15
	v_ashrrev_i32_e32 v19, 31, v18
	s_cbranch_vccz .LBB36_54
; %bb.28:                               ;   in Loop: Header=BB36_22 Depth=2
	v_mov_b32_e32 v15, s61
	v_add_co_u32_e32 v16, vcc, s60, v16
	v_addc_co_u32_e32 v17, vcc, v15, v17, vcc
	global_load_dword v16, v[16:17], off
	s_cbranch_execnz .LBB36_30
.LBB36_29:                              ;   in Loop: Header=BB36_22 Depth=2
	s_waitcnt vmcnt(0)
	v_lshlrev_b64 v[16:17], 2, v[18:19]
	v_mov_b32_e32 v15, s49
	v_add_co_u32_e32 v16, vcc, s48, v16
	v_addc_co_u32_e32 v17, vcc, v15, v17, vcc
	global_load_dword v15, v[16:17], off
	s_waitcnt vmcnt(0)
	v_subrev_u32_e32 v16, s29, v15
.LBB36_30:                              ;   in Loop: Header=BB36_22 Depth=2
	v_lshlrev_b64 v[18:19], 2, v[18:19]
	v_mov_b32_e32 v15, s55
	v_add_co_u32_e32 v18, vcc, s52, v18
	v_addc_co_u32_e32 v19, vcc, v15, v19, vcc
	global_load_dword v15, v[18:19], off
	s_waitcnt vmcnt(0)
	v_subrev_u32_e32 v15, s29, v15
	v_cmp_lt_i32_e32 vcc, v16, v15
	s_and_saveexec_b64 s[70:71], vcc
	s_cbranch_execz .LBB36_51
; %bb.31:                               ;   in Loop: Header=BB36_22 Depth=2
	v_mad_u64_u32 v[18:19], s[26:27], s54, v16, v[6:7]
	v_mul_lo_u32 v41, s54, v18
	v_mad_u64_u32 v[18:19], s[26:27], s83, v16, v[6:7]
	s_mov_b64 s[72:73], 0
	v_mov_b32_e32 v19, v16
	s_branch .LBB36_35
.LBB36_32:                              ;   in Loop: Header=BB36_35 Depth=3
	v_lshlrev_b32_e32 v17, 4, v17
	v_or3_b32 v17, v17, v13, v6
	v_lshlrev_b32_e32 v17, 3, v17
	v_mul_f64 v[20:21], v[2:3], v[20:21]
	ds_add_f64 v17, v[20:21]
.LBB36_33:                              ;   in Loop: Header=BB36_35 Depth=3
	s_or_b64 exec, exec, s[78:79]
	s_or_b64 s[74:75], s[74:75], exec
.LBB36_34:                              ;   in Loop: Header=BB36_35 Depth=3
	s_or_b64 exec, exec, s[76:77]
	v_add_u32_e32 v16, 1, v16
	v_cmp_ge_i32_e32 vcc, v16, v15
	s_xor_b64 s[26:27], s[74:75], -1
	s_or_b64 s[26:27], s[26:27], vcc
	s_and_b64 s[26:27], exec, s[26:27]
	v_add_u32_e32 v41, s83, v41
	s_or_b64 s[72:73], s[26:27], s[72:73]
	v_add_u32_e32 v18, s83, v18
	s_andn2_b64 exec, exec, s[72:73]
	s_cbranch_execz .LBB36_50
.LBB36_35:                              ;   Parent Loop BB36_13 Depth=1
                                        ;     Parent Loop BB36_22 Depth=2
                                        ; =>    This Loop Header: Depth=3
                                        ;         Child Loop BB36_44 Depth 4
                                        ;         Child Loop BB36_49 Depth 4
	v_ashrrev_i32_e32 v17, 31, v16
	v_lshlrev_b64 v[20:21], 2, v[16:17]
	v_mov_b32_e32 v17, s51
	v_add_co_u32_e32 v20, vcc, s50, v20
	v_addc_co_u32_e32 v21, vcc, v17, v21, vcc
	global_load_dword v17, v[20:21], off
                                        ; implicit-def: $sgpr74_sgpr75
	s_waitcnt vmcnt(0)
	v_subrev_u32_e32 v17, s29, v17
	v_cmp_gt_i32_e64 s[26:27], s86, v17
	v_cmp_ge_i32_e32 vcc, v17, v39
	s_or_b64 s[26:27], s[26:27], vcc
	s_and_saveexec_b64 s[76:77], s[26:27]
	s_xor_b64 s[26:27], exec, s[76:77]
	s_cbranch_execz .LBB36_39
; %bb.36:                               ;   in Loop: Header=BB36_35 Depth=3
	s_mov_b64 s[74:75], -1
	s_and_saveexec_b64 s[76:77], vcc
; %bb.37:                               ;   in Loop: Header=BB36_35 Depth=3
	v_min_i32_e32 v40, v17, v40
	s_xor_b64 s[74:75], exec, -1
	v_mov_b32_e32 v19, v16
; %bb.38:                               ;   in Loop: Header=BB36_35 Depth=3
	s_or_b64 exec, exec, s[76:77]
	s_and_b64 s[74:75], s[74:75], exec
                                        ; implicit-def: $vgpr17
.LBB36_39:                              ;   in Loop: Header=BB36_35 Depth=3
	s_andn2_saveexec_b64 s[76:77], s[26:27]
	s_cbranch_execz .LBB36_34
; %bb.40:                               ;   in Loop: Header=BB36_35 Depth=3
	v_subrev_u32_e32 v17, s86, v17
	v_lshlrev_b32_e32 v20, 2, v17
	ds_write_b32 v20, v38 offset:10240
	s_and_saveexec_b64 s[78:79], s[4:5]
	s_cbranch_execz .LBB36_33
; %bb.41:                               ;   in Loop: Header=BB36_35 Depth=3
	v_cndmask_b32_e64 v20, 0, 1, s[64:65]
	s_andn2_b64 vcc, exec, s[42:43]
	v_cmp_ne_u32_e64 s[26:27], 1, v20
	s_cbranch_vccnz .LBB36_46
; %bb.42:                               ;   in Loop: Header=BB36_35 Depth=3
	v_pk_mov_b32 v[20:21], 0, 0
	s_and_b64 vcc, exec, s[26:27]
	s_cbranch_vccnz .LBB36_45
; %bb.43:                               ;   in Loop: Header=BB36_35 Depth=3
	v_mov_b32_e32 v22, v41
	s_mov_b32 s80, s54
	v_mov_b32_e32 v42, v34
.LBB36_44:                              ;   Parent Loop BB36_13 Depth=1
                                        ;     Parent Loop BB36_22 Depth=2
                                        ;       Parent Loop BB36_35 Depth=3
                                        ; =>      This Inner Loop Header: Depth=4
	v_ashrrev_i32_e32 v23, 31, v22
	v_lshlrev_b64 v[44:45], 3, v[22:23]
	v_mov_b32_e32 v43, s63
	v_add_co_u32_e32 v44, vcc, s62, v44
	v_addc_co_u32_e32 v45, vcc, v43, v45, vcc
	global_load_dwordx2 v[44:45], v[44:45], off
	ds_read_b64 v[46:47], v42
	s_add_i32 s80, s80, -1
	v_add_u32_e32 v42, 32, v42
	v_add_u32_e32 v22, 1, v22
	s_cmp_lg_u32 s80, 0
	s_waitcnt vmcnt(0) lgkmcnt(0)
	v_fmac_f64_e32 v[20:21], v[46:47], v[44:45]
	s_cbranch_scc1 .LBB36_44
.LBB36_45:                              ;   in Loop: Header=BB36_35 Depth=3
	s_cbranch_execnz .LBB36_32
	s_branch .LBB36_47
.LBB36_46:                              ;   in Loop: Header=BB36_35 Depth=3
                                        ; implicit-def: $vgpr20_vgpr21
.LBB36_47:                              ;   in Loop: Header=BB36_35 Depth=3
	v_pk_mov_b32 v[20:21], 0, 0
	s_and_b64 vcc, exec, s[26:27]
	s_cbranch_vccnz .LBB36_32
; %bb.48:                               ;   in Loop: Header=BB36_35 Depth=3
	v_mov_b32_e32 v42, v35
	v_mov_b32_e32 v22, v18
	s_mov_b32 s26, s54
.LBB36_49:                              ;   Parent Loop BB36_13 Depth=1
                                        ;     Parent Loop BB36_22 Depth=2
                                        ;       Parent Loop BB36_35 Depth=3
                                        ; =>      This Inner Loop Header: Depth=4
	v_ashrrev_i32_e32 v23, 31, v22
	v_lshlrev_b64 v[44:45], 3, v[22:23]
	v_mov_b32_e32 v43, s63
	v_add_co_u32_e32 v44, vcc, s62, v44
	v_addc_co_u32_e32 v45, vcc, v43, v45, vcc
	global_load_dwordx2 v[44:45], v[44:45], off
	ds_read_b64 v[46:47], v42
	s_add_i32 s26, s26, -1
	v_add_u32_e32 v42, 8, v42
	v_add_u32_e32 v22, s54, v22
	s_cmp_eq_u32 s26, 0
	s_waitcnt vmcnt(0) lgkmcnt(0)
	v_fmac_f64_e32 v[20:21], v[46:47], v[44:45]
	s_cbranch_scc0 .LBB36_49
	s_branch .LBB36_32
.LBB36_50:                              ;   in Loop: Header=BB36_22 Depth=2
	s_or_b64 exec, exec, s[72:73]
	v_mov_b32_e32 v16, v19
.LBB36_51:                              ;   in Loop: Header=BB36_22 Depth=2
	s_or_b64 exec, exec, s[70:71]
.LBB36_52:                              ;   in Loop: Header=BB36_22 Depth=2
	s_or_b64 exec, exec, s[68:69]
	s_waitcnt lgkmcnt(0)
	s_barrier
	s_and_saveexec_b64 s[26:27], s[24:25]
	s_cbranch_execz .LBB36_21
; %bb.53:                               ;   in Loop: Header=BB36_22 Depth=2
	v_ashrrev_i32_e32 v15, 31, v14
	v_lshlrev_b64 v[14:15], 2, v[14:15]
	v_mov_b32_e32 v17, s61
	v_add_co_u32_e32 v14, vcc, s60, v14
	v_addc_co_u32_e32 v15, vcc, v17, v15, vcc
	global_store_dword v[14:15], v16, off
	s_branch .LBB36_21
.LBB36_54:                              ;   in Loop: Header=BB36_22 Depth=2
                                        ; implicit-def: $vgpr16
	s_branch .LBB36_29
.LBB36_55:                              ;   in Loop: Header=BB36_13 Depth=1
	s_andn2_b64 vcc, exec, s[34:35]
	s_cbranch_vccnz .LBB36_67
; %bb.56:                               ;   in Loop: Header=BB36_13 Depth=1
	s_load_dwordx2 s[24:25], s[36:37], 0x0
	s_waitcnt lgkmcnt(0)
	s_sub_i32 s72, s25, s31
	v_add_u32_e32 v14, s24, v24
	v_cmp_gt_i32_e32 vcc, s72, v14
	s_and_saveexec_b64 s[66:67], vcc
	s_cbranch_execz .LBB36_66
; %bb.57:                               ;   in Loop: Header=BB36_13 Depth=1
	v_mad_u64_u32 v[16:17], s[24:25], s54, v14, v[10:11]
	v_mad_u64_u32 v[16:17], s[24:25], s54, v16, v[12:13]
	s_mov_b64 s[68:69], 0
	s_branch .LBB36_60
.LBB36_58:                              ;   in Loop: Header=BB36_60 Depth=2
	s_or_b64 exec, exec, s[70:71]
	s_or_b64 s[24:25], s[24:25], exec
.LBB36_59:                              ;   in Loop: Header=BB36_60 Depth=2
	s_or_b64 exec, exec, s[26:27]
	v_add_u32_e32 v14, 16, v14
	v_cmp_le_i32_e32 vcc, s72, v14
	s_xor_b64 s[24:25], s[24:25], -1
	s_or_b64 s[24:25], vcc, s[24:25]
	s_and_b64 s[24:25], exec, s[24:25]
	s_or_b64 s[68:69], s[24:25], s[68:69]
	v_add_u32_e32 v16, s84, v16
	s_andn2_b64 exec, exec, s[68:69]
	s_cbranch_execz .LBB36_65
.LBB36_60:                              ;   Parent Loop BB36_13 Depth=1
                                        ; =>  This Inner Loop Header: Depth=2
	v_ashrrev_i32_e32 v15, 31, v14
	v_lshlrev_b64 v[18:19], 2, v[14:15]
	v_mov_b32_e32 v15, s39
	v_add_co_u32_e32 v18, vcc, s38, v18
	v_addc_co_u32_e32 v19, vcc, v15, v19, vcc
	global_load_dword v15, v[18:19], off
	s_waitcnt vmcnt(0)
	v_subrev_u32_e32 v15, s31, v15
	v_cmp_gt_i32_e64 s[24:25], s86, v15
	v_cmp_ge_i32_e64 s[26:27], v15, v39
	v_cmp_lt_i32_e32 vcc, v15, v39
	s_or_b64 s[26:27], s[24:25], s[26:27]
                                        ; implicit-def: $sgpr24_sgpr25
	s_and_saveexec_b64 s[70:71], s[26:27]
	s_xor_b64 s[26:27], exec, s[70:71]
; %bb.61:                               ;   in Loop: Header=BB36_60 Depth=2
	v_min_i32_e32 v15, v15, v40
	v_cndmask_b32_e32 v40, v15, v40, vcc
	s_and_b64 s[24:25], vcc, exec
                                        ; implicit-def: $vgpr15
; %bb.62:                               ;   in Loop: Header=BB36_60 Depth=2
	s_andn2_saveexec_b64 s[26:27], s[26:27]
	s_cbranch_execz .LBB36_59
; %bb.63:                               ;   in Loop: Header=BB36_60 Depth=2
	v_subrev_u32_e32 v15, s86, v15
	v_lshlrev_b32_e32 v17, 2, v15
	ds_write_b32 v17, v38 offset:10240
	s_and_saveexec_b64 s[70:71], s[4:5]
	s_cbranch_execz .LBB36_58
; %bb.64:                               ;   in Loop: Header=BB36_60 Depth=2
	v_ashrrev_i32_e32 v17, 31, v16
	v_lshlrev_b64 v[18:19], 3, v[16:17]
	v_mov_b32_e32 v17, s41
	v_add_co_u32_e32 v18, vcc, s40, v18
	v_addc_co_u32_e32 v19, vcc, v17, v19, vcc
	global_load_dwordx2 v[18:19], v[18:19], off
	v_lshlrev_b32_e32 v15, 4, v15
	v_or3_b32 v15, v15, v13, v6
	v_lshlrev_b32_e32 v15, 3, v15
	s_waitcnt vmcnt(0)
	v_mul_f64 v[18:19], v[4:5], v[18:19]
	ds_add_f64 v15, v[18:19]
	s_branch .LBB36_58
.LBB36_65:                              ;   in Loop: Header=BB36_13 Depth=1
	s_or_b64 exec, exec, s[68:69]
.LBB36_66:                              ;   in Loop: Header=BB36_13 Depth=1
	s_or_b64 exec, exec, s[66:67]
.LBB36_67:                              ;   in Loop: Header=BB36_13 Depth=1
	s_and_saveexec_b64 s[24:25], s[6:7]
	s_cbranch_execz .LBB36_72
; %bb.68:                               ;   in Loop: Header=BB36_13 Depth=1
	s_mov_b64 s[26:27], exec
	s_brev_b32 s66, -2
.LBB36_69:                              ;   Parent Loop BB36_13 Depth=1
                                        ; =>  This Inner Loop Header: Depth=2
	s_ff1_i32_b64 s67, s[26:27]
	v_readlane_b32 s70, v40, s67
	s_lshl_b64 s[68:69], 1, s67
	s_min_i32 s66, s66, s70
	s_andn2_b64 s[26:27], s[26:27], s[68:69]
	s_cmp_lg_u64 s[26:27], 0
	s_cbranch_scc1 .LBB36_69
; %bb.70:                               ;   in Loop: Header=BB36_13 Depth=1
	v_mbcnt_lo_u32_b32 v14, exec_lo, 0
	v_mbcnt_hi_u32_b32 v14, exec_hi, v14
	v_cmp_eq_u32_e32 vcc, 0, v14
	s_and_saveexec_b64 s[26:27], vcc
	s_xor_b64 s[26:27], exec, s[26:27]
	s_cbranch_execz .LBB36_72
; %bb.71:                               ;   in Loop: Header=BB36_13 Depth=1
	v_mov_b32_e32 v14, s66
	ds_min_i32 v0, v14 offset:10496
.LBB36_72:                              ;   in Loop: Header=BB36_13 Depth=1
	s_or_b64 exec, exec, s[24:25]
	s_waitcnt lgkmcnt(0)
	s_barrier
	ds_read_b32 v14, v25
	s_waitcnt lgkmcnt(0)
	s_barrier
	s_and_saveexec_b64 s[24:25], s[10:11]
	s_cbranch_execz .LBB36_74
; %bb.73:                               ;   in Loop: Header=BB36_13 Depth=1
	ds_read_b32 v15, v26
	s_waitcnt lgkmcnt(0)
	v_add_u32_e32 v14, v15, v14
.LBB36_74:                              ;   in Loop: Header=BB36_13 Depth=1
	s_or_b64 exec, exec, s[24:25]
	s_barrier
	ds_write_b32 v25, v14
	s_waitcnt lgkmcnt(0)
	s_barrier
	s_and_saveexec_b64 s[24:25], s[12:13]
	s_cbranch_execz .LBB36_76
; %bb.75:                               ;   in Loop: Header=BB36_13 Depth=1
	ds_read_b32 v15, v28
	s_waitcnt lgkmcnt(0)
	v_add_u32_e32 v14, v15, v14
.LBB36_76:                              ;   in Loop: Header=BB36_13 Depth=1
	s_or_b64 exec, exec, s[24:25]
	s_barrier
	ds_write_b32 v25, v14
	;; [unrolled: 12-line block ×6, first 2 shown]
	s_waitcnt lgkmcnt(0)
	s_barrier
	ds_read_b32 v16, v0 offset:10492
	v_mov_b32_e32 v15, 0
	s_and_saveexec_b64 s[24:25], s[8:9]
	s_cbranch_execz .LBB36_86
; %bb.85:                               ;   in Loop: Header=BB36_13 Depth=1
	ds_read_b32 v15, v26
.LBB36_86:                              ;   in Loop: Header=BB36_13 Depth=1
	s_or_b64 exec, exec, s[24:25]
	s_waitcnt lgkmcnt(0)
	v_cmp_eq_u32_e32 vcc, v14, v15
	s_and_b64 s[26:27], s[8:9], vcc
	s_barrier
	s_and_saveexec_b64 s[24:25], s[26:27]
	s_cbranch_execz .LBB36_88
; %bb.87:                               ;   in Loop: Header=BB36_13 Depth=1
	ds_write_b32 v25, v0
.LBB36_88:                              ;   in Loop: Header=BB36_13 Depth=1
	s_or_b64 exec, exec, s[24:25]
	v_add_u32_e32 v17, -1, v37
	s_add_i32 s66, s30, s86
	s_mov_b64 s[24:25], 0
	v_mov_b32_e32 v18, v36
	v_mov_b32_e32 v19, v9
	;; [unrolled: 1-line block ×3, first 2 shown]
	s_waitcnt lgkmcnt(0)
	s_barrier
	s_branch .LBB36_90
.LBB36_89:                              ;   in Loop: Header=BB36_90 Depth=2
	s_or_b64 exec, exec, s[26:27]
	v_add_u32_e32 v14, 16, v20
	v_cmp_lt_u32_e32 vcc, 47, v20
	v_add_u32_e32 v19, 0x800, v19
	v_add_u32_e32 v18, 64, v18
	s_or_b64 s[24:25], vcc, s[24:25]
	v_mov_b32_e32 v20, v14
	s_andn2_b64 exec, exec, s[24:25]
	s_cbranch_execz .LBB36_12
.LBB36_90:                              ;   Parent Loop BB36_13 Depth=1
                                        ; =>  This Inner Loop Header: Depth=2
	ds_read_b32 v14, v18
	s_waitcnt lgkmcnt(0)
	v_cmp_ne_u32_e32 vcc, 0, v14
	s_and_saveexec_b64 s[26:27], vcc
	s_cbranch_execz .LBB36_89
; %bb.91:                               ;   in Loop: Header=BB36_90 Depth=2
	v_add_u32_e32 v14, v17, v14
	v_ashrrev_i32_e32 v15, 31, v14
	v_lshlrev_b64 v[22:23], 2, v[14:15]
	v_mov_b32_e32 v15, s57
	v_add_co_u32_e32 v22, vcc, s56, v22
	v_add_u32_e32 v21, s66, v20
	v_addc_co_u32_e32 v23, vcc, v15, v23, vcc
	global_store_dword v[22:23], v21, off
	s_and_b64 exec, exec, s[4:5]
	s_cbranch_execz .LBB36_89
; %bb.92:                               ;   in Loop: Header=BB36_90 Depth=2
	v_mad_u64_u32 v[14:15], s[68:69], v14, s54, v[10:11]
	ds_read_b64 v[22:23], v19
	v_mad_u64_u32 v[14:15], s[68:69], v14, s54, v[12:13]
	v_ashrrev_i32_e32 v15, 31, v14
	v_lshlrev_b64 v[14:15], 3, v[14:15]
	v_mov_b32_e32 v21, s59
	v_add_co_u32_e32 v14, vcc, s58, v14
	v_addc_co_u32_e32 v15, vcc, v21, v15, vcc
	s_waitcnt lgkmcnt(0)
	global_store_dwordx2 v[14:15], v[22:23], off
	s_branch .LBB36_89
.LBB36_93:
	s_endpgm
	.section	.rodata,"a",@progbits
	.p2align	6, 0x0
	.amdhsa_kernel _ZN9rocsparseL38bsrgemm_block_per_row_atomic_multipassILj256ELj64ELj4EiidEEv20rocsparse_direction_T3_S2_PKS2_S4_NS_24const_host_device_scalarIT4_EEPKT2_S4_PKS6_SA_S4_SC_S7_SA_S4_SC_SA_PS2_PS6_PS8_21rocsparse_index_base_SG_SG_SG_bbb
		.amdhsa_group_segment_fixed_size 10504
		.amdhsa_private_segment_fixed_size 0
		.amdhsa_kernarg_size 172
		.amdhsa_user_sgpr_count 6
		.amdhsa_user_sgpr_private_segment_buffer 1
		.amdhsa_user_sgpr_dispatch_ptr 0
		.amdhsa_user_sgpr_queue_ptr 0
		.amdhsa_user_sgpr_kernarg_segment_ptr 1
		.amdhsa_user_sgpr_dispatch_id 0
		.amdhsa_user_sgpr_flat_scratch_init 0
		.amdhsa_user_sgpr_kernarg_preload_length 0
		.amdhsa_user_sgpr_kernarg_preload_offset 0
		.amdhsa_user_sgpr_private_segment_size 0
		.amdhsa_uses_dynamic_stack 0
		.amdhsa_system_sgpr_private_segment_wavefront_offset 0
		.amdhsa_system_sgpr_workgroup_id_x 1
		.amdhsa_system_sgpr_workgroup_id_y 0
		.amdhsa_system_sgpr_workgroup_id_z 0
		.amdhsa_system_sgpr_workgroup_info 0
		.amdhsa_system_vgpr_workitem_id 0
		.amdhsa_next_free_vgpr 48
		.amdhsa_next_free_sgpr 88
		.amdhsa_accum_offset 48
		.amdhsa_reserve_vcc 1
		.amdhsa_reserve_flat_scratch 0
		.amdhsa_float_round_mode_32 0
		.amdhsa_float_round_mode_16_64 0
		.amdhsa_float_denorm_mode_32 3
		.amdhsa_float_denorm_mode_16_64 3
		.amdhsa_dx10_clamp 1
		.amdhsa_ieee_mode 1
		.amdhsa_fp16_overflow 0
		.amdhsa_tg_split 0
		.amdhsa_exception_fp_ieee_invalid_op 0
		.amdhsa_exception_fp_denorm_src 0
		.amdhsa_exception_fp_ieee_div_zero 0
		.amdhsa_exception_fp_ieee_overflow 0
		.amdhsa_exception_fp_ieee_underflow 0
		.amdhsa_exception_fp_ieee_inexact 0
		.amdhsa_exception_int_div_zero 0
	.end_amdhsa_kernel
	.section	.text._ZN9rocsparseL38bsrgemm_block_per_row_atomic_multipassILj256ELj64ELj4EiidEEv20rocsparse_direction_T3_S2_PKS2_S4_NS_24const_host_device_scalarIT4_EEPKT2_S4_PKS6_SA_S4_SC_S7_SA_S4_SC_SA_PS2_PS6_PS8_21rocsparse_index_base_SG_SG_SG_bbb,"axG",@progbits,_ZN9rocsparseL38bsrgemm_block_per_row_atomic_multipassILj256ELj64ELj4EiidEEv20rocsparse_direction_T3_S2_PKS2_S4_NS_24const_host_device_scalarIT4_EEPKT2_S4_PKS6_SA_S4_SC_S7_SA_S4_SC_SA_PS2_PS6_PS8_21rocsparse_index_base_SG_SG_SG_bbb,comdat
.Lfunc_end36:
	.size	_ZN9rocsparseL38bsrgemm_block_per_row_atomic_multipassILj256ELj64ELj4EiidEEv20rocsparse_direction_T3_S2_PKS2_S4_NS_24const_host_device_scalarIT4_EEPKT2_S4_PKS6_SA_S4_SC_S7_SA_S4_SC_SA_PS2_PS6_PS8_21rocsparse_index_base_SG_SG_SG_bbb, .Lfunc_end36-_ZN9rocsparseL38bsrgemm_block_per_row_atomic_multipassILj256ELj64ELj4EiidEEv20rocsparse_direction_T3_S2_PKS2_S4_NS_24const_host_device_scalarIT4_EEPKT2_S4_PKS6_SA_S4_SC_S7_SA_S4_SC_SA_PS2_PS6_PS8_21rocsparse_index_base_SG_SG_SG_bbb
                                        ; -- End function
	.section	.AMDGPU.csdata,"",@progbits
; Kernel info:
; codeLenInByte = 2908
; NumSgprs: 92
; NumVgprs: 48
; NumAgprs: 0
; TotalNumVgprs: 48
; ScratchSize: 0
; MemoryBound: 0
; FloatMode: 240
; IeeeMode: 1
; LDSByteSize: 10504 bytes/workgroup (compile time only)
; SGPRBlocks: 11
; VGPRBlocks: 5
; NumSGPRsForWavesPerEU: 92
; NumVGPRsForWavesPerEU: 48
; AccumOffset: 48
; Occupancy: 6
; WaveLimiterHint : 1
; COMPUTE_PGM_RSRC2:SCRATCH_EN: 0
; COMPUTE_PGM_RSRC2:USER_SGPR: 6
; COMPUTE_PGM_RSRC2:TRAP_HANDLER: 0
; COMPUTE_PGM_RSRC2:TGID_X_EN: 1
; COMPUTE_PGM_RSRC2:TGID_Y_EN: 0
; COMPUTE_PGM_RSRC2:TGID_Z_EN: 0
; COMPUTE_PGM_RSRC2:TIDIG_COMP_CNT: 0
; COMPUTE_PGM_RSRC3_GFX90A:ACCUM_OFFSET: 11
; COMPUTE_PGM_RSRC3_GFX90A:TG_SPLIT: 0
	.section	.text._ZN9rocsparseL38bsrgemm_block_per_row_atomic_multipassILj256ELj128ELj4EiidEEv20rocsparse_direction_T3_S2_PKS2_S4_NS_24const_host_device_scalarIT4_EEPKT2_S4_PKS6_SA_S4_SC_S7_SA_S4_SC_SA_PS2_PS6_PS8_21rocsparse_index_base_SG_SG_SG_bbb,"axG",@progbits,_ZN9rocsparseL38bsrgemm_block_per_row_atomic_multipassILj256ELj128ELj4EiidEEv20rocsparse_direction_T3_S2_PKS2_S4_NS_24const_host_device_scalarIT4_EEPKT2_S4_PKS6_SA_S4_SC_S7_SA_S4_SC_SA_PS2_PS6_PS8_21rocsparse_index_base_SG_SG_SG_bbb,comdat
	.globl	_ZN9rocsparseL38bsrgemm_block_per_row_atomic_multipassILj256ELj128ELj4EiidEEv20rocsparse_direction_T3_S2_PKS2_S4_NS_24const_host_device_scalarIT4_EEPKT2_S4_PKS6_SA_S4_SC_S7_SA_S4_SC_SA_PS2_PS6_PS8_21rocsparse_index_base_SG_SG_SG_bbb ; -- Begin function _ZN9rocsparseL38bsrgemm_block_per_row_atomic_multipassILj256ELj128ELj4EiidEEv20rocsparse_direction_T3_S2_PKS2_S4_NS_24const_host_device_scalarIT4_EEPKT2_S4_PKS6_SA_S4_SC_S7_SA_S4_SC_SA_PS2_PS6_PS8_21rocsparse_index_base_SG_SG_SG_bbb
	.p2align	8
	.type	_ZN9rocsparseL38bsrgemm_block_per_row_atomic_multipassILj256ELj128ELj4EiidEEv20rocsparse_direction_T3_S2_PKS2_S4_NS_24const_host_device_scalarIT4_EEPKT2_S4_PKS6_SA_S4_SC_S7_SA_S4_SC_SA_PS2_PS6_PS8_21rocsparse_index_base_SG_SG_SG_bbb,@function
_ZN9rocsparseL38bsrgemm_block_per_row_atomic_multipassILj256ELj128ELj4EiidEEv20rocsparse_direction_T3_S2_PKS2_S4_NS_24const_host_device_scalarIT4_EEPKT2_S4_PKS6_SA_S4_SC_S7_SA_S4_SC_SA_PS2_PS6_PS8_21rocsparse_index_base_SG_SG_SG_bbb: ; @_ZN9rocsparseL38bsrgemm_block_per_row_atomic_multipassILj256ELj128ELj4EiidEEv20rocsparse_direction_T3_S2_PKS2_S4_NS_24const_host_device_scalarIT4_EEPKT2_S4_PKS6_SA_S4_SC_S7_SA_S4_SC_SA_PS2_PS6_PS8_21rocsparse_index_base_SG_SG_SG_bbb
; %bb.0:
	s_load_dword s7, s[4:5], 0xa8
	s_load_dwordx4 s[52:55], s[4:5], 0x98
	s_load_dwordx2 s[8:9], s[4:5], 0x20
	s_waitcnt lgkmcnt(0)
	s_and_b32 s0, 1, s7
	s_bitcmp1_b32 s7, 16
	s_cselect_b64 s[2:3], -1, 0
	s_cmp_eq_u32 s0, 1
	s_load_dwordx2 s[0:1], s[4:5], 0x58
	s_cselect_b64 s[30:31], -1, 0
	s_and_b64 s[10:11], s[30:31], exec
	s_cselect_b32 s11, s9, 0
	s_cselect_b32 s10, s8, 0
	s_xor_b64 s[12:13], s[30:31], -1
	s_or_b64 s[12:13], s[12:13], s[2:3]
	s_and_b64 vcc, exec, s[12:13]
	v_pk_mov_b32 v[2:3], s[10:11], s[10:11] op_sel:[0,1]
	s_cbranch_vccnz .LBB37_2
; %bb.1:
	v_pk_mov_b32 v[2:3], s[8:9], s[8:9] op_sel:[0,1]
	flat_load_dwordx2 v[2:3], v[2:3]
.LBB37_2:
	s_bitcmp1_b32 s7, 8
	s_load_dwordx2 s[8:9], s[4:5], 0x18
	s_cselect_b64 s[64:65], -1, 0
	s_and_b64 s[10:11], s[64:65], exec
	s_waitcnt lgkmcnt(0)
	s_cselect_b32 s11, s1, 0
	s_cselect_b32 s10, s0, 0
	s_xor_b64 s[12:13], s[64:65], -1
	s_or_b64 s[2:3], s[12:13], s[2:3]
	s_and_b64 vcc, exec, s[2:3]
	v_pk_mov_b32 v[4:5], s[10:11], s[10:11] op_sel:[0,1]
	s_cbranch_vccnz .LBB37_4
; %bb.3:
	v_pk_mov_b32 v[4:5], s[0:1], s[0:1] op_sel:[0,1]
	flat_load_dwordx2 v[4:5], v[4:5]
.LBB37_4:
	s_load_dwordx2 s[2:3], s[4:5], 0x28
	s_cmp_eq_u64 s[8:9], 0
	s_cbranch_scc1 .LBB37_6
; %bb.5:
	s_load_dwordx2 s[0:1], s[4:5], 0x10
	s_waitcnt lgkmcnt(0)
	s_load_dword s0, s[0:1], 0x0
	s_mov_b32 s1, 0
	s_waitcnt lgkmcnt(0)
	s_add_i32 s0, s0, s6
	s_lshl_b64 s[0:1], s[0:1], 2
	s_add_u32 s0, s8, s0
	s_addc_u32 s1, s9, s1
	s_load_dword s6, s[0:1], 0x0
.LBB37_6:
	v_cndmask_b32_e64 v1, 0, 1, s[30:31]
	s_mov_b32 s33, 0
	v_cmp_ne_u32_e64 s[0:1], 1, v1
	s_andn2_b64 vcc, exec, s[30:31]
	s_mov_b32 s90, 0
	s_cbranch_vccz .LBB37_9
; %bb.7:
	s_and_b64 vcc, exec, s[0:1]
	s_cbranch_vccz .LBB37_10
.LBB37_8:
	s_load_dwordx4 s[56:59], s[4:5], 0x0
	s_waitcnt lgkmcnt(0)
	s_cmp_lt_i32 s57, 1
	s_cbranch_scc0 .LBB37_11
	s_branch .LBB37_99
.LBB37_9:
	s_waitcnt lgkmcnt(0)
	s_ashr_i32 s7, s6, 31
	s_lshl_b64 s[8:9], s[6:7], 2
	s_add_u32 s8, s2, s8
	s_addc_u32 s9, s3, s9
	s_load_dword s7, s[8:9], 0x0
	s_waitcnt lgkmcnt(0)
	s_sub_i32 s90, s7, s52
	s_and_b64 vcc, exec, s[0:1]
	s_cbranch_vccnz .LBB37_8
.LBB37_10:
	s_waitcnt lgkmcnt(0)
	s_ashr_i32 s7, s6, 31
	s_lshl_b64 s[0:1], s[6:7], 2
	s_add_u32 s0, s2, s0
	s_addc_u32 s1, s3, s1
	s_load_dword s0, s[0:1], 0x4
	s_waitcnt lgkmcnt(0)
	s_sub_i32 s33, s0, s52
	s_load_dwordx4 s[56:59], s[4:5], 0x0
	s_waitcnt lgkmcnt(0)
	s_cmp_lt_i32 s57, 1
	s_cbranch_scc1 .LBB37_99
.LBB37_11:
	s_load_dwordx2 s[66:67], s[4:5], 0x90
	s_load_dwordx4 s[60:63], s[4:5], 0x80
	s_load_dwordx8 s[36:43], s[4:5], 0x60
	s_load_dwordx2 s[68:69], s[4:5], 0x50
	s_load_dwordx8 s[44:51], s[4:5], 0x30
	s_ashr_i32 s7, s6, 31
	s_lshl_b64 s[6:7], s[6:7], 2
	s_waitcnt lgkmcnt(0)
	s_add_u32 s0, s42, s6
	s_addc_u32 s1, s43, s7
	s_load_dword s0, s[0:1], 0x0
	v_and_b32_e32 v1, 15, v0
	v_and_b32_e32 v6, 3, v0
	v_bfe_u32 v8, v0, 2, 2
	v_lshrrev_b32_e32 v7, 4, v0
	s_waitcnt lgkmcnt(0)
	s_sub_i32 s73, s0, s54
	s_cmp_lt_i32 s90, s33
	s_cselect_b64 s[34:35], -1, 0
	s_cmp_eq_u32 s56, 0
	s_cselect_b64 vcc, -1, 0
	s_cmp_lg_u32 s56, 0
	s_cselect_b64 s[42:43], -1, 0
	s_cmp_gt_i32 s58, 0
	s_cselect_b64 s[74:75], -1, 0
	s_add_u32 s70, s36, s6
	s_addc_u32 s71, s37, s7
	v_cmp_eq_u32_e64 s[6:7], 15, v1
	v_and_b32_e32 v1, 0x7f, v0
	s_movk_i32 s0, 0x80
	v_max_i32_e32 v9, v6, v8
	v_lshlrev_b32_e32 v10, 2, v1
	v_add_co_u32_e64 v12, s[8:9], -1, v1
	v_mov_b32_e32 v14, 0x4800
	v_cmp_ne_u32_e64 s[10:11], 0, v1
	v_cmp_lt_u32_e64 s[12:13], 1, v1
	v_cmp_lt_u32_e64 s[14:15], 3, v1
	;; [unrolled: 1-line block ×6, first 2 shown]
	v_or_b32_e32 v1, 0x400, v0
	s_movk_i32 s24, 0x700
	s_movk_i32 s26, 0x200
	;; [unrolled: 1-line block ×3, first 2 shown]
	v_cmp_gt_u32_e64 s[0:1], s0, v0
	s_mov_b32 s72, 0
	v_cmp_eq_u32_e64 s[2:3], 0, v0
	v_cmp_gt_i32_e64 s[4:5], s58, v9
	v_lshlrev_b32_e32 v9, 3, v0
	s_movk_i32 s76, 0x4000
	v_and_b32_e32 v13, 12, v0
	v_lshl_or_b32 v29, v0, 2, v14
	v_cmp_gt_u32_e64 s[24:25], s24, v1
	v_cmp_gt_u32_e64 s[26:27], s26, v0
	;; [unrolled: 1-line block ×3, first 2 shown]
	s_and_b64 s[30:31], s[30:31], s[34:35]
	v_lshlrev_b32_e32 v0, 7, v7
	v_lshlrev_b32_e32 v1, 3, v8
	s_add_u32 s56, s48, 4
	v_or3_b32 v36, v0, v1, s76
	s_mul_i32 s91, s58, s58
	v_and_b32_e32 v0, 0x7e0, v9
	v_mov_b32_e32 v39, s73
	s_mov_b32 s73, s72
	v_cndmask_b32_e64 v1, 0, 1, s[30:31]
	v_or_b32_e32 v11, 0x4000, v9
	v_subrev_u32_e32 v26, s55, v7
	v_or_b32_e32 v27, 0x4800, v10
	v_lshl_add_u32 v28, v12, 2, v14
	v_add_u32_e32 v30, 0x47f8, v10
	v_add_u32_e32 v31, 0x47f0, v10
	;; [unrolled: 1-line block ×6, first 2 shown]
	v_cndmask_b32_e32 v10, v6, v8, vcc
	v_cndmask_b32_e32 v12, v8, v6, vcc
	s_addc_u32 s59, s49, 0
	v_or_b32_e32 v37, 0x4000, v0
	s_lshl_b32 s92, s91, 4
	v_lshl_or_b32 v38, v7, 2, v14
	v_mov_b32_e32 v43, 0x80
	v_mov_b32_e32 v0, 0
	v_pk_mov_b32 v[14:15], s[72:73], s[72:73] op_sel:[0,1]
	v_cmp_ne_u32_e64 s[30:31], 1, v1
	v_mov_b32_e32 v40, 1
	v_cndmask_b32_e64 v41, 0, 1, s[74:75]
	v_mov_b32_e32 v42, s69
	s_movk_i32 s69, 0x6f
	s_branch .LBB37_13
.LBB37_12:                              ;   in Loop: Header=BB37_13 Depth=1
	s_or_b64 exec, exec, s[34:35]
	s_barrier
	ds_read_b32 v1, v0 offset:18944
	v_add_u32_e32 v39, v18, v39
	s_waitcnt lgkmcnt(0)
	s_barrier
	v_cmp_le_i32_e32 vcc, s57, v1
	v_readfirstlane_b32 s72, v1
	v_add_u32_e32 v43, 0x80, v1
	s_cbranch_vccnz .LBB37_99
.LBB37_13:                              ; =>This Loop Header: Depth=1
                                        ;     Child Loop BB37_26 Depth 2
                                        ;       Child Loop BB37_39 Depth 3
                                        ;         Child Loop BB37_48 Depth 4
                                        ;         Child Loop BB37_53 Depth 4
                                        ;     Child Loop BB37_64 Depth 2
                                        ;     Child Loop BB37_73 Depth 2
	;; [unrolled: 1-line block ×3, first 2 shown]
	s_and_saveexec_b64 s[34:35], s[0:1]
	s_cbranch_execz .LBB37_15
; %bb.14:                               ;   in Loop: Header=BB37_13 Depth=1
	ds_write_b32 v29, v0
.LBB37_15:                              ;   in Loop: Header=BB37_13 Depth=1
	s_or_b64 exec, exec, s[34:35]
	ds_write2st64_b64 v9, v[14:15], v[14:15] offset1:4
	ds_write2st64_b64 v9, v[14:15], v[14:15] offset0:8 offset1:12
	ds_write_b64 v9, v[14:15] offset:8192
	s_and_saveexec_b64 s[34:35], s[24:25]
	s_xor_b64 s[34:35], exec, s[34:35]
	s_cbranch_execz .LBB37_21
; %bb.16:                               ;   in Loop: Header=BB37_13 Depth=1
	v_mov_b32_e32 v1, v0
	ds_write_b64 v9, v[0:1] offset:10240
	s_and_saveexec_b64 s[36:37], s[26:27]
	s_xor_b64 s[36:37], exec, s[36:37]
	s_cbranch_execz .LBB37_20
; %bb.17:                               ;   in Loop: Header=BB37_13 Depth=1
	ds_write_b64 v9, v[0:1] offset:12288
	s_and_saveexec_b64 s[74:75], s[28:29]
	s_xor_b64 s[74:75], exec, s[74:75]
	s_cbranch_execz .LBB37_19
; %bb.18:                               ;   in Loop: Header=BB37_13 Depth=1
	v_mov_b32_e32 v1, v0
	ds_write_b64 v9, v[0:1] offset:14336
.LBB37_19:                              ;   in Loop: Header=BB37_13 Depth=1
	s_or_b64 exec, exec, s[74:75]
.LBB37_20:                              ;   in Loop: Header=BB37_13 Depth=1
	s_or_b64 exec, exec, s[36:37]
.LBB37_21:                              ;   in Loop: Header=BB37_13 Depth=1
	s_or_b64 exec, exec, s[34:35]
	s_and_saveexec_b64 s[34:35], s[2:3]
	s_cbranch_execz .LBB37_23
; %bb.22:                               ;   in Loop: Header=BB37_13 Depth=1
	v_mov_b32_e32 v1, s57
	ds_write_b32 v0, v1 offset:18944
.LBB37_23:                              ;   in Loop: Header=BB37_13 Depth=1
	s_or_b64 exec, exec, s[34:35]
	s_and_b64 vcc, exec, s[30:31]
	v_mov_b32_e32 v1, s57
	s_waitcnt lgkmcnt(0)
	s_barrier
	s_cbranch_vccnz .LBB37_59
; %bb.24:                               ;   in Loop: Header=BB37_13 Depth=1
	s_cmp_lg_u32 s72, 0
	s_cselect_b64 s[74:75], -1, 0
	v_mov_b32_e32 v1, s57
	s_mov_b32 s73, s90
	s_branch .LBB37_26
.LBB37_25:                              ;   in Loop: Header=BB37_26 Depth=2
	s_or_b64 exec, exec, s[36:37]
	s_add_i32 s73, s73, 16
	s_cmp_lt_i32 s73, s33
	s_cbranch_scc0 .LBB37_59
.LBB37_26:                              ;   Parent Loop BB37_13 Depth=1
                                        ; =>  This Loop Header: Depth=2
                                        ;       Child Loop BB37_39 Depth 3
                                        ;         Child Loop BB37_48 Depth 4
                                        ;         Child Loop BB37_53 Depth 4
	v_add_u32_e32 v16, s73, v7
	v_cmp_gt_i32_e64 s[34:35], s33, v16
	s_barrier
	s_and_saveexec_b64 s[36:37], s[34:35]
	s_cbranch_execz .LBB37_30
; %bb.27:                               ;   in Loop: Header=BB37_26 Depth=2
	v_pk_mov_b32 v[18:19], 0, 0
	s_and_saveexec_b64 s[76:77], s[4:5]
	s_cbranch_execz .LBB37_29
; %bb.28:                               ;   in Loop: Header=BB37_26 Depth=2
	v_mad_u64_u32 v[18:19], s[78:79], v16, s58, v[8:9]
	v_mad_u64_u32 v[18:19], s[78:79], v18, s58, v[6:7]
	v_ashrrev_i32_e32 v19, 31, v18
	v_lshlrev_b64 v[18:19], 3, v[18:19]
	v_mov_b32_e32 v17, s47
	v_add_co_u32_e32 v18, vcc, s46, v18
	v_addc_co_u32_e32 v19, vcc, v17, v19, vcc
	global_load_dwordx2 v[18:19], v[18:19], off
.LBB37_29:                              ;   in Loop: Header=BB37_26 Depth=2
	s_or_b64 exec, exec, s[76:77]
	s_waitcnt vmcnt(0)
	ds_write_b64 v11, v[18:19]
.LBB37_30:                              ;   in Loop: Header=BB37_26 Depth=2
	s_or_b64 exec, exec, s[36:37]
	v_mov_b32_e32 v18, 0
	s_waitcnt lgkmcnt(0)
	s_barrier
	s_and_saveexec_b64 s[76:77], s[34:35]
	s_cbranch_execz .LBB37_56
; %bb.31:                               ;   in Loop: Header=BB37_26 Depth=2
	v_ashrrev_i32_e32 v17, 31, v16
	v_lshlrev_b64 v[18:19], 2, v[16:17]
	v_mov_b32_e32 v17, s45
	v_add_co_u32_e32 v20, vcc, s44, v18
	v_addc_co_u32_e32 v21, vcc, v17, v19, vcc
	global_load_dword v17, v[20:21], off
	s_and_b64 vcc, exec, s[74:75]
	s_waitcnt vmcnt(0)
	v_subrev_u32_e32 v20, s52, v17
	v_ashrrev_i32_e32 v21, 31, v20
	s_cbranch_vccz .LBB37_58
; %bb.32:                               ;   in Loop: Header=BB37_26 Depth=2
	v_mov_b32_e32 v17, s67
	v_add_co_u32_e32 v18, vcc, s66, v18
	v_addc_co_u32_e32 v19, vcc, v17, v19, vcc
	global_load_dword v18, v[18:19], off
	s_cbranch_execnz .LBB37_34
.LBB37_33:                              ;   in Loop: Header=BB37_26 Depth=2
	s_waitcnt vmcnt(0)
	v_lshlrev_b64 v[18:19], 2, v[20:21]
	v_mov_b32_e32 v17, s49
	v_add_co_u32_e32 v18, vcc, s48, v18
	v_addc_co_u32_e32 v19, vcc, v17, v19, vcc
	global_load_dword v17, v[18:19], off
	s_waitcnt vmcnt(0)
	v_subrev_u32_e32 v18, s53, v17
.LBB37_34:                              ;   in Loop: Header=BB37_26 Depth=2
	v_lshlrev_b64 v[20:21], 2, v[20:21]
	v_mov_b32_e32 v17, s59
	v_add_co_u32_e32 v20, vcc, s56, v20
	v_addc_co_u32_e32 v21, vcc, v17, v21, vcc
	global_load_dword v17, v[20:21], off
	s_waitcnt vmcnt(0)
	v_subrev_u32_e32 v17, s53, v17
	v_cmp_lt_i32_e32 vcc, v18, v17
	s_and_saveexec_b64 s[78:79], vcc
	s_cbranch_execz .LBB37_55
; %bb.35:                               ;   in Loop: Header=BB37_26 Depth=2
	v_mad_u64_u32 v[20:21], s[36:37], s58, v18, v[6:7]
	v_mul_lo_u32 v44, s58, v20
	v_mad_u64_u32 v[20:21], s[36:37], s91, v18, v[6:7]
	s_mov_b64 s[80:81], 0
	v_mov_b32_e32 v21, v18
	s_branch .LBB37_39
.LBB37_36:                              ;   in Loop: Header=BB37_39 Depth=3
	v_lshlrev_b32_e32 v19, 4, v19
	v_or3_b32 v19, v19, v13, v6
	v_lshlrev_b32_e32 v19, 3, v19
	v_mul_f64 v[22:23], v[2:3], v[22:23]
	ds_add_f64 v19, v[22:23]
.LBB37_37:                              ;   in Loop: Header=BB37_39 Depth=3
	s_or_b64 exec, exec, s[86:87]
	s_or_b64 s[82:83], s[82:83], exec
.LBB37_38:                              ;   in Loop: Header=BB37_39 Depth=3
	s_or_b64 exec, exec, s[84:85]
	v_add_u32_e32 v18, 1, v18
	v_cmp_ge_i32_e32 vcc, v18, v17
	s_xor_b64 s[36:37], s[82:83], -1
	s_or_b64 s[36:37], s[36:37], vcc
	s_and_b64 s[36:37], exec, s[36:37]
	v_add_u32_e32 v44, s91, v44
	s_or_b64 s[80:81], s[36:37], s[80:81]
	v_add_u32_e32 v20, s91, v20
	s_andn2_b64 exec, exec, s[80:81]
	s_cbranch_execz .LBB37_54
.LBB37_39:                              ;   Parent Loop BB37_13 Depth=1
                                        ;     Parent Loop BB37_26 Depth=2
                                        ; =>    This Loop Header: Depth=3
                                        ;         Child Loop BB37_48 Depth 4
                                        ;         Child Loop BB37_53 Depth 4
	v_ashrrev_i32_e32 v19, 31, v18
	v_lshlrev_b64 v[22:23], 2, v[18:19]
	v_mov_b32_e32 v19, s51
	v_add_co_u32_e32 v22, vcc, s50, v22
	v_addc_co_u32_e32 v23, vcc, v19, v23, vcc
	global_load_dword v19, v[22:23], off
                                        ; implicit-def: $sgpr82_sgpr83
	s_waitcnt vmcnt(0)
	v_subrev_u32_e32 v19, s53, v19
	v_cmp_gt_i32_e64 s[36:37], s72, v19
	v_cmp_ge_i32_e32 vcc, v19, v43
	s_or_b64 s[36:37], s[36:37], vcc
	s_and_saveexec_b64 s[84:85], s[36:37]
	s_xor_b64 s[36:37], exec, s[84:85]
	s_cbranch_execz .LBB37_43
; %bb.40:                               ;   in Loop: Header=BB37_39 Depth=3
	s_mov_b64 s[82:83], -1
	s_and_saveexec_b64 s[84:85], vcc
; %bb.41:                               ;   in Loop: Header=BB37_39 Depth=3
	v_min_i32_e32 v1, v19, v1
	s_xor_b64 s[82:83], exec, -1
	v_mov_b32_e32 v21, v18
; %bb.42:                               ;   in Loop: Header=BB37_39 Depth=3
	s_or_b64 exec, exec, s[84:85]
	s_and_b64 s[82:83], s[82:83], exec
                                        ; implicit-def: $vgpr19
.LBB37_43:                              ;   in Loop: Header=BB37_39 Depth=3
	s_andn2_saveexec_b64 s[84:85], s[36:37]
	s_cbranch_execz .LBB37_38
; %bb.44:                               ;   in Loop: Header=BB37_39 Depth=3
	v_subrev_u32_e32 v19, s72, v19
	v_lshlrev_b32_e32 v22, 2, v19
	ds_write_b32 v22, v40 offset:18432
	s_and_saveexec_b64 s[86:87], s[4:5]
	s_cbranch_execz .LBB37_37
; %bb.45:                               ;   in Loop: Header=BB37_39 Depth=3
	s_andn2_b64 vcc, exec, s[42:43]
	v_cmp_ne_u32_e64 s[36:37], 1, v41
	s_cbranch_vccnz .LBB37_50
; %bb.46:                               ;   in Loop: Header=BB37_39 Depth=3
	v_pk_mov_b32 v[22:23], 0, 0
	s_and_b64 vcc, exec, s[36:37]
	s_cbranch_vccnz .LBB37_49
; %bb.47:                               ;   in Loop: Header=BB37_39 Depth=3
	v_mov_b32_e32 v24, v44
	s_mov_b32 s88, s58
	v_mov_b32_e32 v45, v36
.LBB37_48:                              ;   Parent Loop BB37_13 Depth=1
                                        ;     Parent Loop BB37_26 Depth=2
                                        ;       Parent Loop BB37_39 Depth=3
                                        ; =>      This Inner Loop Header: Depth=4
	v_ashrrev_i32_e32 v25, 31, v24
	v_lshlrev_b64 v[46:47], 3, v[24:25]
	v_add_co_u32_e32 v46, vcc, s68, v46
	v_addc_co_u32_e32 v47, vcc, v42, v47, vcc
	global_load_dwordx2 v[46:47], v[46:47], off
	ds_read_b64 v[48:49], v45
	s_add_i32 s88, s88, -1
	v_add_u32_e32 v45, 32, v45
	v_add_u32_e32 v24, 1, v24
	s_cmp_lg_u32 s88, 0
	s_waitcnt vmcnt(0) lgkmcnt(0)
	v_fmac_f64_e32 v[22:23], v[48:49], v[46:47]
	s_cbranch_scc1 .LBB37_48
.LBB37_49:                              ;   in Loop: Header=BB37_39 Depth=3
	s_cbranch_execnz .LBB37_36
	s_branch .LBB37_51
.LBB37_50:                              ;   in Loop: Header=BB37_39 Depth=3
                                        ; implicit-def: $vgpr22_vgpr23
.LBB37_51:                              ;   in Loop: Header=BB37_39 Depth=3
	v_pk_mov_b32 v[22:23], 0, 0
	s_and_b64 vcc, exec, s[36:37]
	s_cbranch_vccnz .LBB37_36
; %bb.52:                               ;   in Loop: Header=BB37_39 Depth=3
	v_mov_b32_e32 v45, v37
	v_mov_b32_e32 v24, v20
	s_mov_b32 s36, s58
.LBB37_53:                              ;   Parent Loop BB37_13 Depth=1
                                        ;     Parent Loop BB37_26 Depth=2
                                        ;       Parent Loop BB37_39 Depth=3
                                        ; =>      This Inner Loop Header: Depth=4
	v_ashrrev_i32_e32 v25, 31, v24
	v_lshlrev_b64 v[46:47], 3, v[24:25]
	v_add_co_u32_e32 v46, vcc, s68, v46
	v_addc_co_u32_e32 v47, vcc, v42, v47, vcc
	global_load_dwordx2 v[46:47], v[46:47], off
	ds_read_b64 v[48:49], v45
	s_add_i32 s36, s36, -1
	v_add_u32_e32 v45, 8, v45
	v_add_u32_e32 v24, s58, v24
	s_cmp_eq_u32 s36, 0
	s_waitcnt vmcnt(0) lgkmcnt(0)
	v_fmac_f64_e32 v[22:23], v[48:49], v[46:47]
	s_cbranch_scc0 .LBB37_53
	s_branch .LBB37_36
.LBB37_54:                              ;   in Loop: Header=BB37_26 Depth=2
	s_or_b64 exec, exec, s[80:81]
	v_mov_b32_e32 v18, v21
.LBB37_55:                              ;   in Loop: Header=BB37_26 Depth=2
	s_or_b64 exec, exec, s[78:79]
.LBB37_56:                              ;   in Loop: Header=BB37_26 Depth=2
	s_or_b64 exec, exec, s[76:77]
	s_waitcnt lgkmcnt(0)
	s_barrier
	s_and_saveexec_b64 s[36:37], s[34:35]
	s_cbranch_execz .LBB37_25
; %bb.57:                               ;   in Loop: Header=BB37_26 Depth=2
	v_ashrrev_i32_e32 v17, 31, v16
	v_lshlrev_b64 v[16:17], 2, v[16:17]
	v_mov_b32_e32 v19, s67
	v_add_co_u32_e32 v16, vcc, s66, v16
	v_addc_co_u32_e32 v17, vcc, v19, v17, vcc
	global_store_dword v[16:17], v18, off
	s_branch .LBB37_25
.LBB37_58:                              ;   in Loop: Header=BB37_26 Depth=2
                                        ; implicit-def: $vgpr18
	s_branch .LBB37_33
.LBB37_59:                              ;   in Loop: Header=BB37_13 Depth=1
	s_andn2_b64 vcc, exec, s[64:65]
	s_cbranch_vccnz .LBB37_71
; %bb.60:                               ;   in Loop: Header=BB37_13 Depth=1
	s_load_dwordx2 s[34:35], s[70:71], 0x0
	s_waitcnt lgkmcnt(0)
	s_sub_i32 s73, s35, s55
	v_add_u32_e32 v16, s34, v26
	v_cmp_gt_i32_e32 vcc, s73, v16
	s_and_saveexec_b64 s[74:75], vcc
	s_cbranch_execz .LBB37_70
; %bb.61:                               ;   in Loop: Header=BB37_13 Depth=1
	v_mad_u64_u32 v[18:19], s[34:35], s58, v16, v[10:11]
	v_mad_u64_u32 v[18:19], s[34:35], s58, v18, v[12:13]
	s_mov_b64 s[76:77], 0
	s_branch .LBB37_64
.LBB37_62:                              ;   in Loop: Header=BB37_64 Depth=2
	s_or_b64 exec, exec, s[78:79]
	s_or_b64 s[34:35], s[34:35], exec
.LBB37_63:                              ;   in Loop: Header=BB37_64 Depth=2
	s_or_b64 exec, exec, s[36:37]
	v_add_u32_e32 v16, 16, v16
	v_cmp_le_i32_e32 vcc, s73, v16
	s_xor_b64 s[34:35], s[34:35], -1
	s_or_b64 s[34:35], vcc, s[34:35]
	s_and_b64 s[34:35], exec, s[34:35]
	s_or_b64 s[76:77], s[34:35], s[76:77]
	v_add_u32_e32 v18, s92, v18
	s_andn2_b64 exec, exec, s[76:77]
	s_cbranch_execz .LBB37_69
.LBB37_64:                              ;   Parent Loop BB37_13 Depth=1
                                        ; =>  This Inner Loop Header: Depth=2
	v_ashrrev_i32_e32 v17, 31, v16
	v_lshlrev_b64 v[20:21], 2, v[16:17]
	v_mov_b32_e32 v17, s39
	v_add_co_u32_e32 v20, vcc, s38, v20
	v_addc_co_u32_e32 v21, vcc, v17, v21, vcc
	global_load_dword v17, v[20:21], off
	s_waitcnt vmcnt(0)
	v_subrev_u32_e32 v17, s55, v17
	v_cmp_gt_i32_e64 s[34:35], s72, v17
	v_cmp_ge_i32_e64 s[36:37], v17, v43
	v_cmp_lt_i32_e32 vcc, v17, v43
	s_or_b64 s[36:37], s[34:35], s[36:37]
                                        ; implicit-def: $sgpr34_sgpr35
	s_and_saveexec_b64 s[78:79], s[36:37]
	s_xor_b64 s[36:37], exec, s[78:79]
; %bb.65:                               ;   in Loop: Header=BB37_64 Depth=2
	v_min_i32_e32 v17, v17, v1
	v_cndmask_b32_e32 v1, v17, v1, vcc
	s_and_b64 s[34:35], vcc, exec
                                        ; implicit-def: $vgpr17
; %bb.66:                               ;   in Loop: Header=BB37_64 Depth=2
	s_andn2_saveexec_b64 s[36:37], s[36:37]
	s_cbranch_execz .LBB37_63
; %bb.67:                               ;   in Loop: Header=BB37_64 Depth=2
	v_subrev_u32_e32 v17, s72, v17
	v_lshlrev_b32_e32 v19, 2, v17
	ds_write_b32 v19, v40 offset:18432
	s_and_saveexec_b64 s[78:79], s[4:5]
	s_cbranch_execz .LBB37_62
; %bb.68:                               ;   in Loop: Header=BB37_64 Depth=2
	v_ashrrev_i32_e32 v19, 31, v18
	v_lshlrev_b64 v[20:21], 3, v[18:19]
	v_mov_b32_e32 v19, s41
	v_add_co_u32_e32 v20, vcc, s40, v20
	v_addc_co_u32_e32 v21, vcc, v19, v21, vcc
	global_load_dwordx2 v[20:21], v[20:21], off
	v_lshlrev_b32_e32 v17, 4, v17
	v_or3_b32 v17, v17, v13, v6
	v_lshlrev_b32_e32 v17, 3, v17
	s_waitcnt vmcnt(0)
	v_mul_f64 v[20:21], v[4:5], v[20:21]
	ds_add_f64 v17, v[20:21]
	s_branch .LBB37_62
.LBB37_69:                              ;   in Loop: Header=BB37_13 Depth=1
	s_or_b64 exec, exec, s[76:77]
.LBB37_70:                              ;   in Loop: Header=BB37_13 Depth=1
	s_or_b64 exec, exec, s[74:75]
.LBB37_71:                              ;   in Loop: Header=BB37_13 Depth=1
	s_and_saveexec_b64 s[34:35], s[6:7]
	s_cbranch_execz .LBB37_76
; %bb.72:                               ;   in Loop: Header=BB37_13 Depth=1
	s_mov_b64 s[36:37], exec
	s_brev_b32 s73, -2
.LBB37_73:                              ;   Parent Loop BB37_13 Depth=1
                                        ; =>  This Inner Loop Header: Depth=2
	s_ff1_i32_b64 s74, s[36:37]
	v_readlane_b32 s76, v1, s74
	s_lshl_b64 s[74:75], 1, s74
	s_min_i32 s73, s73, s76
	s_andn2_b64 s[36:37], s[36:37], s[74:75]
	s_cmp_lg_u64 s[36:37], 0
	s_cbranch_scc1 .LBB37_73
; %bb.74:                               ;   in Loop: Header=BB37_13 Depth=1
	v_mbcnt_lo_u32_b32 v1, exec_lo, 0
	v_mbcnt_hi_u32_b32 v1, exec_hi, v1
	v_cmp_eq_u32_e32 vcc, 0, v1
	s_and_saveexec_b64 s[36:37], vcc
	s_xor_b64 s[36:37], exec, s[36:37]
	s_cbranch_execz .LBB37_76
; %bb.75:                               ;   in Loop: Header=BB37_13 Depth=1
	v_mov_b32_e32 v1, s73
	ds_min_i32 v0, v1 offset:18944
.LBB37_76:                              ;   in Loop: Header=BB37_13 Depth=1
	s_or_b64 exec, exec, s[34:35]
	s_waitcnt lgkmcnt(0)
	s_barrier
	ds_read_b32 v1, v27
	s_waitcnt lgkmcnt(0)
	s_barrier
	s_and_saveexec_b64 s[34:35], s[10:11]
	s_cbranch_execz .LBB37_78
; %bb.77:                               ;   in Loop: Header=BB37_13 Depth=1
	ds_read_b32 v16, v28
	s_waitcnt lgkmcnt(0)
	v_add_u32_e32 v1, v16, v1
.LBB37_78:                              ;   in Loop: Header=BB37_13 Depth=1
	s_or_b64 exec, exec, s[34:35]
	s_barrier
	ds_write_b32 v27, v1
	s_waitcnt lgkmcnt(0)
	s_barrier
	s_and_saveexec_b64 s[34:35], s[12:13]
	s_cbranch_execz .LBB37_80
; %bb.79:                               ;   in Loop: Header=BB37_13 Depth=1
	ds_read_b32 v16, v30
	s_waitcnt lgkmcnt(0)
	v_add_u32_e32 v1, v16, v1
.LBB37_80:                              ;   in Loop: Header=BB37_13 Depth=1
	s_or_b64 exec, exec, s[34:35]
	s_barrier
	ds_write_b32 v27, v1
	;; [unrolled: 12-line block ×7, first 2 shown]
	s_waitcnt lgkmcnt(0)
	s_barrier
	ds_read_b32 v18, v0 offset:18940
	v_mov_b32_e32 v16, 0
	s_and_saveexec_b64 s[34:35], s[8:9]
	s_cbranch_execz .LBB37_92
; %bb.91:                               ;   in Loop: Header=BB37_13 Depth=1
	ds_read_b32 v16, v28
.LBB37_92:                              ;   in Loop: Header=BB37_13 Depth=1
	s_or_b64 exec, exec, s[34:35]
	s_waitcnt lgkmcnt(0)
	v_cmp_eq_u32_e32 vcc, v1, v16
	s_and_b64 s[36:37], s[8:9], vcc
	s_barrier
	s_and_saveexec_b64 s[34:35], s[36:37]
	s_cbranch_execz .LBB37_94
; %bb.93:                               ;   in Loop: Header=BB37_13 Depth=1
	ds_write_b32 v27, v0
.LBB37_94:                              ;   in Loop: Header=BB37_13 Depth=1
	s_or_b64 exec, exec, s[34:35]
	v_add_u32_e32 v1, -1, v39
	s_add_i32 s72, s54, s72
	s_mov_b64 s[34:35], 0
	v_mov_b32_e32 v19, v38
	v_mov_b32_e32 v20, v9
	;; [unrolled: 1-line block ×3, first 2 shown]
	s_waitcnt lgkmcnt(0)
	s_barrier
	s_branch .LBB37_96
.LBB37_95:                              ;   in Loop: Header=BB37_96 Depth=2
	s_or_b64 exec, exec, s[36:37]
	v_add_u32_e32 v16, 16, v21
	v_cmp_lt_u32_e32 vcc, s69, v21
	v_add_u32_e32 v20, 0x800, v20
	v_add_u32_e32 v19, 64, v19
	s_or_b64 s[34:35], vcc, s[34:35]
	v_mov_b32_e32 v21, v16
	s_andn2_b64 exec, exec, s[34:35]
	s_cbranch_execz .LBB37_12
.LBB37_96:                              ;   Parent Loop BB37_13 Depth=1
                                        ; =>  This Inner Loop Header: Depth=2
	ds_read_b32 v16, v19
	s_waitcnt lgkmcnt(0)
	v_cmp_ne_u32_e32 vcc, 0, v16
	s_and_saveexec_b64 s[36:37], vcc
	s_cbranch_execz .LBB37_95
; %bb.97:                               ;   in Loop: Header=BB37_96 Depth=2
	v_add_u32_e32 v16, v1, v16
	v_ashrrev_i32_e32 v17, 31, v16
	v_lshlrev_b64 v[22:23], 2, v[16:17]
	v_mov_b32_e32 v17, s61
	v_add_co_u32_e32 v22, vcc, s60, v22
	v_add_u32_e32 v24, s72, v21
	v_addc_co_u32_e32 v23, vcc, v17, v23, vcc
	global_store_dword v[22:23], v24, off
	s_and_b64 exec, exec, s[4:5]
	s_cbranch_execz .LBB37_95
; %bb.98:                               ;   in Loop: Header=BB37_96 Depth=2
	v_mad_u64_u32 v[16:17], s[74:75], v16, s58, v[10:11]
	ds_read_b64 v[22:23], v20
	v_mad_u64_u32 v[16:17], s[74:75], v16, s58, v[12:13]
	v_ashrrev_i32_e32 v17, 31, v16
	v_lshlrev_b64 v[16:17], 3, v[16:17]
	v_mov_b32_e32 v24, s63
	v_add_co_u32_e32 v16, vcc, s62, v16
	v_addc_co_u32_e32 v17, vcc, v24, v17, vcc
	s_waitcnt lgkmcnt(0)
	global_store_dwordx2 v[16:17], v[22:23], off
	s_branch .LBB37_95
.LBB37_99:
	s_endpgm
	.section	.rodata,"a",@progbits
	.p2align	6, 0x0
	.amdhsa_kernel _ZN9rocsparseL38bsrgemm_block_per_row_atomic_multipassILj256ELj128ELj4EiidEEv20rocsparse_direction_T3_S2_PKS2_S4_NS_24const_host_device_scalarIT4_EEPKT2_S4_PKS6_SA_S4_SC_S7_SA_S4_SC_SA_PS2_PS6_PS8_21rocsparse_index_base_SG_SG_SG_bbb
		.amdhsa_group_segment_fixed_size 18952
		.amdhsa_private_segment_fixed_size 0
		.amdhsa_kernarg_size 172
		.amdhsa_user_sgpr_count 6
		.amdhsa_user_sgpr_private_segment_buffer 1
		.amdhsa_user_sgpr_dispatch_ptr 0
		.amdhsa_user_sgpr_queue_ptr 0
		.amdhsa_user_sgpr_kernarg_segment_ptr 1
		.amdhsa_user_sgpr_dispatch_id 0
		.amdhsa_user_sgpr_flat_scratch_init 0
		.amdhsa_user_sgpr_kernarg_preload_length 0
		.amdhsa_user_sgpr_kernarg_preload_offset 0
		.amdhsa_user_sgpr_private_segment_size 0
		.amdhsa_uses_dynamic_stack 0
		.amdhsa_system_sgpr_private_segment_wavefront_offset 0
		.amdhsa_system_sgpr_workgroup_id_x 1
		.amdhsa_system_sgpr_workgroup_id_y 0
		.amdhsa_system_sgpr_workgroup_id_z 0
		.amdhsa_system_sgpr_workgroup_info 0
		.amdhsa_system_vgpr_workitem_id 0
		.amdhsa_next_free_vgpr 50
		.amdhsa_next_free_sgpr 93
		.amdhsa_accum_offset 52
		.amdhsa_reserve_vcc 1
		.amdhsa_reserve_flat_scratch 0
		.amdhsa_float_round_mode_32 0
		.amdhsa_float_round_mode_16_64 0
		.amdhsa_float_denorm_mode_32 3
		.amdhsa_float_denorm_mode_16_64 3
		.amdhsa_dx10_clamp 1
		.amdhsa_ieee_mode 1
		.amdhsa_fp16_overflow 0
		.amdhsa_tg_split 0
		.amdhsa_exception_fp_ieee_invalid_op 0
		.amdhsa_exception_fp_denorm_src 0
		.amdhsa_exception_fp_ieee_div_zero 0
		.amdhsa_exception_fp_ieee_overflow 0
		.amdhsa_exception_fp_ieee_underflow 0
		.amdhsa_exception_fp_ieee_inexact 0
		.amdhsa_exception_int_div_zero 0
	.end_amdhsa_kernel
	.section	.text._ZN9rocsparseL38bsrgemm_block_per_row_atomic_multipassILj256ELj128ELj4EiidEEv20rocsparse_direction_T3_S2_PKS2_S4_NS_24const_host_device_scalarIT4_EEPKT2_S4_PKS6_SA_S4_SC_S7_SA_S4_SC_SA_PS2_PS6_PS8_21rocsparse_index_base_SG_SG_SG_bbb,"axG",@progbits,_ZN9rocsparseL38bsrgemm_block_per_row_atomic_multipassILj256ELj128ELj4EiidEEv20rocsparse_direction_T3_S2_PKS2_S4_NS_24const_host_device_scalarIT4_EEPKT2_S4_PKS6_SA_S4_SC_S7_SA_S4_SC_SA_PS2_PS6_PS8_21rocsparse_index_base_SG_SG_SG_bbb,comdat
.Lfunc_end37:
	.size	_ZN9rocsparseL38bsrgemm_block_per_row_atomic_multipassILj256ELj128ELj4EiidEEv20rocsparse_direction_T3_S2_PKS2_S4_NS_24const_host_device_scalarIT4_EEPKT2_S4_PKS6_SA_S4_SC_S7_SA_S4_SC_SA_PS2_PS6_PS8_21rocsparse_index_base_SG_SG_SG_bbb, .Lfunc_end37-_ZN9rocsparseL38bsrgemm_block_per_row_atomic_multipassILj256ELj128ELj4EiidEEv20rocsparse_direction_T3_S2_PKS2_S4_NS_24const_host_device_scalarIT4_EEPKT2_S4_PKS6_SA_S4_SC_S7_SA_S4_SC_SA_PS2_PS6_PS8_21rocsparse_index_base_SG_SG_SG_bbb
                                        ; -- End function
	.section	.AMDGPU.csdata,"",@progbits
; Kernel info:
; codeLenInByte = 3076
; NumSgprs: 97
; NumVgprs: 50
; NumAgprs: 0
; TotalNumVgprs: 50
; ScratchSize: 0
; MemoryBound: 0
; FloatMode: 240
; IeeeMode: 1
; LDSByteSize: 18952 bytes/workgroup (compile time only)
; SGPRBlocks: 12
; VGPRBlocks: 6
; NumSGPRsForWavesPerEU: 97
; NumVGPRsForWavesPerEU: 50
; AccumOffset: 52
; Occupancy: 3
; WaveLimiterHint : 1
; COMPUTE_PGM_RSRC2:SCRATCH_EN: 0
; COMPUTE_PGM_RSRC2:USER_SGPR: 6
; COMPUTE_PGM_RSRC2:TRAP_HANDLER: 0
; COMPUTE_PGM_RSRC2:TGID_X_EN: 1
; COMPUTE_PGM_RSRC2:TGID_Y_EN: 0
; COMPUTE_PGM_RSRC2:TGID_Z_EN: 0
; COMPUTE_PGM_RSRC2:TIDIG_COMP_CNT: 0
; COMPUTE_PGM_RSRC3_GFX90A:ACCUM_OFFSET: 12
; COMPUTE_PGM_RSRC3_GFX90A:TG_SPLIT: 0
	.section	.text._ZN9rocsparseL23bsrgemm_fill_wf_per_rowILj256ELj64ELj8ELj137ELj8EiidEEv20rocsparse_direction_T5_S2_S2_PKS2_S4_NS_24const_host_device_scalarIT6_EEPKT4_S4_PKS6_SA_S4_SC_S7_SA_S4_SC_SA_PS2_PS6_21rocsparse_index_base_SF_SF_SF_bbb,"axG",@progbits,_ZN9rocsparseL23bsrgemm_fill_wf_per_rowILj256ELj64ELj8ELj137ELj8EiidEEv20rocsparse_direction_T5_S2_S2_PKS2_S4_NS_24const_host_device_scalarIT6_EEPKT4_S4_PKS6_SA_S4_SC_S7_SA_S4_SC_SA_PS2_PS6_21rocsparse_index_base_SF_SF_SF_bbb,comdat
	.globl	_ZN9rocsparseL23bsrgemm_fill_wf_per_rowILj256ELj64ELj8ELj137ELj8EiidEEv20rocsparse_direction_T5_S2_S2_PKS2_S4_NS_24const_host_device_scalarIT6_EEPKT4_S4_PKS6_SA_S4_SC_S7_SA_S4_SC_SA_PS2_PS6_21rocsparse_index_base_SF_SF_SF_bbb ; -- Begin function _ZN9rocsparseL23bsrgemm_fill_wf_per_rowILj256ELj64ELj8ELj137ELj8EiidEEv20rocsparse_direction_T5_S2_S2_PKS2_S4_NS_24const_host_device_scalarIT6_EEPKT4_S4_PKS6_SA_S4_SC_S7_SA_S4_SC_SA_PS2_PS6_21rocsparse_index_base_SF_SF_SF_bbb
	.p2align	8
	.type	_ZN9rocsparseL23bsrgemm_fill_wf_per_rowILj256ELj64ELj8ELj137ELj8EiidEEv20rocsparse_direction_T5_S2_S2_PKS2_S4_NS_24const_host_device_scalarIT6_EEPKT4_S4_PKS6_SA_S4_SC_S7_SA_S4_SC_SA_PS2_PS6_21rocsparse_index_base_SF_SF_SF_bbb,@function
_ZN9rocsparseL23bsrgemm_fill_wf_per_rowILj256ELj64ELj8ELj137ELj8EiidEEv20rocsparse_direction_T5_S2_S2_PKS2_S4_NS_24const_host_device_scalarIT6_EEPKT4_S4_PKS6_SA_S4_SC_S7_SA_S4_SC_SA_PS2_PS6_21rocsparse_index_base_SF_SF_SF_bbb: ; @_ZN9rocsparseL23bsrgemm_fill_wf_per_rowILj256ELj64ELj8ELj137ELj8EiidEEv20rocsparse_direction_T5_S2_S2_PKS2_S4_NS_24const_host_device_scalarIT6_EEPKT4_S4_PKS6_SA_S4_SC_S7_SA_S4_SC_SA_PS2_PS6_21rocsparse_index_base_SF_SF_SF_bbb
; %bb.0:
	s_load_dword s7, s[4:5], 0xa0
	s_load_dwordx2 s[10:11], s[4:5], 0x20
	s_load_dwordx2 s[2:3], s[4:5], 0x58
	s_waitcnt lgkmcnt(0)
	s_and_b32 s0, 1, s7
	s_bitcmp1_b32 s7, 16
	s_cselect_b64 s[8:9], -1, 0
	s_cmp_eq_u32 s0, 1
	s_cselect_b64 s[0:1], -1, 0
	s_and_b64 s[12:13], s[0:1], exec
	s_cselect_b32 s13, s11, 0
	s_cselect_b32 s12, s10, 0
	s_xor_b64 s[14:15], s[0:1], -1
	s_or_b64 s[14:15], s[14:15], s[8:9]
	s_and_b64 vcc, exec, s[14:15]
	v_pk_mov_b32 v[6:7], s[12:13], s[12:13] op_sel:[0,1]
	s_cbranch_vccnz .LBB38_2
; %bb.1:
	v_pk_mov_b32 v[2:3], s[10:11], s[10:11] op_sel:[0,1]
	flat_load_dwordx2 v[6:7], v[2:3]
.LBB38_2:
	s_bitcmp1_b32 s7, 8
	s_load_dwordx4 s[40:43], s[4:5], 0x90
	s_cselect_b64 s[34:35], -1, 0
	s_and_b64 s[10:11], s[34:35], exec
	s_cselect_b32 s11, s3, 0
	s_cselect_b32 s10, s2, 0
	s_xor_b64 s[12:13], s[34:35], -1
	s_or_b64 s[8:9], s[12:13], s[8:9]
	s_and_b64 vcc, exec, s[8:9]
	v_pk_mov_b32 v[2:3], s[10:11], s[10:11] op_sel:[0,1]
	s_cbranch_vccnz .LBB38_4
; %bb.3:
	v_pk_mov_b32 v[2:3], s[2:3], s[2:3] op_sel:[0,1]
	flat_load_dwordx2 v[2:3], v[2:3]
.LBB38_4:
	s_load_dwordx4 s[36:39], s[4:5], 0x80
	s_load_dwordx8 s[16:23], s[4:5], 0x60
	s_load_dwordx4 s[44:47], s[4:5], 0x48
	s_load_dwordx8 s[8:15], s[4:5], 0x0
	s_load_dwordx8 s[24:31], s[4:5], 0x28
	v_and_b32_e32 v9, 63, v0
	v_lshrrev_b32_e32 v8, 6, v0
	v_mov_b32_e32 v1, 0x4000
	v_lshl_or_b32 v1, v8, 5, v1
	v_cmp_gt_u32_e32 vcc, 8, v9
	s_and_saveexec_b64 s[2:3], vcc
	s_cbranch_execz .LBB38_6
; %bb.5:
	v_lshl_add_u32 v4, v9, 2, v1
	s_waitcnt lgkmcnt(0)
	v_mov_b32_e32 v5, s10
	ds_write_b32 v4, v5
.LBB38_6:
	s_or_b64 exec, exec, s[2:3]
	v_lshlrev_b32_e32 v11, 3, v9
	v_mov_b32_e32 v4, 0
	v_or_b32_e32 v10, 0xffffffc0, v9
	v_lshl_or_b32 v12, v8, 12, v11
	s_mov_b64 s[2:3], 0
	v_mov_b32_e32 v5, v4
	s_movk_i32 s4, 0x1bf
.LBB38_7:                               ; =>This Inner Loop Header: Depth=1
	v_add_u32_e32 v10, 64, v10
	v_cmp_lt_u32_e32 vcc, s4, v10
	ds_write_b64 v12, v[4:5]
	s_or_b64 s[2:3], vcc, s[2:3]
	v_add_u32_e32 v12, 0x200, v12
	s_andn2_b64 exec, exec, s[2:3]
	s_cbranch_execnz .LBB38_7
; %bb.8:
	s_or_b64 exec, exec, s[2:3]
	v_lshl_or_b32 v4, s6, 2, v8
	s_waitcnt lgkmcnt(0)
	v_cmp_gt_i32_e32 vcc, s9, v4
	s_barrier
	s_and_saveexec_b64 s[2:3], vcc
	s_cbranch_execz .LBB38_84
; %bb.9:
	s_cmp_eq_u64 s[14:15], 0
	s_cbranch_scc1 .LBB38_11
; %bb.10:
	s_load_dword s2, s[12:13], 0x0
	v_mov_b32_e32 v8, s15
	s_waitcnt lgkmcnt(0)
	v_add_u32_e32 v4, s2, v4
	v_ashrrev_i32_e32 v5, 31, v4
	v_lshlrev_b64 v[4:5], 2, v[4:5]
	v_add_co_u32_e32 v4, vcc, s14, v4
	v_addc_co_u32_e32 v5, vcc, v8, v5, vcc
	global_load_dword v4, v[4:5], off
.LBB38_11:
	v_lshlrev_b32_e32 v5, 6, v0
	v_lshrrev_b32_e32 v10, 3, v9
	v_and_b32_e32 v9, 0x3000, v5
	s_waitcnt vmcnt(0)
	v_ashrrev_i32_e32 v5, 31, v4
	v_and_b32_e32 v8, 7, v0
	s_andn2_b64 vcc, exec, s[0:1]
	v_lshlrev_b64 v[4:5], 2, v[4:5]
	s_cbranch_vccnz .LBB38_42
; %bb.12:
	v_mov_b32_e32 v13, s25
	v_add_co_u32_e32 v12, vcc, s24, v4
	v_addc_co_u32_e32 v13, vcc, v13, v5, vcc
	global_load_dwordx2 v[12:13], v[12:13], off
	s_waitcnt vmcnt(0)
	v_cmp_lt_i32_e32 vcc, v12, v13
	s_and_saveexec_b64 s[6:7], vcc
	s_cbranch_execz .LBB38_41
; %bb.13:
	v_subrev_u32_e32 v12, s40, v12
	s_cmp_lg_u32 s8, 0
	s_mul_i32 s9, s11, s11
	v_subrev_u32_e32 v32, s40, v13
	v_max_i32_e32 v13, v8, v10
	s_cselect_b64 s[2:3], -1, 0
	s_cmp_gt_i32 s11, 0
	v_mad_u64_u32 v[14:15], s[4:5], s9, v12, v[10:11]
	v_mad_u64_u32 v[16:17], s[4:5], s11, v12, v[10:11]
	v_cmp_gt_i32_e64 s[0:1], s11, v13
	v_cndmask_b32_e64 v13, 0, 1, s[2:3]
	s_cselect_b64 s[4:5], -1, 0
	v_cmp_ne_u32_e64 s[2:3], 1, v13
	v_cndmask_b32_e64 v13, 0, 1, s[4:5]
	v_mul_lo_u32 v16, s11, v16
	s_mov_b64 s[12:13], 0
	v_mov_b32_e32 v15, s27
	v_mov_b32_e32 v33, s31
	v_cmp_ne_u32_e64 s[4:5], 1, v13
	v_mov_b32_e32 v34, s47
	s_branch .LBB38_15
.LBB38_14:                              ;   in Loop: Header=BB38_15 Depth=1
	s_or_b64 exec, exec, s[14:15]
	v_add_u32_e32 v12, 1, v12
	v_cmp_ge_i32_e32 vcc, v12, v32
	v_add_u32_e32 v14, s9, v14
	s_or_b64 s[12:13], vcc, s[12:13]
	v_add_u32_e32 v16, s9, v16
	s_andn2_b64 exec, exec, s[12:13]
	s_cbranch_execz .LBB38_41
.LBB38_15:                              ; =>This Loop Header: Depth=1
                                        ;     Child Loop BB38_18 Depth 2
                                        ;       Child Loop BB38_22 Depth 3
                                        ;       Child Loop BB38_28 Depth 3
                                        ;       Child Loop BB38_31 Depth 3
	v_ashrrev_i32_e32 v13, 31, v12
	v_lshlrev_b64 v[18:19], 2, v[12:13]
	v_add_co_u32_e32 v18, vcc, s26, v18
	v_addc_co_u32_e32 v19, vcc, v15, v19, vcc
	global_load_dword v13, v[18:19], off
	s_waitcnt vmcnt(0)
	v_subrev_u32_e32 v18, s40, v13
	v_ashrrev_i32_e32 v19, 31, v18
	v_lshlrev_b64 v[18:19], 2, v[18:19]
	v_add_co_u32_e32 v18, vcc, s30, v18
	v_addc_co_u32_e32 v19, vcc, v33, v19, vcc
	global_load_dwordx2 v[20:21], v[18:19], off
	s_waitcnt vmcnt(0)
	v_cmp_lt_i32_e32 vcc, v20, v21
	s_and_saveexec_b64 s[14:15], vcc
	s_cbranch_execz .LBB38_14
; %bb.16:                               ;   in Loop: Header=BB38_15 Depth=1
	v_ashrrev_i32_e32 v17, 31, v16
	v_lshlrev_b64 v[18:19], 3, v[16:17]
	v_subrev_u32_e32 v20, s41, v20
	v_mov_b32_e32 v13, s29
	v_add_co_u32_e32 v18, vcc, s28, v18
	v_mad_u64_u32 v[22:23], s[24:25], s11, v20, v[8:9]
	v_mad_u64_u32 v[24:25], s[24:25], s9, v20, v[8:9]
	v_addc_co_u32_e32 v19, vcc, v13, v19, vcc
	v_subrev_u32_e32 v13, s41, v21
	v_mul_lo_u32 v22, s11, v22
	s_mov_b64 s[24:25], 0
	s_branch .LBB38_18
.LBB38_17:                              ;   in Loop: Header=BB38_18 Depth=2
	s_or_b64 exec, exec, s[48:49]
	v_add_u32_e32 v20, 1, v20
	v_cmp_ge_i32_e32 vcc, v20, v13
	v_add_u32_e32 v22, s9, v22
	s_or_b64 s[24:25], vcc, s[24:25]
	v_add_u32_e32 v24, s9, v24
	s_andn2_b64 exec, exec, s[24:25]
	s_cbranch_execz .LBB38_14
.LBB38_18:                              ;   Parent Loop BB38_15 Depth=1
                                        ; =>  This Loop Header: Depth=2
                                        ;       Child Loop BB38_22 Depth 3
                                        ;       Child Loop BB38_28 Depth 3
	;; [unrolled: 1-line block ×3, first 2 shown]
	s_and_saveexec_b64 s[48:49], s[0:1]
	s_cbranch_execz .LBB38_17
; %bb.19:                               ;   in Loop: Header=BB38_18 Depth=2
	v_ashrrev_i32_e32 v21, 31, v20
	v_lshlrev_b64 v[26:27], 2, v[20:21]
	v_mov_b32_e32 v17, s45
	v_add_co_u32_e32 v26, vcc, s44, v26
	v_addc_co_u32_e32 v27, vcc, v17, v27, vcc
	global_load_dword v17, v[26:27], off
	s_and_b64 vcc, exec, s[2:3]
	s_cbranch_vccnz .LBB38_24
; %bb.20:                               ;   in Loop: Header=BB38_18 Depth=2
	s_and_b64 vcc, exec, s[4:5]
	s_cbranch_vccnz .LBB38_25
; %bb.21:                               ;   in Loop: Header=BB38_18 Depth=2
	v_ashrrev_i32_e32 v23, 31, v22
	v_lshlrev_b64 v[26:27], 3, v[22:23]
	v_mov_b32_e32 v21, s47
	v_add_co_u32_e32 v28, vcc, s46, v26
	v_addc_co_u32_e32 v29, vcc, v21, v27, vcc
	v_pk_mov_b32 v[26:27], 0, 0
	v_mov_b32_e32 v30, v14
	s_mov_b32 s27, s11
.LBB38_22:                              ;   Parent Loop BB38_15 Depth=1
                                        ;     Parent Loop BB38_18 Depth=2
                                        ; =>    This Inner Loop Header: Depth=3
	v_ashrrev_i32_e32 v31, 31, v30
	v_lshlrev_b64 v[38:39], 3, v[30:31]
	v_mov_b32_e32 v21, s29
	v_add_co_u32_e32 v38, vcc, s28, v38
	v_addc_co_u32_e32 v39, vcc, v21, v39, vcc
	global_load_dwordx2 v[36:37], v[28:29], off
	s_add_i32 s27, s27, -1
	global_load_dwordx2 v[38:39], v[38:39], off
	v_add_co_u32_e32 v28, vcc, 8, v28
	v_addc_co_u32_e32 v29, vcc, 0, v29, vcc
	v_add_u32_e32 v30, s11, v30
	s_cmp_lg_u32 s27, 0
	s_waitcnt vmcnt(0)
	v_fmac_f64_e32 v[26:27], v[38:39], v[36:37]
	s_cbranch_scc1 .LBB38_22
; %bb.23:                               ;   in Loop: Header=BB38_18 Depth=2
	s_cbranch_execz .LBB38_26
	s_branch .LBB38_29
.LBB38_24:                              ;   in Loop: Header=BB38_18 Depth=2
                                        ; implicit-def: $vgpr26_vgpr27
	s_branch .LBB38_26
.LBB38_25:                              ;   in Loop: Header=BB38_18 Depth=2
	v_pk_mov_b32 v[26:27], 0, 0
	s_cbranch_execnz .LBB38_29
.LBB38_26:                              ;   in Loop: Header=BB38_18 Depth=2
	v_pk_mov_b32 v[26:27], 0, 0
	s_and_b64 vcc, exec, s[4:5]
	s_cbranch_vccnz .LBB38_29
; %bb.27:                               ;   in Loop: Header=BB38_18 Depth=2
	v_pk_mov_b32 v[28:29], v[18:19], v[18:19] op_sel:[0,1]
	v_mov_b32_e32 v30, v24
	s_mov_b32 s27, s11
.LBB38_28:                              ;   Parent Loop BB38_15 Depth=1
                                        ;     Parent Loop BB38_18 Depth=2
                                        ; =>    This Inner Loop Header: Depth=3
	v_ashrrev_i32_e32 v31, 31, v30
	v_lshlrev_b64 v[38:39], 3, v[30:31]
	v_add_co_u32_e32 v38, vcc, s46, v38
	v_addc_co_u32_e32 v39, vcc, v34, v39, vcc
	global_load_dwordx2 v[36:37], v[28:29], off
	s_add_i32 s27, s27, -1
	global_load_dwordx2 v[38:39], v[38:39], off
	v_add_co_u32_e32 v28, vcc, 8, v28
	v_addc_co_u32_e32 v29, vcc, 0, v29, vcc
	v_add_u32_e32 v30, s11, v30
	s_cmp_eq_u32 s27, 0
	s_waitcnt vmcnt(0)
	v_fmac_f64_e32 v[26:27], v[36:37], v[38:39]
	s_cbranch_scc0 .LBB38_28
.LBB38_29:                              ;   in Loop: Header=BB38_18 Depth=2
	s_waitcnt vmcnt(0)
	v_subrev_u32_e32 v17, s41, v17
	v_mul_f64 v[26:27], v[6:7], v[26:27]
	v_and_b32_e32 v21, 7, v17
	s_mov_b64 s[50:51], 0
	s_branch .LBB38_31
.LBB38_30:                              ;   in Loop: Header=BB38_31 Depth=3
	s_or_b64 exec, exec, s[52:53]
	s_xor_b64 s[52:53], s[54:55], -1
	s_and_b64 s[52:53], exec, s[52:53]
	s_or_b64 s[50:51], s[52:53], s[50:51]
	s_andn2_b64 exec, exec, s[50:51]
	s_cbranch_execz .LBB38_17
.LBB38_31:                              ;   Parent Loop BB38_15 Depth=1
                                        ;     Parent Loop BB38_18 Depth=2
                                        ; =>    This Inner Loop Header: Depth=3
	v_lshl_add_u32 v23, v21, 2, v1
	ds_read_b32 v25, v23
                                        ; implicit-def: $sgpr54_sgpr55
	s_waitcnt lgkmcnt(0)
	v_cmp_ne_u32_e32 vcc, v25, v17
	s_and_saveexec_b64 s[52:53], vcc
	s_xor_b64 s[52:53], exec, s[52:53]
	s_cbranch_execz .LBB38_39
; %bb.32:                               ;   in Loop: Header=BB38_31 Depth=3
	v_cmp_ne_u32_e32 vcc, s10, v25
                                        ; implicit-def: $sgpr54_sgpr55
	s_and_saveexec_b64 s[56:57], vcc
	s_xor_b64 s[56:57], exec, s[56:57]
; %bb.33:                               ;   in Loop: Header=BB38_31 Depth=3
	v_add_u32_e32 v21, 1, v21
	v_and_b32_e32 v21, 7, v21
	s_mov_b64 s[54:55], -1
                                        ; implicit-def: $vgpr23
; %bb.34:                               ;   in Loop: Header=BB38_31 Depth=3
	s_andn2_saveexec_b64 s[56:57], s[56:57]
	s_cbranch_execz .LBB38_38
; %bb.35:                               ;   in Loop: Header=BB38_31 Depth=3
	v_mov_b32_e32 v25, s10
	ds_cmpst_rtn_b32 v23, v23, v25, v17
	s_mov_b64 s[58:59], -1
	s_waitcnt lgkmcnt(0)
	v_cmp_eq_u32_e32 vcc, s10, v23
	s_and_saveexec_b64 s[60:61], vcc
	s_cbranch_execz .LBB38_37
; %bb.36:                               ;   in Loop: Header=BB38_31 Depth=3
	v_lshl_or_b32 v23, v21, 9, v11
	v_add_u32_e32 v23, v9, v23
	ds_add_f64 v23, v[26:27]
	s_xor_b64 s[58:59], exec, -1
.LBB38_37:                              ;   in Loop: Header=BB38_31 Depth=3
	s_or_b64 exec, exec, s[60:61]
	s_andn2_b64 s[54:55], s[54:55], exec
	s_and_b64 s[58:59], s[58:59], exec
	s_or_b64 s[54:55], s[54:55], s[58:59]
.LBB38_38:                              ;   in Loop: Header=BB38_31 Depth=3
	s_or_b64 exec, exec, s[56:57]
	s_and_b64 s[54:55], s[54:55], exec
.LBB38_39:                              ;   in Loop: Header=BB38_31 Depth=3
	s_andn2_saveexec_b64 s[52:53], s[52:53]
	s_cbranch_execz .LBB38_30
; %bb.40:                               ;   in Loop: Header=BB38_31 Depth=3
	v_lshl_or_b32 v23, v21, 9, v11
	v_add_u32_e32 v23, v9, v23
	ds_add_f64 v23, v[26:27]
	s_andn2_b64 s[54:55], s[54:55], exec
	s_branch .LBB38_30
.LBB38_41:
	s_or_b64 exec, exec, s[6:7]
.LBB38_42:
	s_andn2_b64 vcc, exec, s[34:35]
	s_waitcnt lgkmcnt(0)
	s_barrier
	s_cbranch_vccnz .LBB38_60
; %bb.43:
	v_mov_b32_e32 v7, s17
	v_add_co_u32_e32 v6, vcc, s16, v4
	v_addc_co_u32_e32 v7, vcc, v7, v5, vcc
	global_load_dwordx2 v[6:7], v[6:7], off
	s_waitcnt vmcnt(0)
	v_cmp_lt_i32_e32 vcc, v6, v7
	s_and_saveexec_b64 s[2:3], vcc
	s_cbranch_execz .LBB38_59
; %bb.44:
	s_cmp_eq_u32 s8, 0
	v_subrev_u32_e32 v13, s43, v7
	v_max_i32_e32 v7, v8, v10
	s_cselect_b64 s[0:1], -1, 0
	v_subrev_u32_e32 v6, s43, v6
	v_cmp_gt_i32_e32 vcc, s11, v7
	v_cndmask_b32_e64 v12, v8, v10, s[0:1]
	v_cndmask_b32_e64 v14, v10, v8, s[0:1]
	s_mov_b64 s[4:5], 0
	s_branch .LBB38_46
.LBB38_45:                              ;   in Loop: Header=BB38_46 Depth=1
	s_or_b64 exec, exec, s[6:7]
	v_add_u32_e32 v6, 1, v6
	v_cmp_ge_i32_e64 s[0:1], v6, v13
	s_or_b64 s[4:5], s[0:1], s[4:5]
	s_andn2_b64 exec, exec, s[4:5]
	s_cbranch_execz .LBB38_59
.LBB38_46:                              ; =>This Loop Header: Depth=1
                                        ;     Child Loop BB38_49 Depth 2
	s_and_saveexec_b64 s[6:7], vcc
	s_cbranch_execz .LBB38_45
; %bb.47:                               ;   in Loop: Header=BB38_46 Depth=1
	v_ashrrev_i32_e32 v7, 31, v6
	v_lshlrev_b64 v[16:17], 2, v[6:7]
	v_mov_b32_e32 v7, s19
	v_add_co_u32_e64 v16, s[0:1], s18, v16
	v_addc_co_u32_e64 v17, s[0:1], v7, v17, s[0:1]
	global_load_dword v7, v[16:17], off
	v_mad_u64_u32 v[16:17], s[0:1], v6, s11, v[12:13]
	v_mad_u64_u32 v[16:17], s[0:1], v16, s11, v[14:15]
	v_ashrrev_i32_e32 v17, 31, v16
	v_lshlrev_b64 v[16:17], 3, v[16:17]
	v_mov_b32_e32 v15, s21
	v_add_co_u32_e64 v16, s[0:1], s20, v16
	v_addc_co_u32_e64 v17, s[0:1], v15, v17, s[0:1]
	global_load_dwordx2 v[16:17], v[16:17], off
	s_mov_b64 s[12:13], 0
	s_waitcnt vmcnt(1)
	v_subrev_u32_e32 v7, s43, v7
	v_and_b32_e32 v15, 7, v7
	s_waitcnt vmcnt(0)
	v_mul_f64 v[16:17], v[2:3], v[16:17]
	s_branch .LBB38_49
.LBB38_48:                              ;   in Loop: Header=BB38_49 Depth=2
	s_or_b64 exec, exec, s[0:1]
	s_xor_b64 s[0:1], s[16:17], -1
	s_and_b64 s[0:1], exec, s[0:1]
	s_or_b64 s[12:13], s[0:1], s[12:13]
	s_andn2_b64 exec, exec, s[12:13]
	s_cbranch_execz .LBB38_45
.LBB38_49:                              ;   Parent Loop BB38_46 Depth=1
                                        ; =>  This Inner Loop Header: Depth=2
	v_lshl_add_u32 v18, v15, 2, v1
	ds_read_b32 v19, v18
                                        ; implicit-def: $sgpr16_sgpr17
	s_waitcnt lgkmcnt(0)
	v_cmp_ne_u32_e64 s[0:1], v19, v7
	s_and_saveexec_b64 s[14:15], s[0:1]
	s_xor_b64 s[14:15], exec, s[14:15]
	s_cbranch_execz .LBB38_57
; %bb.50:                               ;   in Loop: Header=BB38_49 Depth=2
	v_cmp_ne_u32_e64 s[0:1], s10, v19
                                        ; implicit-def: $sgpr16_sgpr17
	s_and_saveexec_b64 s[24:25], s[0:1]
	s_xor_b64 s[0:1], exec, s[24:25]
; %bb.51:                               ;   in Loop: Header=BB38_49 Depth=2
	v_add_u32_e32 v15, 1, v15
	v_and_b32_e32 v15, 7, v15
	s_mov_b64 s[16:17], -1
                                        ; implicit-def: $vgpr18
; %bb.52:                               ;   in Loop: Header=BB38_49 Depth=2
	s_andn2_saveexec_b64 s[24:25], s[0:1]
	s_cbranch_execz .LBB38_56
; %bb.53:                               ;   in Loop: Header=BB38_49 Depth=2
	v_mov_b32_e32 v19, s10
	ds_cmpst_rtn_b32 v18, v18, v19, v7
	s_mov_b64 s[26:27], -1
	s_waitcnt lgkmcnt(0)
	v_cmp_eq_u32_e64 s[0:1], s10, v18
	s_and_saveexec_b64 s[28:29], s[0:1]
	s_cbranch_execz .LBB38_55
; %bb.54:                               ;   in Loop: Header=BB38_49 Depth=2
	v_lshl_or_b32 v18, v15, 9, v11
	v_add_u32_e32 v18, v9, v18
	ds_add_f64 v18, v[16:17]
	s_xor_b64 s[26:27], exec, -1
.LBB38_55:                              ;   in Loop: Header=BB38_49 Depth=2
	s_or_b64 exec, exec, s[28:29]
	s_andn2_b64 s[0:1], s[16:17], exec
	s_and_b64 s[16:17], s[26:27], exec
	s_or_b64 s[16:17], s[0:1], s[16:17]
.LBB38_56:                              ;   in Loop: Header=BB38_49 Depth=2
	s_or_b64 exec, exec, s[24:25]
	s_and_b64 s[16:17], s[16:17], exec
.LBB38_57:                              ;   in Loop: Header=BB38_49 Depth=2
	s_andn2_saveexec_b64 s[0:1], s[14:15]
	s_cbranch_execz .LBB38_48
; %bb.58:                               ;   in Loop: Header=BB38_49 Depth=2
	v_lshl_or_b32 v18, v15, 9, v11
	v_add_u32_e32 v18, v9, v18
	ds_add_f64 v18, v[16:17]
	s_andn2_b64 s[16:17], s[16:17], exec
	s_branch .LBB38_48
.LBB38_59:
	s_or_b64 exec, exec, s[2:3]
.LBB38_60:
	v_mov_b32_e32 v3, s23
	v_add_co_u32_e32 v2, vcc, s22, v4
	v_addc_co_u32_e32 v3, vcc, v3, v5, vcc
	s_waitcnt lgkmcnt(0)
	s_barrier
	global_load_dword v12, v[2:3], off
	v_and_b32_e32 v14, 56, v0
	ds_read_b128 v[4:7], v1
	ds_read_b128 v[0:3], v1 offset:16
	s_cmp_eq_u32 s8, 0
	v_max_i32_e32 v11, v8, v10
	v_lshlrev_b32_e32 v13, 3, v8
	s_cselect_b64 s[0:1], -1, 0
	v_cmp_gt_i32_e32 vcc, s11, v11
	v_cndmask_b32_e64 v11, v13, v14, s[0:1]
	v_cndmask_b32_e64 v14, v10, v8, s[0:1]
	s_waitcnt lgkmcnt(1)
	v_cmp_gt_i32_e64 s[0:1], s10, v4
	s_waitcnt vmcnt(0)
	v_subrev_u32_e32 v15, s42, v12
	s_and_saveexec_b64 s[2:3], s[0:1]
	s_cbranch_execz .LBB38_63
; %bb.61:
	v_cmp_gt_i32_e64 s[0:1], v4, v5
	v_addc_co_u32_e64 v12, s[0:1], 0, v15, s[0:1]
	v_cmp_gt_i32_e64 s[0:1], v4, v6
	v_cndmask_b32_e64 v13, 0, 1, s[0:1]
	v_cmp_gt_i32_e64 s[0:1], v4, v7
	v_addc_co_u32_e64 v12, s[0:1], v12, v13, s[0:1]
	s_waitcnt lgkmcnt(0)
	v_cmp_gt_i32_e64 s[0:1], v4, v0
	v_cndmask_b32_e64 v13, 0, 1, s[0:1]
	v_cmp_gt_i32_e64 s[0:1], v4, v1
	v_addc_co_u32_e64 v12, s[0:1], v12, v13, s[0:1]
	v_cmp_gt_i32_e64 s[0:1], v4, v2
	v_cndmask_b32_e64 v13, 0, 1, s[0:1]
	v_cmp_gt_i32_e64 s[0:1], v4, v3
	v_addc_co_u32_e64 v12, s[0:1], v12, v13, s[0:1]
	v_ashrrev_i32_e32 v13, 31, v12
	v_lshlrev_b64 v[16:17], 2, v[12:13]
	v_mov_b32_e32 v13, s37
	v_add_co_u32_e64 v16, s[0:1], s36, v16
	v_add_u32_e32 v18, s42, v4
	v_addc_co_u32_e64 v17, s[0:1], v13, v17, s[0:1]
	global_store_dword v[16:17], v18, off
	s_and_b64 exec, exec, vcc
	s_cbranch_execz .LBB38_63
; %bb.62:
	v_or_b32_e32 v16, v11, v14
	v_mad_u64_u32 v[12:13], s[0:1], v12, s11, v[10:11]
	v_lshl_add_u32 v16, v16, 3, v9
	v_mad_u64_u32 v[12:13], s[0:1], v12, s11, v[8:9]
	ds_read_b64 v[16:17], v16
	v_ashrrev_i32_e32 v13, 31, v12
	v_lshlrev_b64 v[12:13], 3, v[12:13]
	v_mov_b32_e32 v18, s39
	v_add_co_u32_e64 v12, s[0:1], s38, v12
	v_addc_co_u32_e64 v13, s[0:1], v18, v13, s[0:1]
	s_waitcnt lgkmcnt(0)
	global_store_dwordx2 v[12:13], v[16:17], off
.LBB38_63:
	s_or_b64 exec, exec, s[2:3]
	v_cmp_gt_i32_e64 s[0:1], s10, v5
	s_and_saveexec_b64 s[2:3], s[0:1]
	s_cbranch_execz .LBB38_66
; %bb.64:
	v_cmp_gt_i32_e64 s[0:1], v5, v4
	v_addc_co_u32_e64 v12, s[0:1], 0, v15, s[0:1]
	v_cmp_gt_i32_e64 s[0:1], v5, v6
	v_cndmask_b32_e64 v13, 0, 1, s[0:1]
	v_cmp_gt_i32_e64 s[0:1], v5, v7
	v_addc_co_u32_e64 v12, s[0:1], v12, v13, s[0:1]
	s_waitcnt lgkmcnt(0)
	v_cmp_gt_i32_e64 s[0:1], v5, v0
	v_cndmask_b32_e64 v13, 0, 1, s[0:1]
	v_cmp_gt_i32_e64 s[0:1], v5, v1
	v_addc_co_u32_e64 v12, s[0:1], v12, v13, s[0:1]
	v_cmp_gt_i32_e64 s[0:1], v5, v2
	v_cndmask_b32_e64 v13, 0, 1, s[0:1]
	v_cmp_gt_i32_e64 s[0:1], v5, v3
	v_addc_co_u32_e64 v12, s[0:1], v12, v13, s[0:1]
	v_ashrrev_i32_e32 v13, 31, v12
	v_lshlrev_b64 v[16:17], 2, v[12:13]
	v_mov_b32_e32 v13, s37
	v_add_co_u32_e64 v16, s[0:1], s36, v16
	v_add_u32_e32 v18, s42, v5
	v_addc_co_u32_e64 v17, s[0:1], v13, v17, s[0:1]
	global_store_dword v[16:17], v18, off
	s_and_b64 exec, exec, vcc
	s_cbranch_execz .LBB38_66
; %bb.65:
	v_or_b32_e32 v16, v11, v14
	v_mad_u64_u32 v[12:13], s[0:1], v12, s11, v[10:11]
	v_lshl_add_u32 v16, v16, 3, v9
	v_mad_u64_u32 v[12:13], s[0:1], v12, s11, v[8:9]
	ds_read_b64 v[16:17], v16 offset:512
	v_ashrrev_i32_e32 v13, 31, v12
	v_lshlrev_b64 v[12:13], 3, v[12:13]
	v_mov_b32_e32 v18, s39
	v_add_co_u32_e64 v12, s[0:1], s38, v12
	v_addc_co_u32_e64 v13, s[0:1], v18, v13, s[0:1]
	s_waitcnt lgkmcnt(0)
	global_store_dwordx2 v[12:13], v[16:17], off
.LBB38_66:
	s_or_b64 exec, exec, s[2:3]
	v_cmp_gt_i32_e64 s[0:1], s10, v6
	s_and_saveexec_b64 s[2:3], s[0:1]
	s_cbranch_execz .LBB38_69
; %bb.67:
	v_cmp_gt_i32_e64 s[0:1], v6, v4
	v_addc_co_u32_e64 v12, s[0:1], 0, v15, s[0:1]
	v_cmp_gt_i32_e64 s[0:1], v6, v5
	v_cndmask_b32_e64 v13, 0, 1, s[0:1]
	v_cmp_gt_i32_e64 s[0:1], v6, v7
	v_addc_co_u32_e64 v12, s[0:1], v12, v13, s[0:1]
	s_waitcnt lgkmcnt(0)
	v_cmp_gt_i32_e64 s[0:1], v6, v0
	v_cndmask_b32_e64 v13, 0, 1, s[0:1]
	v_cmp_gt_i32_e64 s[0:1], v6, v1
	v_addc_co_u32_e64 v12, s[0:1], v12, v13, s[0:1]
	v_cmp_gt_i32_e64 s[0:1], v6, v2
	v_cndmask_b32_e64 v13, 0, 1, s[0:1]
	v_cmp_gt_i32_e64 s[0:1], v6, v3
	v_addc_co_u32_e64 v12, s[0:1], v12, v13, s[0:1]
	v_ashrrev_i32_e32 v13, 31, v12
	v_lshlrev_b64 v[16:17], 2, v[12:13]
	v_mov_b32_e32 v13, s37
	v_add_co_u32_e64 v16, s[0:1], s36, v16
	v_add_u32_e32 v18, s42, v6
	v_addc_co_u32_e64 v17, s[0:1], v13, v17, s[0:1]
	global_store_dword v[16:17], v18, off
	s_and_b64 exec, exec, vcc
	s_cbranch_execz .LBB38_69
; %bb.68:
	v_or_b32_e32 v16, v11, v14
	v_mad_u64_u32 v[12:13], s[0:1], v12, s11, v[10:11]
	v_lshl_add_u32 v16, v16, 3, v9
	v_mad_u64_u32 v[12:13], s[0:1], v12, s11, v[8:9]
	ds_read_b64 v[16:17], v16 offset:1024
	v_ashrrev_i32_e32 v13, 31, v12
	v_lshlrev_b64 v[12:13], 3, v[12:13]
	v_mov_b32_e32 v18, s39
	v_add_co_u32_e64 v12, s[0:1], s38, v12
	v_addc_co_u32_e64 v13, s[0:1], v18, v13, s[0:1]
	s_waitcnt lgkmcnt(0)
	global_store_dwordx2 v[12:13], v[16:17], off
.LBB38_69:
	;; [unrolled: 43-line block ×3, first 2 shown]
	s_or_b64 exec, exec, s[2:3]
	s_waitcnt lgkmcnt(0)
	v_cmp_gt_i32_e64 s[0:1], s10, v0
	s_and_saveexec_b64 s[2:3], s[0:1]
	s_cbranch_execz .LBB38_75
; %bb.73:
	v_cmp_gt_i32_e64 s[0:1], v0, v4
	v_addc_co_u32_e64 v12, s[0:1], 0, v15, s[0:1]
	v_cmp_gt_i32_e64 s[0:1], v0, v5
	v_cndmask_b32_e64 v13, 0, 1, s[0:1]
	v_cmp_gt_i32_e64 s[0:1], v0, v6
	v_addc_co_u32_e64 v12, s[0:1], v12, v13, s[0:1]
	v_cmp_gt_i32_e64 s[0:1], v0, v7
	v_cndmask_b32_e64 v13, 0, 1, s[0:1]
	v_cmp_gt_i32_e64 s[0:1], v0, v1
	v_addc_co_u32_e64 v12, s[0:1], v12, v13, s[0:1]
	v_cmp_gt_i32_e64 s[0:1], v0, v2
	v_cndmask_b32_e64 v13, 0, 1, s[0:1]
	v_cmp_gt_i32_e64 s[0:1], v0, v3
	v_addc_co_u32_e64 v12, s[0:1], v12, v13, s[0:1]
	v_ashrrev_i32_e32 v13, 31, v12
	v_lshlrev_b64 v[16:17], 2, v[12:13]
	v_mov_b32_e32 v13, s37
	v_add_co_u32_e64 v16, s[0:1], s36, v16
	v_add_u32_e32 v18, s42, v0
	v_addc_co_u32_e64 v17, s[0:1], v13, v17, s[0:1]
	global_store_dword v[16:17], v18, off
	s_and_b64 exec, exec, vcc
	s_cbranch_execz .LBB38_75
; %bb.74:
	v_or_b32_e32 v16, v11, v14
	v_mad_u64_u32 v[12:13], s[0:1], v12, s11, v[10:11]
	v_lshl_add_u32 v16, v16, 3, v9
	v_mad_u64_u32 v[12:13], s[0:1], v12, s11, v[8:9]
	ds_read_b64 v[16:17], v16 offset:2048
	v_ashrrev_i32_e32 v13, 31, v12
	v_lshlrev_b64 v[12:13], 3, v[12:13]
	v_mov_b32_e32 v18, s39
	v_add_co_u32_e64 v12, s[0:1], s38, v12
	v_addc_co_u32_e64 v13, s[0:1], v18, v13, s[0:1]
	s_waitcnt lgkmcnt(0)
	global_store_dwordx2 v[12:13], v[16:17], off
.LBB38_75:
	s_or_b64 exec, exec, s[2:3]
	v_cmp_gt_i32_e64 s[0:1], s10, v1
	s_and_saveexec_b64 s[2:3], s[0:1]
	s_cbranch_execz .LBB38_78
; %bb.76:
	v_cmp_gt_i32_e64 s[0:1], v1, v4
	v_addc_co_u32_e64 v12, s[0:1], 0, v15, s[0:1]
	v_cmp_gt_i32_e64 s[0:1], v1, v5
	v_cndmask_b32_e64 v13, 0, 1, s[0:1]
	v_cmp_gt_i32_e64 s[0:1], v1, v6
	v_addc_co_u32_e64 v12, s[0:1], v12, v13, s[0:1]
	v_cmp_gt_i32_e64 s[0:1], v1, v7
	v_cndmask_b32_e64 v13, 0, 1, s[0:1]
	v_cmp_gt_i32_e64 s[0:1], v1, v0
	v_addc_co_u32_e64 v12, s[0:1], v12, v13, s[0:1]
	v_cmp_gt_i32_e64 s[0:1], v1, v2
	v_cndmask_b32_e64 v13, 0, 1, s[0:1]
	v_cmp_gt_i32_e64 s[0:1], v1, v3
	v_addc_co_u32_e64 v12, s[0:1], v12, v13, s[0:1]
	v_ashrrev_i32_e32 v13, 31, v12
	v_lshlrev_b64 v[16:17], 2, v[12:13]
	v_mov_b32_e32 v13, s37
	v_add_co_u32_e64 v16, s[0:1], s36, v16
	v_add_u32_e32 v18, s42, v1
	v_addc_co_u32_e64 v17, s[0:1], v13, v17, s[0:1]
	global_store_dword v[16:17], v18, off
	s_and_b64 exec, exec, vcc
	s_cbranch_execz .LBB38_78
; %bb.77:
	v_or_b32_e32 v16, v11, v14
	v_mad_u64_u32 v[12:13], s[0:1], v12, s11, v[10:11]
	v_lshl_add_u32 v16, v16, 3, v9
	v_mad_u64_u32 v[12:13], s[0:1], v12, s11, v[8:9]
	ds_read_b64 v[16:17], v16 offset:2560
	v_ashrrev_i32_e32 v13, 31, v12
	v_lshlrev_b64 v[12:13], 3, v[12:13]
	v_mov_b32_e32 v18, s39
	v_add_co_u32_e64 v12, s[0:1], s38, v12
	v_addc_co_u32_e64 v13, s[0:1], v18, v13, s[0:1]
	s_waitcnt lgkmcnt(0)
	global_store_dwordx2 v[12:13], v[16:17], off
.LBB38_78:
	s_or_b64 exec, exec, s[2:3]
	;; [unrolled: 42-line block ×3, first 2 shown]
	v_cmp_gt_i32_e64 s[0:1], s10, v3
	s_and_b64 exec, exec, s[0:1]
	s_cbranch_execz .LBB38_84
; %bb.82:
	v_cmp_gt_i32_e64 s[0:1], v3, v4
	v_addc_co_u32_e64 v4, s[0:1], 0, v15, s[0:1]
	v_cmp_gt_i32_e64 s[0:1], v3, v5
	v_cndmask_b32_e64 v5, 0, 1, s[0:1]
	v_cmp_gt_i32_e64 s[0:1], v3, v6
	v_addc_co_u32_e64 v4, s[0:1], v4, v5, s[0:1]
	v_cmp_gt_i32_e64 s[0:1], v3, v7
	v_cndmask_b32_e64 v5, 0, 1, s[0:1]
	;; [unrolled: 4-line block ×3, first 2 shown]
	v_cmp_gt_i32_e64 s[0:1], v3, v2
	v_addc_co_u32_e64 v0, s[0:1], v0, v1, s[0:1]
	v_ashrrev_i32_e32 v1, 31, v0
	v_add_u32_e32 v4, s42, v3
	v_lshlrev_b64 v[2:3], 2, v[0:1]
	v_mov_b32_e32 v1, s37
	v_add_co_u32_e64 v2, s[0:1], s36, v2
	v_addc_co_u32_e64 v3, s[0:1], v1, v3, s[0:1]
	global_store_dword v[2:3], v4, off
	s_and_b64 exec, exec, vcc
	s_cbranch_execz .LBB38_84
; %bb.83:
	v_or_b32_e32 v2, v11, v14
	v_mad_u64_u32 v[0:1], s[0:1], v0, s11, v[10:11]
	v_lshl_add_u32 v2, v2, 3, v9
	v_mad_u64_u32 v[0:1], s[0:1], v0, s11, v[8:9]
	ds_read_b64 v[2:3], v2 offset:3584
	v_ashrrev_i32_e32 v1, 31, v0
	v_lshlrev_b64 v[0:1], 3, v[0:1]
	v_mov_b32_e32 v4, s39
	v_add_co_u32_e32 v0, vcc, s38, v0
	v_addc_co_u32_e32 v1, vcc, v4, v1, vcc
	s_waitcnt lgkmcnt(0)
	global_store_dwordx2 v[0:1], v[2:3], off
.LBB38_84:
	s_endpgm
	.section	.rodata,"a",@progbits
	.p2align	6, 0x0
	.amdhsa_kernel _ZN9rocsparseL23bsrgemm_fill_wf_per_rowILj256ELj64ELj8ELj137ELj8EiidEEv20rocsparse_direction_T5_S2_S2_PKS2_S4_NS_24const_host_device_scalarIT6_EEPKT4_S4_PKS6_SA_S4_SC_S7_SA_S4_SC_SA_PS2_PS6_21rocsparse_index_base_SF_SF_SF_bbb
		.amdhsa_group_segment_fixed_size 16512
		.amdhsa_private_segment_fixed_size 0
		.amdhsa_kernarg_size 164
		.amdhsa_user_sgpr_count 6
		.amdhsa_user_sgpr_private_segment_buffer 1
		.amdhsa_user_sgpr_dispatch_ptr 0
		.amdhsa_user_sgpr_queue_ptr 0
		.amdhsa_user_sgpr_kernarg_segment_ptr 1
		.amdhsa_user_sgpr_dispatch_id 0
		.amdhsa_user_sgpr_flat_scratch_init 0
		.amdhsa_user_sgpr_kernarg_preload_length 0
		.amdhsa_user_sgpr_kernarg_preload_offset 0
		.amdhsa_user_sgpr_private_segment_size 0
		.amdhsa_uses_dynamic_stack 0
		.amdhsa_system_sgpr_private_segment_wavefront_offset 0
		.amdhsa_system_sgpr_workgroup_id_x 1
		.amdhsa_system_sgpr_workgroup_id_y 0
		.amdhsa_system_sgpr_workgroup_id_z 0
		.amdhsa_system_sgpr_workgroup_info 0
		.amdhsa_system_vgpr_workitem_id 0
		.amdhsa_next_free_vgpr 40
		.amdhsa_next_free_sgpr 62
		.amdhsa_accum_offset 40
		.amdhsa_reserve_vcc 1
		.amdhsa_reserve_flat_scratch 0
		.amdhsa_float_round_mode_32 0
		.amdhsa_float_round_mode_16_64 0
		.amdhsa_float_denorm_mode_32 3
		.amdhsa_float_denorm_mode_16_64 3
		.amdhsa_dx10_clamp 1
		.amdhsa_ieee_mode 1
		.amdhsa_fp16_overflow 0
		.amdhsa_tg_split 0
		.amdhsa_exception_fp_ieee_invalid_op 0
		.amdhsa_exception_fp_denorm_src 0
		.amdhsa_exception_fp_ieee_div_zero 0
		.amdhsa_exception_fp_ieee_overflow 0
		.amdhsa_exception_fp_ieee_underflow 0
		.amdhsa_exception_fp_ieee_inexact 0
		.amdhsa_exception_int_div_zero 0
	.end_amdhsa_kernel
	.section	.text._ZN9rocsparseL23bsrgemm_fill_wf_per_rowILj256ELj64ELj8ELj137ELj8EiidEEv20rocsparse_direction_T5_S2_S2_PKS2_S4_NS_24const_host_device_scalarIT6_EEPKT4_S4_PKS6_SA_S4_SC_S7_SA_S4_SC_SA_PS2_PS6_21rocsparse_index_base_SF_SF_SF_bbb,"axG",@progbits,_ZN9rocsparseL23bsrgemm_fill_wf_per_rowILj256ELj64ELj8ELj137ELj8EiidEEv20rocsparse_direction_T5_S2_S2_PKS2_S4_NS_24const_host_device_scalarIT6_EEPKT4_S4_PKS6_SA_S4_SC_S7_SA_S4_SC_SA_PS2_PS6_21rocsparse_index_base_SF_SF_SF_bbb,comdat
.Lfunc_end38:
	.size	_ZN9rocsparseL23bsrgemm_fill_wf_per_rowILj256ELj64ELj8ELj137ELj8EiidEEv20rocsparse_direction_T5_S2_S2_PKS2_S4_NS_24const_host_device_scalarIT6_EEPKT4_S4_PKS6_SA_S4_SC_S7_SA_S4_SC_SA_PS2_PS6_21rocsparse_index_base_SF_SF_SF_bbb, .Lfunc_end38-_ZN9rocsparseL23bsrgemm_fill_wf_per_rowILj256ELj64ELj8ELj137ELj8EiidEEv20rocsparse_direction_T5_S2_S2_PKS2_S4_NS_24const_host_device_scalarIT6_EEPKT4_S4_PKS6_SA_S4_SC_S7_SA_S4_SC_SA_PS2_PS6_21rocsparse_index_base_SF_SF_SF_bbb
                                        ; -- End function
	.section	.AMDGPU.csdata,"",@progbits
; Kernel info:
; codeLenInByte = 4076
; NumSgprs: 66
; NumVgprs: 40
; NumAgprs: 0
; TotalNumVgprs: 40
; ScratchSize: 0
; MemoryBound: 0
; FloatMode: 240
; IeeeMode: 1
; LDSByteSize: 16512 bytes/workgroup (compile time only)
; SGPRBlocks: 8
; VGPRBlocks: 4
; NumSGPRsForWavesPerEU: 66
; NumVGPRsForWavesPerEU: 40
; AccumOffset: 40
; Occupancy: 3
; WaveLimiterHint : 1
; COMPUTE_PGM_RSRC2:SCRATCH_EN: 0
; COMPUTE_PGM_RSRC2:USER_SGPR: 6
; COMPUTE_PGM_RSRC2:TRAP_HANDLER: 0
; COMPUTE_PGM_RSRC2:TGID_X_EN: 1
; COMPUTE_PGM_RSRC2:TGID_Y_EN: 0
; COMPUTE_PGM_RSRC2:TGID_Z_EN: 0
; COMPUTE_PGM_RSRC2:TIDIG_COMP_CNT: 0
; COMPUTE_PGM_RSRC3_GFX90A:ACCUM_OFFSET: 9
; COMPUTE_PGM_RSRC3_GFX90A:TG_SPLIT: 0
	.section	.text._ZN9rocsparseL38bsrgemm_block_per_row_atomic_multipassILj256ELj16ELj8EiidEEv20rocsparse_direction_T3_S2_PKS2_S4_NS_24const_host_device_scalarIT4_EEPKT2_S4_PKS6_SA_S4_SC_S7_SA_S4_SC_SA_PS2_PS6_PS8_21rocsparse_index_base_SG_SG_SG_bbb,"axG",@progbits,_ZN9rocsparseL38bsrgemm_block_per_row_atomic_multipassILj256ELj16ELj8EiidEEv20rocsparse_direction_T3_S2_PKS2_S4_NS_24const_host_device_scalarIT4_EEPKT2_S4_PKS6_SA_S4_SC_S7_SA_S4_SC_SA_PS2_PS6_PS8_21rocsparse_index_base_SG_SG_SG_bbb,comdat
	.globl	_ZN9rocsparseL38bsrgemm_block_per_row_atomic_multipassILj256ELj16ELj8EiidEEv20rocsparse_direction_T3_S2_PKS2_S4_NS_24const_host_device_scalarIT4_EEPKT2_S4_PKS6_SA_S4_SC_S7_SA_S4_SC_SA_PS2_PS6_PS8_21rocsparse_index_base_SG_SG_SG_bbb ; -- Begin function _ZN9rocsparseL38bsrgemm_block_per_row_atomic_multipassILj256ELj16ELj8EiidEEv20rocsparse_direction_T3_S2_PKS2_S4_NS_24const_host_device_scalarIT4_EEPKT2_S4_PKS6_SA_S4_SC_S7_SA_S4_SC_SA_PS2_PS6_PS8_21rocsparse_index_base_SG_SG_SG_bbb
	.p2align	8
	.type	_ZN9rocsparseL38bsrgemm_block_per_row_atomic_multipassILj256ELj16ELj8EiidEEv20rocsparse_direction_T3_S2_PKS2_S4_NS_24const_host_device_scalarIT4_EEPKT2_S4_PKS6_SA_S4_SC_S7_SA_S4_SC_SA_PS2_PS6_PS8_21rocsparse_index_base_SG_SG_SG_bbb,@function
_ZN9rocsparseL38bsrgemm_block_per_row_atomic_multipassILj256ELj16ELj8EiidEEv20rocsparse_direction_T3_S2_PKS2_S4_NS_24const_host_device_scalarIT4_EEPKT2_S4_PKS6_SA_S4_SC_S7_SA_S4_SC_SA_PS2_PS6_PS8_21rocsparse_index_base_SG_SG_SG_bbb: ; @_ZN9rocsparseL38bsrgemm_block_per_row_atomic_multipassILj256ELj16ELj8EiidEEv20rocsparse_direction_T3_S2_PKS2_S4_NS_24const_host_device_scalarIT4_EEPKT2_S4_PKS6_SA_S4_SC_S7_SA_S4_SC_SA_PS2_PS6_PS8_21rocsparse_index_base_SG_SG_SG_bbb
; %bb.0:
	s_load_dword s7, s[4:5], 0xa8
	s_load_dwordx4 s[44:47], s[4:5], 0x98
	s_load_dwordx2 s[8:9], s[4:5], 0x20
	s_waitcnt lgkmcnt(0)
	s_and_b32 s0, 1, s7
	s_bitcmp1_b32 s7, 16
	s_cselect_b64 s[2:3], -1, 0
	s_cmp_eq_u32 s0, 1
	s_load_dwordx2 s[0:1], s[4:5], 0x58
	s_cselect_b64 s[18:19], -1, 0
	s_and_b64 s[10:11], s[18:19], exec
	s_cselect_b32 s11, s9, 0
	s_cselect_b32 s10, s8, 0
	s_xor_b64 s[12:13], s[18:19], -1
	s_or_b64 s[12:13], s[12:13], s[2:3]
	s_and_b64 vcc, exec, s[12:13]
	v_pk_mov_b32 v[2:3], s[10:11], s[10:11] op_sel:[0,1]
	s_cbranch_vccnz .LBB39_2
; %bb.1:
	v_pk_mov_b32 v[2:3], s[8:9], s[8:9] op_sel:[0,1]
	flat_load_dwordx2 v[2:3], v[2:3]
.LBB39_2:
	s_bitcmp1_b32 s7, 8
	s_load_dwordx2 s[8:9], s[4:5], 0x18
	s_cselect_b64 s[34:35], -1, 0
	s_and_b64 s[10:11], s[34:35], exec
	s_waitcnt lgkmcnt(0)
	s_cselect_b32 s11, s1, 0
	s_cselect_b32 s10, s0, 0
	s_xor_b64 s[12:13], s[34:35], -1
	s_or_b64 s[2:3], s[12:13], s[2:3]
	s_and_b64 vcc, exec, s[2:3]
	v_pk_mov_b32 v[4:5], s[10:11], s[10:11] op_sel:[0,1]
	s_cbranch_vccnz .LBB39_4
; %bb.3:
	v_pk_mov_b32 v[4:5], s[0:1], s[0:1] op_sel:[0,1]
	flat_load_dwordx2 v[4:5], v[4:5]
.LBB39_4:
	s_load_dwordx2 s[2:3], s[4:5], 0x28
	s_cmp_eq_u64 s[8:9], 0
	s_cbranch_scc1 .LBB39_6
; %bb.5:
	s_load_dwordx2 s[0:1], s[4:5], 0x10
	s_waitcnt lgkmcnt(0)
	s_load_dword s0, s[0:1], 0x0
	s_mov_b32 s1, 0
	s_waitcnt lgkmcnt(0)
	s_add_i32 s0, s0, s6
	s_lshl_b64 s[0:1], s[0:1], 2
	s_add_u32 s0, s8, s0
	s_addc_u32 s1, s9, s1
	s_load_dword s6, s[0:1], 0x0
.LBB39_6:
	v_cndmask_b32_e64 v1, 0, 1, s[18:19]
	s_mov_b32 s33, 0
	v_cmp_ne_u32_e64 s[0:1], 1, v1
	s_andn2_b64 vcc, exec, s[18:19]
	s_mov_b32 s78, 0
	s_cbranch_vccz .LBB39_9
; %bb.7:
	s_and_b64 vcc, exec, s[0:1]
	s_cbranch_vccz .LBB39_10
.LBB39_8:
	s_load_dwordx4 s[48:51], s[4:5], 0x0
	s_waitcnt lgkmcnt(0)
	s_cmp_lt_i32 s49, 1
	s_cbranch_scc0 .LBB39_11
	s_branch .LBB39_89
.LBB39_9:
	s_waitcnt lgkmcnt(0)
	s_ashr_i32 s7, s6, 31
	s_lshl_b64 s[8:9], s[6:7], 2
	s_add_u32 s8, s2, s8
	s_addc_u32 s9, s3, s9
	s_load_dword s7, s[8:9], 0x0
	s_waitcnt lgkmcnt(0)
	s_sub_i32 s78, s7, s44
	s_and_b64 vcc, exec, s[0:1]
	s_cbranch_vccnz .LBB39_8
.LBB39_10:
	s_waitcnt lgkmcnt(0)
	s_ashr_i32 s7, s6, 31
	s_lshl_b64 s[0:1], s[6:7], 2
	s_add_u32 s0, s2, s0
	s_addc_u32 s1, s3, s1
	s_load_dword s0, s[0:1], 0x4
	s_waitcnt lgkmcnt(0)
	s_sub_i32 s33, s0, s44
	s_load_dwordx4 s[48:51], s[4:5], 0x0
	s_waitcnt lgkmcnt(0)
	s_cmp_lt_i32 s49, 1
	s_cbranch_scc1 .LBB39_89
.LBB39_11:
	s_load_dwordx2 s[56:57], s[4:5], 0x90
	s_load_dwordx4 s[52:55], s[4:5], 0x80
	s_load_dwordx8 s[24:31], s[4:5], 0x60
	s_load_dwordx2 s[58:59], s[4:5], 0x50
	s_load_dwordx8 s[36:43], s[4:5], 0x30
	s_ashr_i32 s7, s6, 31
	s_lshl_b64 s[6:7], s[6:7], 2
	s_waitcnt lgkmcnt(0)
	s_add_u32 s0, s30, s6
	s_addc_u32 s1, s31, s7
	s_load_dword s0, s[0:1], 0x0
	v_and_b32_e32 v6, 7, v0
	v_bfe_u32 v8, v0, 3, 3
	v_and_b32_e32 v1, 63, v0
	v_lshrrev_b32_e32 v7, 6, v0
	s_waitcnt lgkmcnt(0)
	s_sub_i32 s22, s0, s46
	s_cmp_lt_i32 s78, s33
	s_cselect_b64 s[20:21], -1, 0
	s_cmp_eq_u32 s48, 0
	s_cselect_b64 vcc, -1, 0
	s_cmp_lg_u32 s48, 0
	s_cselect_b64 s[30:31], -1, 0
	s_cmp_gt_i32 s50, 0
	v_max_i32_e32 v9, v6, v8
	s_cselect_b64 s[60:61], -1, 0
	s_add_u32 s24, s24, s6
	v_mov_b32_e32 v14, 0x2800
	v_cmp_gt_u32_e64 s[0:1], 16, v0
	v_cmp_eq_u32_e64 s[2:3], 0, v0
	v_cmp_gt_i32_e64 s[4:5], s50, v9
	v_lshlrev_b32_e32 v9, 3, v0
	s_movk_i32 s23, 0x2000
	v_and_b32_e32 v13, 56, v0
	s_addc_u32 s25, s25, s7
	v_cmp_eq_u32_e64 s[6:7], 63, v1
	v_and_b32_e32 v1, 15, v0
	v_lshl_or_b32 v27, v0, 2, v14
	v_or_b32_e32 v31, 0xffffff00, v0
	v_lshlrev_b32_e32 v0, 9, v7
	v_add_co_u32_e64 v12, s[8:9], -1, v1
	s_and_b64 s[18:19], s[18:19], s[20:21]
	v_or3_b32 v32, v0, v13, s23
	v_and_b32_e32 v0, 0x7c0, v9
	v_lshlrev_b32_e32 v10, 2, v1
	v_lshl_add_u32 v26, v12, 2, v14
	s_add_u32 s48, s40, 4
	s_mul_i32 s79, s50, s50
	v_or_b32_e32 v33, 0x2000, v0
	v_lshl_or_b32 v34, v7, 2, v14
	v_mov_b32_e32 v0, 0
	v_cndmask_b32_e64 v14, 0, 1, s[18:19]
	s_mov_b32 s82, 0
	v_or_b32_e32 v11, 0x2000, v9
	v_subrev_u32_e32 v24, s47, v7
	v_or_b32_e32 v25, 0x2800, v10
	v_cmp_ne_u32_e64 s[10:11], 0, v1
	v_cmp_lt_u32_e64 s[12:13], 1, v1
	v_add_u32_e32 v28, 0x27f8, v10
	v_cmp_lt_u32_e64 s[14:15], 3, v1
	v_add_u32_e32 v29, 0x27f0, v10
	v_cmp_lt_u32_e64 s[16:17], 7, v1
	v_add_u32_e32 v30, 0x27e0, v10
	v_cndmask_b32_e32 v10, v6, v8, vcc
	v_cndmask_b32_e32 v12, v8, v6, vcc
	s_addc_u32 s51, s41, 0
	s_lshl_b32 s80, s79, 2
	v_mov_b32_e32 v37, 16
	v_mov_b32_e32 v35, s22
	;; [unrolled: 1-line block ×3, first 2 shown]
	s_movk_i32 s81, 0x2ff
	v_cmp_ne_u32_e64 s[18:19], 1, v14
	v_mov_b32_e32 v36, 1
	s_branch .LBB39_13
.LBB39_12:                              ;   in Loop: Header=BB39_13 Depth=1
	s_or_b64 exec, exec, s[20:21]
	s_barrier
	ds_read_b32 v14, v0 offset:10304
	v_add_u32_e32 v35, v16, v35
	s_waitcnt lgkmcnt(0)
	s_barrier
	v_cmp_le_i32_e32 vcc, s49, v14
	v_readfirstlane_b32 s82, v14
	v_add_u32_e32 v37, 16, v14
	s_cbranch_vccnz .LBB39_89
.LBB39_13:                              ; =>This Loop Header: Depth=1
                                        ;     Child Loop BB39_16 Depth 2
                                        ;     Child Loop BB39_22 Depth 2
                                        ;       Child Loop BB39_35 Depth 3
                                        ;         Child Loop BB39_44 Depth 4
                                        ;         Child Loop BB39_49 Depth 4
                                        ;     Child Loop BB39_60 Depth 2
                                        ;     Child Loop BB39_69 Depth 2
	;; [unrolled: 1-line block ×3, first 2 shown]
	s_and_saveexec_b64 s[20:21], s[0:1]
	s_cbranch_execz .LBB39_15
; %bb.14:                               ;   in Loop: Header=BB39_13 Depth=1
	ds_write_b32 v27, v0
.LBB39_15:                              ;   in Loop: Header=BB39_13 Depth=1
	s_or_b64 exec, exec, s[20:21]
	s_mov_b64 s[20:21], 0
	v_mov_b32_e32 v14, v9
	v_mov_b32_e32 v15, v31
.LBB39_16:                              ;   Parent Loop BB39_13 Depth=1
                                        ; =>  This Inner Loop Header: Depth=2
	v_add_u32_e32 v15, 0x100, v15
	v_cmp_lt_u32_e32 vcc, s81, v15
	ds_write_b64 v14, v[0:1]
	s_or_b64 s[20:21], vcc, s[20:21]
	v_add_u32_e32 v14, 0x800, v14
	s_andn2_b64 exec, exec, s[20:21]
	s_cbranch_execnz .LBB39_16
; %bb.17:                               ;   in Loop: Header=BB39_13 Depth=1
	s_or_b64 exec, exec, s[20:21]
	s_and_saveexec_b64 s[20:21], s[2:3]
	s_cbranch_execz .LBB39_19
; %bb.18:                               ;   in Loop: Header=BB39_13 Depth=1
	v_mov_b32_e32 v14, s49
	ds_write_b32 v0, v14 offset:10304
.LBB39_19:                              ;   in Loop: Header=BB39_13 Depth=1
	s_or_b64 exec, exec, s[20:21]
	s_and_b64 vcc, exec, s[18:19]
	v_mov_b32_e32 v38, s49
	s_waitcnt lgkmcnt(0)
	s_barrier
	s_cbranch_vccnz .LBB39_55
; %bb.20:                               ;   in Loop: Header=BB39_13 Depth=1
	s_cmp_lg_u32 s82, 0
	s_cselect_b64 s[62:63], -1, 0
	v_mov_b32_e32 v38, s49
	s_mov_b32 s83, s78
	s_branch .LBB39_22
.LBB39_21:                              ;   in Loop: Header=BB39_22 Depth=2
	s_or_b64 exec, exec, s[22:23]
	s_add_i32 s83, s83, 4
	s_cmp_lt_i32 s83, s33
	s_cbranch_scc0 .LBB39_55
.LBB39_22:                              ;   Parent Loop BB39_13 Depth=1
                                        ; =>  This Loop Header: Depth=2
                                        ;       Child Loop BB39_35 Depth 3
                                        ;         Child Loop BB39_44 Depth 4
                                        ;         Child Loop BB39_49 Depth 4
	v_add_u32_e32 v14, s83, v7
	v_cmp_gt_i32_e64 s[20:21], s33, v14
	s_barrier
	s_and_saveexec_b64 s[22:23], s[20:21]
	s_cbranch_execz .LBB39_26
; %bb.23:                               ;   in Loop: Header=BB39_22 Depth=2
	v_pk_mov_b32 v[16:17], 0, 0
	s_and_saveexec_b64 s[64:65], s[4:5]
	s_cbranch_execz .LBB39_25
; %bb.24:                               ;   in Loop: Header=BB39_22 Depth=2
	v_mad_u64_u32 v[16:17], s[66:67], v14, s50, v[8:9]
	v_mad_u64_u32 v[16:17], s[66:67], v16, s50, v[6:7]
	v_ashrrev_i32_e32 v17, 31, v16
	v_lshlrev_b64 v[16:17], 3, v[16:17]
	v_mov_b32_e32 v15, s39
	v_add_co_u32_e32 v16, vcc, s38, v16
	v_addc_co_u32_e32 v17, vcc, v15, v17, vcc
	global_load_dwordx2 v[16:17], v[16:17], off
.LBB39_25:                              ;   in Loop: Header=BB39_22 Depth=2
	s_or_b64 exec, exec, s[64:65]
	s_waitcnt vmcnt(0)
	ds_write_b64 v11, v[16:17]
.LBB39_26:                              ;   in Loop: Header=BB39_22 Depth=2
	s_or_b64 exec, exec, s[22:23]
	v_mov_b32_e32 v16, 0
	s_waitcnt lgkmcnt(0)
	s_barrier
	s_and_saveexec_b64 s[64:65], s[20:21]
	s_cbranch_execz .LBB39_52
; %bb.27:                               ;   in Loop: Header=BB39_22 Depth=2
	v_ashrrev_i32_e32 v15, 31, v14
	v_lshlrev_b64 v[16:17], 2, v[14:15]
	v_mov_b32_e32 v15, s37
	v_add_co_u32_e32 v18, vcc, s36, v16
	v_addc_co_u32_e32 v19, vcc, v15, v17, vcc
	global_load_dword v15, v[18:19], off
	s_and_b64 vcc, exec, s[62:63]
	s_waitcnt vmcnt(0)
	v_subrev_u32_e32 v18, s44, v15
	v_ashrrev_i32_e32 v19, 31, v18
	s_cbranch_vccz .LBB39_54
; %bb.28:                               ;   in Loop: Header=BB39_22 Depth=2
	v_mov_b32_e32 v15, s57
	v_add_co_u32_e32 v16, vcc, s56, v16
	v_addc_co_u32_e32 v17, vcc, v15, v17, vcc
	global_load_dword v16, v[16:17], off
	s_cbranch_execnz .LBB39_30
.LBB39_29:                              ;   in Loop: Header=BB39_22 Depth=2
	s_waitcnt vmcnt(0)
	v_lshlrev_b64 v[16:17], 2, v[18:19]
	v_mov_b32_e32 v15, s41
	v_add_co_u32_e32 v16, vcc, s40, v16
	v_addc_co_u32_e32 v17, vcc, v15, v17, vcc
	global_load_dword v15, v[16:17], off
	s_waitcnt vmcnt(0)
	v_subrev_u32_e32 v16, s45, v15
.LBB39_30:                              ;   in Loop: Header=BB39_22 Depth=2
	v_lshlrev_b64 v[18:19], 2, v[18:19]
	v_mov_b32_e32 v15, s51
	v_add_co_u32_e32 v18, vcc, s48, v18
	v_addc_co_u32_e32 v19, vcc, v15, v19, vcc
	global_load_dword v15, v[18:19], off
	s_waitcnt vmcnt(0)
	v_subrev_u32_e32 v15, s45, v15
	v_cmp_lt_i32_e32 vcc, v16, v15
	s_and_saveexec_b64 s[66:67], vcc
	s_cbranch_execz .LBB39_51
; %bb.31:                               ;   in Loop: Header=BB39_22 Depth=2
	v_mad_u64_u32 v[18:19], s[22:23], s50, v16, v[6:7]
	v_mul_lo_u32 v39, s50, v18
	v_mad_u64_u32 v[18:19], s[22:23], s79, v16, v[6:7]
	s_mov_b64 s[68:69], 0
	v_mov_b32_e32 v19, v16
	s_branch .LBB39_35
.LBB39_32:                              ;   in Loop: Header=BB39_35 Depth=3
	v_lshlrev_b32_e32 v17, 6, v17
	v_or3_b32 v17, v17, v13, v6
	v_lshlrev_b32_e32 v17, 3, v17
	v_mul_f64 v[20:21], v[2:3], v[20:21]
	ds_add_f64 v17, v[20:21]
.LBB39_33:                              ;   in Loop: Header=BB39_35 Depth=3
	s_or_b64 exec, exec, s[74:75]
	s_or_b64 s[70:71], s[70:71], exec
.LBB39_34:                              ;   in Loop: Header=BB39_35 Depth=3
	s_or_b64 exec, exec, s[72:73]
	v_add_u32_e32 v16, 1, v16
	v_cmp_ge_i32_e32 vcc, v16, v15
	s_xor_b64 s[22:23], s[70:71], -1
	s_or_b64 s[22:23], s[22:23], vcc
	s_and_b64 s[22:23], exec, s[22:23]
	v_add_u32_e32 v39, s79, v39
	s_or_b64 s[68:69], s[22:23], s[68:69]
	v_add_u32_e32 v18, s79, v18
	s_andn2_b64 exec, exec, s[68:69]
	s_cbranch_execz .LBB39_50
.LBB39_35:                              ;   Parent Loop BB39_13 Depth=1
                                        ;     Parent Loop BB39_22 Depth=2
                                        ; =>    This Loop Header: Depth=3
                                        ;         Child Loop BB39_44 Depth 4
                                        ;         Child Loop BB39_49 Depth 4
	v_ashrrev_i32_e32 v17, 31, v16
	v_lshlrev_b64 v[20:21], 2, v[16:17]
	v_mov_b32_e32 v17, s43
	v_add_co_u32_e32 v20, vcc, s42, v20
	v_addc_co_u32_e32 v21, vcc, v17, v21, vcc
	global_load_dword v17, v[20:21], off
                                        ; implicit-def: $sgpr70_sgpr71
	s_waitcnt vmcnt(0)
	v_subrev_u32_e32 v17, s45, v17
	v_cmp_gt_i32_e64 s[22:23], s82, v17
	v_cmp_ge_i32_e32 vcc, v17, v37
	s_or_b64 s[22:23], s[22:23], vcc
	s_and_saveexec_b64 s[72:73], s[22:23]
	s_xor_b64 s[22:23], exec, s[72:73]
	s_cbranch_execz .LBB39_39
; %bb.36:                               ;   in Loop: Header=BB39_35 Depth=3
	s_mov_b64 s[70:71], -1
	s_and_saveexec_b64 s[72:73], vcc
; %bb.37:                               ;   in Loop: Header=BB39_35 Depth=3
	v_min_i32_e32 v38, v17, v38
	s_xor_b64 s[70:71], exec, -1
	v_mov_b32_e32 v19, v16
; %bb.38:                               ;   in Loop: Header=BB39_35 Depth=3
	s_or_b64 exec, exec, s[72:73]
	s_and_b64 s[70:71], s[70:71], exec
                                        ; implicit-def: $vgpr17
.LBB39_39:                              ;   in Loop: Header=BB39_35 Depth=3
	s_andn2_saveexec_b64 s[72:73], s[22:23]
	s_cbranch_execz .LBB39_34
; %bb.40:                               ;   in Loop: Header=BB39_35 Depth=3
	v_subrev_u32_e32 v17, s82, v17
	v_lshlrev_b32_e32 v20, 2, v17
	ds_write_b32 v20, v36 offset:10240
	s_and_saveexec_b64 s[74:75], s[4:5]
	s_cbranch_execz .LBB39_33
; %bb.41:                               ;   in Loop: Header=BB39_35 Depth=3
	v_cndmask_b32_e64 v20, 0, 1, s[60:61]
	s_andn2_b64 vcc, exec, s[30:31]
	v_cmp_ne_u32_e64 s[22:23], 1, v20
	s_cbranch_vccnz .LBB39_46
; %bb.42:                               ;   in Loop: Header=BB39_35 Depth=3
	v_pk_mov_b32 v[20:21], 0, 0
	s_and_b64 vcc, exec, s[22:23]
	s_cbranch_vccnz .LBB39_45
; %bb.43:                               ;   in Loop: Header=BB39_35 Depth=3
	v_mov_b32_e32 v22, v39
	s_mov_b32 s76, s50
	v_mov_b32_e32 v40, v32
.LBB39_44:                              ;   Parent Loop BB39_13 Depth=1
                                        ;     Parent Loop BB39_22 Depth=2
                                        ;       Parent Loop BB39_35 Depth=3
                                        ; =>      This Inner Loop Header: Depth=4
	v_ashrrev_i32_e32 v23, 31, v22
	v_lshlrev_b64 v[42:43], 3, v[22:23]
	v_mov_b32_e32 v41, s59
	v_add_co_u32_e32 v42, vcc, s58, v42
	v_addc_co_u32_e32 v43, vcc, v41, v43, vcc
	global_load_dwordx2 v[42:43], v[42:43], off
	ds_read_b64 v[44:45], v40
	s_add_i32 s76, s76, -1
	v_add_u32_e32 v40, 64, v40
	v_add_u32_e32 v22, 1, v22
	s_cmp_lg_u32 s76, 0
	s_waitcnt vmcnt(0) lgkmcnt(0)
	v_fmac_f64_e32 v[20:21], v[44:45], v[42:43]
	s_cbranch_scc1 .LBB39_44
.LBB39_45:                              ;   in Loop: Header=BB39_35 Depth=3
	s_cbranch_execnz .LBB39_32
	s_branch .LBB39_47
.LBB39_46:                              ;   in Loop: Header=BB39_35 Depth=3
                                        ; implicit-def: $vgpr20_vgpr21
.LBB39_47:                              ;   in Loop: Header=BB39_35 Depth=3
	v_pk_mov_b32 v[20:21], 0, 0
	s_and_b64 vcc, exec, s[22:23]
	s_cbranch_vccnz .LBB39_32
; %bb.48:                               ;   in Loop: Header=BB39_35 Depth=3
	v_mov_b32_e32 v40, v33
	v_mov_b32_e32 v22, v18
	s_mov_b32 s22, s50
.LBB39_49:                              ;   Parent Loop BB39_13 Depth=1
                                        ;     Parent Loop BB39_22 Depth=2
                                        ;       Parent Loop BB39_35 Depth=3
                                        ; =>      This Inner Loop Header: Depth=4
	v_ashrrev_i32_e32 v23, 31, v22
	v_lshlrev_b64 v[42:43], 3, v[22:23]
	v_mov_b32_e32 v41, s59
	v_add_co_u32_e32 v42, vcc, s58, v42
	v_addc_co_u32_e32 v43, vcc, v41, v43, vcc
	global_load_dwordx2 v[42:43], v[42:43], off
	ds_read_b64 v[44:45], v40
	s_add_i32 s22, s22, -1
	v_add_u32_e32 v40, 8, v40
	v_add_u32_e32 v22, s50, v22
	s_cmp_eq_u32 s22, 0
	s_waitcnt vmcnt(0) lgkmcnt(0)
	v_fmac_f64_e32 v[20:21], v[44:45], v[42:43]
	s_cbranch_scc0 .LBB39_49
	s_branch .LBB39_32
.LBB39_50:                              ;   in Loop: Header=BB39_22 Depth=2
	s_or_b64 exec, exec, s[68:69]
	v_mov_b32_e32 v16, v19
.LBB39_51:                              ;   in Loop: Header=BB39_22 Depth=2
	s_or_b64 exec, exec, s[66:67]
.LBB39_52:                              ;   in Loop: Header=BB39_22 Depth=2
	s_or_b64 exec, exec, s[64:65]
	s_waitcnt lgkmcnt(0)
	s_barrier
	s_and_saveexec_b64 s[22:23], s[20:21]
	s_cbranch_execz .LBB39_21
; %bb.53:                               ;   in Loop: Header=BB39_22 Depth=2
	v_ashrrev_i32_e32 v15, 31, v14
	v_lshlrev_b64 v[14:15], 2, v[14:15]
	v_mov_b32_e32 v17, s57
	v_add_co_u32_e32 v14, vcc, s56, v14
	v_addc_co_u32_e32 v15, vcc, v17, v15, vcc
	global_store_dword v[14:15], v16, off
	s_branch .LBB39_21
.LBB39_54:                              ;   in Loop: Header=BB39_22 Depth=2
                                        ; implicit-def: $vgpr16
	s_branch .LBB39_29
.LBB39_55:                              ;   in Loop: Header=BB39_13 Depth=1
	s_andn2_b64 vcc, exec, s[34:35]
	s_cbranch_vccnz .LBB39_67
; %bb.56:                               ;   in Loop: Header=BB39_13 Depth=1
	s_load_dwordx2 s[20:21], s[24:25], 0x0
	s_waitcnt lgkmcnt(0)
	s_sub_i32 s68, s21, s47
	v_add_u32_e32 v14, s20, v24
	v_cmp_gt_i32_e32 vcc, s68, v14
	s_and_saveexec_b64 s[62:63], vcc
	s_cbranch_execz .LBB39_66
; %bb.57:                               ;   in Loop: Header=BB39_13 Depth=1
	v_mad_u64_u32 v[16:17], s[20:21], s50, v14, v[10:11]
	v_mad_u64_u32 v[16:17], s[20:21], s50, v16, v[12:13]
	s_mov_b64 s[64:65], 0
	s_branch .LBB39_60
.LBB39_58:                              ;   in Loop: Header=BB39_60 Depth=2
	s_or_b64 exec, exec, s[66:67]
	s_or_b64 s[20:21], s[20:21], exec
.LBB39_59:                              ;   in Loop: Header=BB39_60 Depth=2
	s_or_b64 exec, exec, s[22:23]
	v_add_u32_e32 v14, 4, v14
	v_cmp_le_i32_e32 vcc, s68, v14
	s_xor_b64 s[20:21], s[20:21], -1
	s_or_b64 s[20:21], vcc, s[20:21]
	s_and_b64 s[20:21], exec, s[20:21]
	s_or_b64 s[64:65], s[20:21], s[64:65]
	v_add_u32_e32 v16, s80, v16
	s_andn2_b64 exec, exec, s[64:65]
	s_cbranch_execz .LBB39_65
.LBB39_60:                              ;   Parent Loop BB39_13 Depth=1
                                        ; =>  This Inner Loop Header: Depth=2
	v_ashrrev_i32_e32 v15, 31, v14
	v_lshlrev_b64 v[18:19], 2, v[14:15]
	v_mov_b32_e32 v15, s27
	v_add_co_u32_e32 v18, vcc, s26, v18
	v_addc_co_u32_e32 v19, vcc, v15, v19, vcc
	global_load_dword v15, v[18:19], off
	s_waitcnt vmcnt(0)
	v_subrev_u32_e32 v15, s47, v15
	v_cmp_gt_i32_e64 s[20:21], s82, v15
	v_cmp_ge_i32_e64 s[22:23], v15, v37
	v_cmp_lt_i32_e32 vcc, v15, v37
	s_or_b64 s[22:23], s[20:21], s[22:23]
                                        ; implicit-def: $sgpr20_sgpr21
	s_and_saveexec_b64 s[66:67], s[22:23]
	s_xor_b64 s[22:23], exec, s[66:67]
; %bb.61:                               ;   in Loop: Header=BB39_60 Depth=2
	v_min_i32_e32 v15, v15, v38
	v_cndmask_b32_e32 v38, v15, v38, vcc
	s_and_b64 s[20:21], vcc, exec
                                        ; implicit-def: $vgpr15
; %bb.62:                               ;   in Loop: Header=BB39_60 Depth=2
	s_andn2_saveexec_b64 s[22:23], s[22:23]
	s_cbranch_execz .LBB39_59
; %bb.63:                               ;   in Loop: Header=BB39_60 Depth=2
	v_subrev_u32_e32 v15, s82, v15
	v_lshlrev_b32_e32 v17, 2, v15
	ds_write_b32 v17, v36 offset:10240
	s_and_saveexec_b64 s[66:67], s[4:5]
	s_cbranch_execz .LBB39_58
; %bb.64:                               ;   in Loop: Header=BB39_60 Depth=2
	v_ashrrev_i32_e32 v17, 31, v16
	v_lshlrev_b64 v[18:19], 3, v[16:17]
	v_mov_b32_e32 v17, s29
	v_add_co_u32_e32 v18, vcc, s28, v18
	v_addc_co_u32_e32 v19, vcc, v17, v19, vcc
	global_load_dwordx2 v[18:19], v[18:19], off
	v_lshlrev_b32_e32 v15, 6, v15
	v_or3_b32 v15, v15, v13, v6
	v_lshlrev_b32_e32 v15, 3, v15
	s_waitcnt vmcnt(0)
	v_mul_f64 v[18:19], v[4:5], v[18:19]
	ds_add_f64 v15, v[18:19]
	s_branch .LBB39_58
.LBB39_65:                              ;   in Loop: Header=BB39_13 Depth=1
	s_or_b64 exec, exec, s[64:65]
.LBB39_66:                              ;   in Loop: Header=BB39_13 Depth=1
	s_or_b64 exec, exec, s[62:63]
.LBB39_67:                              ;   in Loop: Header=BB39_13 Depth=1
	s_and_saveexec_b64 s[20:21], s[6:7]
	s_cbranch_execz .LBB39_72
; %bb.68:                               ;   in Loop: Header=BB39_13 Depth=1
	s_mov_b64 s[22:23], exec
	s_brev_b32 s62, -2
.LBB39_69:                              ;   Parent Loop BB39_13 Depth=1
                                        ; =>  This Inner Loop Header: Depth=2
	s_ff1_i32_b64 s63, s[22:23]
	v_readlane_b32 s66, v38, s63
	s_lshl_b64 s[64:65], 1, s63
	s_min_i32 s62, s62, s66
	s_andn2_b64 s[22:23], s[22:23], s[64:65]
	s_cmp_lg_u64 s[22:23], 0
	s_cbranch_scc1 .LBB39_69
; %bb.70:                               ;   in Loop: Header=BB39_13 Depth=1
	v_mbcnt_lo_u32_b32 v14, exec_lo, 0
	v_mbcnt_hi_u32_b32 v14, exec_hi, v14
	v_cmp_eq_u32_e32 vcc, 0, v14
	s_and_saveexec_b64 s[22:23], vcc
	s_xor_b64 s[22:23], exec, s[22:23]
	s_cbranch_execz .LBB39_72
; %bb.71:                               ;   in Loop: Header=BB39_13 Depth=1
	v_mov_b32_e32 v14, s62
	ds_min_i32 v0, v14 offset:10304
.LBB39_72:                              ;   in Loop: Header=BB39_13 Depth=1
	s_or_b64 exec, exec, s[20:21]
	s_waitcnt lgkmcnt(0)
	s_barrier
	ds_read_b32 v14, v25
	s_waitcnt lgkmcnt(0)
	s_barrier
	s_and_saveexec_b64 s[20:21], s[10:11]
	s_cbranch_execz .LBB39_74
; %bb.73:                               ;   in Loop: Header=BB39_13 Depth=1
	ds_read_b32 v15, v26
	s_waitcnt lgkmcnt(0)
	v_add_u32_e32 v14, v15, v14
.LBB39_74:                              ;   in Loop: Header=BB39_13 Depth=1
	s_or_b64 exec, exec, s[20:21]
	s_barrier
	ds_write_b32 v25, v14
	s_waitcnt lgkmcnt(0)
	s_barrier
	s_and_saveexec_b64 s[20:21], s[12:13]
	s_cbranch_execz .LBB39_76
; %bb.75:                               ;   in Loop: Header=BB39_13 Depth=1
	ds_read_b32 v15, v28
	s_waitcnt lgkmcnt(0)
	v_add_u32_e32 v14, v15, v14
.LBB39_76:                              ;   in Loop: Header=BB39_13 Depth=1
	s_or_b64 exec, exec, s[20:21]
	s_barrier
	ds_write_b32 v25, v14
	;; [unrolled: 12-line block ×4, first 2 shown]
	s_waitcnt lgkmcnt(0)
	s_barrier
	ds_read_b32 v16, v0 offset:10300
	v_mov_b32_e32 v15, 0
	s_and_saveexec_b64 s[20:21], s[8:9]
	s_cbranch_execz .LBB39_82
; %bb.81:                               ;   in Loop: Header=BB39_13 Depth=1
	ds_read_b32 v15, v26
.LBB39_82:                              ;   in Loop: Header=BB39_13 Depth=1
	s_or_b64 exec, exec, s[20:21]
	s_waitcnt lgkmcnt(0)
	v_cmp_eq_u32_e32 vcc, v14, v15
	s_and_b64 s[22:23], s[8:9], vcc
	s_barrier
	s_and_saveexec_b64 s[20:21], s[22:23]
	s_cbranch_execz .LBB39_84
; %bb.83:                               ;   in Loop: Header=BB39_13 Depth=1
	ds_write_b32 v25, v0
.LBB39_84:                              ;   in Loop: Header=BB39_13 Depth=1
	s_or_b64 exec, exec, s[20:21]
	v_add_u32_e32 v17, -1, v35
	s_add_i32 s62, s46, s82
	s_mov_b64 s[20:21], 0
	v_mov_b32_e32 v18, v34
	v_mov_b32_e32 v19, v9
	;; [unrolled: 1-line block ×3, first 2 shown]
	s_waitcnt lgkmcnt(0)
	s_barrier
	s_branch .LBB39_86
.LBB39_85:                              ;   in Loop: Header=BB39_86 Depth=2
	s_or_b64 exec, exec, s[22:23]
	v_add_u32_e32 v14, 4, v20
	v_cmp_lt_u32_e32 vcc, 11, v20
	v_add_u32_e32 v19, 0x800, v19
	v_add_u32_e32 v18, 16, v18
	s_or_b64 s[20:21], vcc, s[20:21]
	v_mov_b32_e32 v20, v14
	s_andn2_b64 exec, exec, s[20:21]
	s_cbranch_execz .LBB39_12
.LBB39_86:                              ;   Parent Loop BB39_13 Depth=1
                                        ; =>  This Inner Loop Header: Depth=2
	ds_read_b32 v14, v18
	s_waitcnt lgkmcnt(0)
	v_cmp_ne_u32_e32 vcc, 0, v14
	s_and_saveexec_b64 s[22:23], vcc
	s_cbranch_execz .LBB39_85
; %bb.87:                               ;   in Loop: Header=BB39_86 Depth=2
	v_add_u32_e32 v14, v17, v14
	v_ashrrev_i32_e32 v15, 31, v14
	v_lshlrev_b64 v[22:23], 2, v[14:15]
	v_mov_b32_e32 v15, s53
	v_add_co_u32_e32 v22, vcc, s52, v22
	v_add_u32_e32 v21, s62, v20
	v_addc_co_u32_e32 v23, vcc, v15, v23, vcc
	global_store_dword v[22:23], v21, off
	s_and_b64 exec, exec, s[4:5]
	s_cbranch_execz .LBB39_85
; %bb.88:                               ;   in Loop: Header=BB39_86 Depth=2
	v_mad_u64_u32 v[14:15], s[64:65], v14, s50, v[10:11]
	ds_read_b64 v[22:23], v19
	v_mad_u64_u32 v[14:15], s[64:65], v14, s50, v[12:13]
	v_ashrrev_i32_e32 v15, 31, v14
	v_lshlrev_b64 v[14:15], 3, v[14:15]
	v_mov_b32_e32 v21, s55
	v_add_co_u32_e32 v14, vcc, s54, v14
	v_addc_co_u32_e32 v15, vcc, v21, v15, vcc
	s_waitcnt lgkmcnt(0)
	global_store_dwordx2 v[14:15], v[22:23], off
	s_branch .LBB39_85
.LBB39_89:
	s_endpgm
	.section	.rodata,"a",@progbits
	.p2align	6, 0x0
	.amdhsa_kernel _ZN9rocsparseL38bsrgemm_block_per_row_atomic_multipassILj256ELj16ELj8EiidEEv20rocsparse_direction_T3_S2_PKS2_S4_NS_24const_host_device_scalarIT4_EEPKT2_S4_PKS6_SA_S4_SC_S7_SA_S4_SC_SA_PS2_PS6_PS8_21rocsparse_index_base_SG_SG_SG_bbb
		.amdhsa_group_segment_fixed_size 10312
		.amdhsa_private_segment_fixed_size 0
		.amdhsa_kernarg_size 172
		.amdhsa_user_sgpr_count 6
		.amdhsa_user_sgpr_private_segment_buffer 1
		.amdhsa_user_sgpr_dispatch_ptr 0
		.amdhsa_user_sgpr_queue_ptr 0
		.amdhsa_user_sgpr_kernarg_segment_ptr 1
		.amdhsa_user_sgpr_dispatch_id 0
		.amdhsa_user_sgpr_flat_scratch_init 0
		.amdhsa_user_sgpr_kernarg_preload_length 0
		.amdhsa_user_sgpr_kernarg_preload_offset 0
		.amdhsa_user_sgpr_private_segment_size 0
		.amdhsa_uses_dynamic_stack 0
		.amdhsa_system_sgpr_private_segment_wavefront_offset 0
		.amdhsa_system_sgpr_workgroup_id_x 1
		.amdhsa_system_sgpr_workgroup_id_y 0
		.amdhsa_system_sgpr_workgroup_id_z 0
		.amdhsa_system_sgpr_workgroup_info 0
		.amdhsa_system_vgpr_workitem_id 0
		.amdhsa_next_free_vgpr 46
		.amdhsa_next_free_sgpr 84
		.amdhsa_accum_offset 48
		.amdhsa_reserve_vcc 1
		.amdhsa_reserve_flat_scratch 0
		.amdhsa_float_round_mode_32 0
		.amdhsa_float_round_mode_16_64 0
		.amdhsa_float_denorm_mode_32 3
		.amdhsa_float_denorm_mode_16_64 3
		.amdhsa_dx10_clamp 1
		.amdhsa_ieee_mode 1
		.amdhsa_fp16_overflow 0
		.amdhsa_tg_split 0
		.amdhsa_exception_fp_ieee_invalid_op 0
		.amdhsa_exception_fp_denorm_src 0
		.amdhsa_exception_fp_ieee_div_zero 0
		.amdhsa_exception_fp_ieee_overflow 0
		.amdhsa_exception_fp_ieee_underflow 0
		.amdhsa_exception_fp_ieee_inexact 0
		.amdhsa_exception_int_div_zero 0
	.end_amdhsa_kernel
	.section	.text._ZN9rocsparseL38bsrgemm_block_per_row_atomic_multipassILj256ELj16ELj8EiidEEv20rocsparse_direction_T3_S2_PKS2_S4_NS_24const_host_device_scalarIT4_EEPKT2_S4_PKS6_SA_S4_SC_S7_SA_S4_SC_SA_PS2_PS6_PS8_21rocsparse_index_base_SG_SG_SG_bbb,"axG",@progbits,_ZN9rocsparseL38bsrgemm_block_per_row_atomic_multipassILj256ELj16ELj8EiidEEv20rocsparse_direction_T3_S2_PKS2_S4_NS_24const_host_device_scalarIT4_EEPKT2_S4_PKS6_SA_S4_SC_S7_SA_S4_SC_SA_PS2_PS6_PS8_21rocsparse_index_base_SG_SG_SG_bbb,comdat
.Lfunc_end39:
	.size	_ZN9rocsparseL38bsrgemm_block_per_row_atomic_multipassILj256ELj16ELj8EiidEEv20rocsparse_direction_T3_S2_PKS2_S4_NS_24const_host_device_scalarIT4_EEPKT2_S4_PKS6_SA_S4_SC_S7_SA_S4_SC_SA_PS2_PS6_PS8_21rocsparse_index_base_SG_SG_SG_bbb, .Lfunc_end39-_ZN9rocsparseL38bsrgemm_block_per_row_atomic_multipassILj256ELj16ELj8EiidEEv20rocsparse_direction_T3_S2_PKS2_S4_NS_24const_host_device_scalarIT4_EEPKT2_S4_PKS6_SA_S4_SC_S7_SA_S4_SC_SA_PS2_PS6_PS8_21rocsparse_index_base_SG_SG_SG_bbb
                                        ; -- End function
	.section	.AMDGPU.csdata,"",@progbits
; Kernel info:
; codeLenInByte = 2776
; NumSgprs: 88
; NumVgprs: 46
; NumAgprs: 0
; TotalNumVgprs: 46
; ScratchSize: 0
; MemoryBound: 0
; FloatMode: 240
; IeeeMode: 1
; LDSByteSize: 10312 bytes/workgroup (compile time only)
; SGPRBlocks: 10
; VGPRBlocks: 5
; NumSGPRsForWavesPerEU: 88
; NumVGPRsForWavesPerEU: 46
; AccumOffset: 48
; Occupancy: 6
; WaveLimiterHint : 1
; COMPUTE_PGM_RSRC2:SCRATCH_EN: 0
; COMPUTE_PGM_RSRC2:USER_SGPR: 6
; COMPUTE_PGM_RSRC2:TRAP_HANDLER: 0
; COMPUTE_PGM_RSRC2:TGID_X_EN: 1
; COMPUTE_PGM_RSRC2:TGID_Y_EN: 0
; COMPUTE_PGM_RSRC2:TGID_Z_EN: 0
; COMPUTE_PGM_RSRC2:TIDIG_COMP_CNT: 0
; COMPUTE_PGM_RSRC3_GFX90A:ACCUM_OFFSET: 11
; COMPUTE_PGM_RSRC3_GFX90A:TG_SPLIT: 0
	.section	.text._ZN9rocsparseL38bsrgemm_block_per_row_atomic_multipassILj256ELj32ELj8EiidEEv20rocsparse_direction_T3_S2_PKS2_S4_NS_24const_host_device_scalarIT4_EEPKT2_S4_PKS6_SA_S4_SC_S7_SA_S4_SC_SA_PS2_PS6_PS8_21rocsparse_index_base_SG_SG_SG_bbb,"axG",@progbits,_ZN9rocsparseL38bsrgemm_block_per_row_atomic_multipassILj256ELj32ELj8EiidEEv20rocsparse_direction_T3_S2_PKS2_S4_NS_24const_host_device_scalarIT4_EEPKT2_S4_PKS6_SA_S4_SC_S7_SA_S4_SC_SA_PS2_PS6_PS8_21rocsparse_index_base_SG_SG_SG_bbb,comdat
	.globl	_ZN9rocsparseL38bsrgemm_block_per_row_atomic_multipassILj256ELj32ELj8EiidEEv20rocsparse_direction_T3_S2_PKS2_S4_NS_24const_host_device_scalarIT4_EEPKT2_S4_PKS6_SA_S4_SC_S7_SA_S4_SC_SA_PS2_PS6_PS8_21rocsparse_index_base_SG_SG_SG_bbb ; -- Begin function _ZN9rocsparseL38bsrgemm_block_per_row_atomic_multipassILj256ELj32ELj8EiidEEv20rocsparse_direction_T3_S2_PKS2_S4_NS_24const_host_device_scalarIT4_EEPKT2_S4_PKS6_SA_S4_SC_S7_SA_S4_SC_SA_PS2_PS6_PS8_21rocsparse_index_base_SG_SG_SG_bbb
	.p2align	8
	.type	_ZN9rocsparseL38bsrgemm_block_per_row_atomic_multipassILj256ELj32ELj8EiidEEv20rocsparse_direction_T3_S2_PKS2_S4_NS_24const_host_device_scalarIT4_EEPKT2_S4_PKS6_SA_S4_SC_S7_SA_S4_SC_SA_PS2_PS6_PS8_21rocsparse_index_base_SG_SG_SG_bbb,@function
_ZN9rocsparseL38bsrgemm_block_per_row_atomic_multipassILj256ELj32ELj8EiidEEv20rocsparse_direction_T3_S2_PKS2_S4_NS_24const_host_device_scalarIT4_EEPKT2_S4_PKS6_SA_S4_SC_S7_SA_S4_SC_SA_PS2_PS6_PS8_21rocsparse_index_base_SG_SG_SG_bbb: ; @_ZN9rocsparseL38bsrgemm_block_per_row_atomic_multipassILj256ELj32ELj8EiidEEv20rocsparse_direction_T3_S2_PKS2_S4_NS_24const_host_device_scalarIT4_EEPKT2_S4_PKS6_SA_S4_SC_S7_SA_S4_SC_SA_PS2_PS6_PS8_21rocsparse_index_base_SG_SG_SG_bbb
; %bb.0:
	s_load_dword s7, s[4:5], 0xa8
	s_load_dwordx4 s[52:55], s[4:5], 0x98
	s_load_dwordx2 s[8:9], s[4:5], 0x20
	s_waitcnt lgkmcnt(0)
	s_and_b32 s0, 1, s7
	s_bitcmp1_b32 s7, 16
	s_cselect_b64 s[2:3], -1, 0
	s_cmp_eq_u32 s0, 1
	s_load_dwordx2 s[0:1], s[4:5], 0x58
	s_cselect_b64 s[26:27], -1, 0
	s_and_b64 s[10:11], s[26:27], exec
	s_cselect_b32 s11, s9, 0
	s_cselect_b32 s10, s8, 0
	s_xor_b64 s[12:13], s[26:27], -1
	s_or_b64 s[12:13], s[12:13], s[2:3]
	s_and_b64 vcc, exec, s[12:13]
	v_pk_mov_b32 v[2:3], s[10:11], s[10:11] op_sel:[0,1]
	s_cbranch_vccnz .LBB40_2
; %bb.1:
	v_pk_mov_b32 v[2:3], s[8:9], s[8:9] op_sel:[0,1]
	flat_load_dwordx2 v[2:3], v[2:3]
.LBB40_2:
	s_bitcmp1_b32 s7, 8
	s_load_dwordx2 s[8:9], s[4:5], 0x18
	s_cselect_b64 s[34:35], -1, 0
	s_and_b64 s[10:11], s[34:35], exec
	s_waitcnt lgkmcnt(0)
	s_cselect_b32 s11, s1, 0
	s_cselect_b32 s10, s0, 0
	s_xor_b64 s[12:13], s[34:35], -1
	s_or_b64 s[2:3], s[12:13], s[2:3]
	s_and_b64 vcc, exec, s[2:3]
	v_pk_mov_b32 v[4:5], s[10:11], s[10:11] op_sel:[0,1]
	s_cbranch_vccnz .LBB40_4
; %bb.3:
	v_pk_mov_b32 v[4:5], s[0:1], s[0:1] op_sel:[0,1]
	flat_load_dwordx2 v[4:5], v[4:5]
.LBB40_4:
	s_load_dwordx2 s[2:3], s[4:5], 0x28
	s_cmp_eq_u64 s[8:9], 0
	s_cbranch_scc1 .LBB40_6
; %bb.5:
	s_load_dwordx2 s[0:1], s[4:5], 0x10
	s_waitcnt lgkmcnt(0)
	s_load_dword s0, s[0:1], 0x0
	s_mov_b32 s1, 0
	s_waitcnt lgkmcnt(0)
	s_add_i32 s0, s0, s6
	s_lshl_b64 s[0:1], s[0:1], 2
	s_add_u32 s0, s8, s0
	s_addc_u32 s1, s9, s1
	s_load_dword s6, s[0:1], 0x0
.LBB40_6:
	v_cndmask_b32_e64 v1, 0, 1, s[26:27]
	s_mov_b32 s33, 0
	v_cmp_ne_u32_e64 s[0:1], 1, v1
	s_andn2_b64 vcc, exec, s[26:27]
	s_mov_b32 s86, 0
	s_cbranch_vccz .LBB40_9
; %bb.7:
	s_and_b64 vcc, exec, s[0:1]
	s_cbranch_vccz .LBB40_10
.LBB40_8:
	s_load_dwordx4 s[56:59], s[4:5], 0x0
	s_waitcnt lgkmcnt(0)
	s_cmp_lt_i32 s57, 1
	s_cbranch_scc0 .LBB40_11
	s_branch .LBB40_95
.LBB40_9:
	s_waitcnt lgkmcnt(0)
	s_ashr_i32 s7, s6, 31
	s_lshl_b64 s[8:9], s[6:7], 2
	s_add_u32 s8, s2, s8
	s_addc_u32 s9, s3, s9
	s_load_dword s7, s[8:9], 0x0
	s_waitcnt lgkmcnt(0)
	s_sub_i32 s86, s7, s52
	s_and_b64 vcc, exec, s[0:1]
	s_cbranch_vccnz .LBB40_8
.LBB40_10:
	s_waitcnt lgkmcnt(0)
	s_ashr_i32 s7, s6, 31
	s_lshl_b64 s[0:1], s[6:7], 2
	s_add_u32 s0, s2, s0
	s_addc_u32 s1, s3, s1
	s_load_dword s0, s[0:1], 0x4
	s_waitcnt lgkmcnt(0)
	s_sub_i32 s33, s0, s52
	s_load_dwordx4 s[56:59], s[4:5], 0x0
	s_waitcnt lgkmcnt(0)
	s_cmp_lt_i32 s57, 1
	s_cbranch_scc1 .LBB40_95
.LBB40_11:
	s_load_dwordx2 s[64:65], s[4:5], 0x90
	s_load_dwordx4 s[60:63], s[4:5], 0x80
	s_load_dwordx8 s[36:43], s[4:5], 0x60
	s_load_dwordx2 s[66:67], s[4:5], 0x50
	s_load_dwordx8 s[44:51], s[4:5], 0x30
	s_ashr_i32 s7, s6, 31
	s_lshl_b64 s[6:7], s[6:7], 2
	s_waitcnt lgkmcnt(0)
	s_add_u32 s0, s42, s6
	s_addc_u32 s1, s43, s7
	s_load_dword s0, s[0:1], 0x0
	v_and_b32_e32 v1, 63, v0
	v_and_b32_e32 v6, 7, v0
	v_bfe_u32 v8, v0, 3, 3
	v_lshrrev_b32_e32 v7, 6, v0
	s_waitcnt lgkmcnt(0)
	s_sub_i32 s69, s0, s54
	s_cmp_lt_i32 s86, s33
	s_cselect_b64 s[28:29], -1, 0
	s_cmp_eq_u32 s56, 0
	s_cselect_b64 vcc, -1, 0
	s_cmp_lg_u32 s56, 0
	s_cselect_b64 s[42:43], -1, 0
	s_cmp_gt_i32 s58, 0
	s_cselect_b64 s[30:31], -1, 0
	s_add_u32 s36, s36, s6
	v_max_i32_e32 v9, v6, v8
	s_addc_u32 s37, s37, s7
	v_cmp_eq_u32_e64 s[6:7], 63, v1
	v_and_b32_e32 v1, 31, v0
	v_mov_b32_e32 v14, 0x4800
	s_movk_i32 s22, 0x200
	s_movk_i32 s24, 0x100
	v_cmp_gt_u32_e64 s[0:1], 32, v0
	s_mov_b32 s68, 0
	v_cmp_eq_u32_e64 s[2:3], 0, v0
	v_cmp_gt_i32_e64 s[4:5], s58, v9
	v_lshlrev_b32_e32 v9, 3, v0
	s_movk_i32 s70, 0x4000
	v_and_b32_e32 v13, 56, v0
	v_lshlrev_b32_e32 v10, 2, v1
	v_add_co_u32_e64 v12, s[8:9], -1, v1
	v_lshl_or_b32 v29, v0, 2, v14
	v_cmp_ne_u32_e64 s[10:11], 0, v1
	v_cmp_lt_u32_e64 s[12:13], 1, v1
	v_cmp_lt_u32_e64 s[14:15], 3, v1
	;; [unrolled: 1-line block ×4, first 2 shown]
	v_or_b32_e32 v1, 0x400, v0
	s_movk_i32 s20, 0x700
	v_cmp_gt_u32_e64 s[22:23], s22, v0
	v_cmp_gt_u32_e64 s[24:25], s24, v0
	s_and_b64 s[26:27], s[26:27], s[28:29]
	v_lshlrev_b32_e32 v0, 9, v7
	v_cmp_gt_u32_e64 s[20:21], s20, v1
	s_add_u32 s56, s48, 4
	v_or3_b32 v34, v0, v13, s70
	s_mul_i32 s87, s58, s58
	v_and_b32_e32 v0, 0x7c0, v9
	v_mov_b32_e32 v37, s69
	s_mov_b32 s69, s68
	v_cndmask_b32_e64 v1, 0, 1, s[26:27]
	v_or_b32_e32 v11, 0x4000, v9
	v_subrev_u32_e32 v26, s55, v7
	v_or_b32_e32 v27, 0x4800, v10
	v_lshl_add_u32 v28, v12, 2, v14
	v_add_u32_e32 v30, 0x47f8, v10
	v_add_u32_e32 v31, 0x47f0, v10
	v_add_u32_e32 v32, 0x47e0, v10
	v_add_u32_e32 v33, 0x47c0, v10
	v_cndmask_b32_e32 v10, v6, v8, vcc
	v_cndmask_b32_e32 v12, v8, v6, vcc
	s_addc_u32 s59, s49, 0
	v_or_b32_e32 v35, 0x4000, v0
	s_lshl_b32 s88, s87, 2
	v_lshl_or_b32 v36, v7, 2, v14
	v_mov_b32_e32 v41, 32
	v_mov_b32_e32 v0, 0
	v_pk_mov_b32 v[14:15], s[68:69], s[68:69] op_sel:[0,1]
	v_cmp_ne_u32_e64 s[26:27], 1, v1
	v_mov_b32_e32 v38, 1
	v_cndmask_b32_e64 v39, 0, 1, s[30:31]
	v_mov_b32_e32 v40, s67
	s_branch .LBB40_13
.LBB40_12:                              ;   in Loop: Header=BB40_13 Depth=1
	s_or_b64 exec, exec, s[28:29]
	s_barrier
	ds_read_b32 v1, v0 offset:18560
	v_add_u32_e32 v37, v18, v37
	s_waitcnt lgkmcnt(0)
	s_barrier
	v_cmp_le_i32_e32 vcc, s57, v1
	v_readfirstlane_b32 s68, v1
	v_add_u32_e32 v41, 32, v1
	s_cbranch_vccnz .LBB40_95
.LBB40_13:                              ; =>This Loop Header: Depth=1
                                        ;     Child Loop BB40_26 Depth 2
                                        ;       Child Loop BB40_39 Depth 3
                                        ;         Child Loop BB40_48 Depth 4
                                        ;         Child Loop BB40_53 Depth 4
                                        ;     Child Loop BB40_64 Depth 2
                                        ;     Child Loop BB40_73 Depth 2
	;; [unrolled: 1-line block ×3, first 2 shown]
	s_and_saveexec_b64 s[28:29], s[0:1]
	s_cbranch_execz .LBB40_15
; %bb.14:                               ;   in Loop: Header=BB40_13 Depth=1
	ds_write_b32 v29, v0
.LBB40_15:                              ;   in Loop: Header=BB40_13 Depth=1
	s_or_b64 exec, exec, s[28:29]
	ds_write2st64_b64 v9, v[14:15], v[14:15] offset1:4
	ds_write2st64_b64 v9, v[14:15], v[14:15] offset0:8 offset1:12
	ds_write_b64 v9, v[14:15] offset:8192
	s_and_saveexec_b64 s[28:29], s[20:21]
	s_xor_b64 s[28:29], exec, s[28:29]
	s_cbranch_execz .LBB40_21
; %bb.16:                               ;   in Loop: Header=BB40_13 Depth=1
	v_mov_b32_e32 v1, v0
	ds_write_b64 v9, v[0:1] offset:10240
	s_and_saveexec_b64 s[30:31], s[22:23]
	s_xor_b64 s[30:31], exec, s[30:31]
	s_cbranch_execz .LBB40_20
; %bb.17:                               ;   in Loop: Header=BB40_13 Depth=1
	ds_write_b64 v9, v[0:1] offset:12288
	s_and_saveexec_b64 s[70:71], s[24:25]
	s_xor_b64 s[70:71], exec, s[70:71]
	s_cbranch_execz .LBB40_19
; %bb.18:                               ;   in Loop: Header=BB40_13 Depth=1
	v_mov_b32_e32 v1, v0
	ds_write_b64 v9, v[0:1] offset:14336
.LBB40_19:                              ;   in Loop: Header=BB40_13 Depth=1
	s_or_b64 exec, exec, s[70:71]
.LBB40_20:                              ;   in Loop: Header=BB40_13 Depth=1
	s_or_b64 exec, exec, s[30:31]
.LBB40_21:                              ;   in Loop: Header=BB40_13 Depth=1
	s_or_b64 exec, exec, s[28:29]
	s_and_saveexec_b64 s[28:29], s[2:3]
	s_cbranch_execz .LBB40_23
; %bb.22:                               ;   in Loop: Header=BB40_13 Depth=1
	v_mov_b32_e32 v1, s57
	ds_write_b32 v0, v1 offset:18560
.LBB40_23:                              ;   in Loop: Header=BB40_13 Depth=1
	s_or_b64 exec, exec, s[28:29]
	s_and_b64 vcc, exec, s[26:27]
	v_mov_b32_e32 v1, s57
	s_waitcnt lgkmcnt(0)
	s_barrier
	s_cbranch_vccnz .LBB40_59
; %bb.24:                               ;   in Loop: Header=BB40_13 Depth=1
	s_cmp_lg_u32 s68, 0
	s_cselect_b64 s[70:71], -1, 0
	v_mov_b32_e32 v1, s57
	s_mov_b32 s67, s86
	s_branch .LBB40_26
.LBB40_25:                              ;   in Loop: Header=BB40_26 Depth=2
	s_or_b64 exec, exec, s[30:31]
	s_add_i32 s67, s67, 4
	s_cmp_lt_i32 s67, s33
	s_cbranch_scc0 .LBB40_59
.LBB40_26:                              ;   Parent Loop BB40_13 Depth=1
                                        ; =>  This Loop Header: Depth=2
                                        ;       Child Loop BB40_39 Depth 3
                                        ;         Child Loop BB40_48 Depth 4
                                        ;         Child Loop BB40_53 Depth 4
	v_add_u32_e32 v16, s67, v7
	v_cmp_gt_i32_e64 s[28:29], s33, v16
	s_barrier
	s_and_saveexec_b64 s[30:31], s[28:29]
	s_cbranch_execz .LBB40_30
; %bb.27:                               ;   in Loop: Header=BB40_26 Depth=2
	v_pk_mov_b32 v[18:19], 0, 0
	s_and_saveexec_b64 s[72:73], s[4:5]
	s_cbranch_execz .LBB40_29
; %bb.28:                               ;   in Loop: Header=BB40_26 Depth=2
	v_mad_u64_u32 v[18:19], s[74:75], v16, s58, v[8:9]
	v_mad_u64_u32 v[18:19], s[74:75], v18, s58, v[6:7]
	v_ashrrev_i32_e32 v19, 31, v18
	v_lshlrev_b64 v[18:19], 3, v[18:19]
	v_mov_b32_e32 v17, s47
	v_add_co_u32_e32 v18, vcc, s46, v18
	v_addc_co_u32_e32 v19, vcc, v17, v19, vcc
	global_load_dwordx2 v[18:19], v[18:19], off
.LBB40_29:                              ;   in Loop: Header=BB40_26 Depth=2
	s_or_b64 exec, exec, s[72:73]
	s_waitcnt vmcnt(0)
	ds_write_b64 v11, v[18:19]
.LBB40_30:                              ;   in Loop: Header=BB40_26 Depth=2
	s_or_b64 exec, exec, s[30:31]
	v_mov_b32_e32 v18, 0
	s_waitcnt lgkmcnt(0)
	s_barrier
	s_and_saveexec_b64 s[72:73], s[28:29]
	s_cbranch_execz .LBB40_56
; %bb.31:                               ;   in Loop: Header=BB40_26 Depth=2
	v_ashrrev_i32_e32 v17, 31, v16
	v_lshlrev_b64 v[18:19], 2, v[16:17]
	v_mov_b32_e32 v17, s45
	v_add_co_u32_e32 v20, vcc, s44, v18
	v_addc_co_u32_e32 v21, vcc, v17, v19, vcc
	global_load_dword v17, v[20:21], off
	s_and_b64 vcc, exec, s[70:71]
	s_waitcnt vmcnt(0)
	v_subrev_u32_e32 v20, s52, v17
	v_ashrrev_i32_e32 v21, 31, v20
	s_cbranch_vccz .LBB40_58
; %bb.32:                               ;   in Loop: Header=BB40_26 Depth=2
	v_mov_b32_e32 v17, s65
	v_add_co_u32_e32 v18, vcc, s64, v18
	v_addc_co_u32_e32 v19, vcc, v17, v19, vcc
	global_load_dword v18, v[18:19], off
	s_cbranch_execnz .LBB40_34
.LBB40_33:                              ;   in Loop: Header=BB40_26 Depth=2
	s_waitcnt vmcnt(0)
	v_lshlrev_b64 v[18:19], 2, v[20:21]
	v_mov_b32_e32 v17, s49
	v_add_co_u32_e32 v18, vcc, s48, v18
	v_addc_co_u32_e32 v19, vcc, v17, v19, vcc
	global_load_dword v17, v[18:19], off
	s_waitcnt vmcnt(0)
	v_subrev_u32_e32 v18, s53, v17
.LBB40_34:                              ;   in Loop: Header=BB40_26 Depth=2
	v_lshlrev_b64 v[20:21], 2, v[20:21]
	v_mov_b32_e32 v17, s59
	v_add_co_u32_e32 v20, vcc, s56, v20
	v_addc_co_u32_e32 v21, vcc, v17, v21, vcc
	global_load_dword v17, v[20:21], off
	s_waitcnt vmcnt(0)
	v_subrev_u32_e32 v17, s53, v17
	v_cmp_lt_i32_e32 vcc, v18, v17
	s_and_saveexec_b64 s[74:75], vcc
	s_cbranch_execz .LBB40_55
; %bb.35:                               ;   in Loop: Header=BB40_26 Depth=2
	v_mad_u64_u32 v[20:21], s[30:31], s58, v18, v[6:7]
	v_mul_lo_u32 v42, s58, v20
	v_mad_u64_u32 v[20:21], s[30:31], s87, v18, v[6:7]
	s_mov_b64 s[76:77], 0
	v_mov_b32_e32 v21, v18
	s_branch .LBB40_39
.LBB40_36:                              ;   in Loop: Header=BB40_39 Depth=3
	v_lshlrev_b32_e32 v19, 6, v19
	v_or3_b32 v19, v19, v13, v6
	v_lshlrev_b32_e32 v19, 3, v19
	v_mul_f64 v[22:23], v[2:3], v[22:23]
	ds_add_f64 v19, v[22:23]
.LBB40_37:                              ;   in Loop: Header=BB40_39 Depth=3
	s_or_b64 exec, exec, s[82:83]
	s_or_b64 s[78:79], s[78:79], exec
.LBB40_38:                              ;   in Loop: Header=BB40_39 Depth=3
	s_or_b64 exec, exec, s[80:81]
	v_add_u32_e32 v18, 1, v18
	v_cmp_ge_i32_e32 vcc, v18, v17
	s_xor_b64 s[30:31], s[78:79], -1
	s_or_b64 s[30:31], s[30:31], vcc
	s_and_b64 s[30:31], exec, s[30:31]
	v_add_u32_e32 v42, s87, v42
	s_or_b64 s[76:77], s[30:31], s[76:77]
	v_add_u32_e32 v20, s87, v20
	s_andn2_b64 exec, exec, s[76:77]
	s_cbranch_execz .LBB40_54
.LBB40_39:                              ;   Parent Loop BB40_13 Depth=1
                                        ;     Parent Loop BB40_26 Depth=2
                                        ; =>    This Loop Header: Depth=3
                                        ;         Child Loop BB40_48 Depth 4
                                        ;         Child Loop BB40_53 Depth 4
	v_ashrrev_i32_e32 v19, 31, v18
	v_lshlrev_b64 v[22:23], 2, v[18:19]
	v_mov_b32_e32 v19, s51
	v_add_co_u32_e32 v22, vcc, s50, v22
	v_addc_co_u32_e32 v23, vcc, v19, v23, vcc
	global_load_dword v19, v[22:23], off
                                        ; implicit-def: $sgpr78_sgpr79
	s_waitcnt vmcnt(0)
	v_subrev_u32_e32 v19, s53, v19
	v_cmp_gt_i32_e64 s[30:31], s68, v19
	v_cmp_ge_i32_e32 vcc, v19, v41
	s_or_b64 s[30:31], s[30:31], vcc
	s_and_saveexec_b64 s[80:81], s[30:31]
	s_xor_b64 s[30:31], exec, s[80:81]
	s_cbranch_execz .LBB40_43
; %bb.40:                               ;   in Loop: Header=BB40_39 Depth=3
	s_mov_b64 s[78:79], -1
	s_and_saveexec_b64 s[80:81], vcc
; %bb.41:                               ;   in Loop: Header=BB40_39 Depth=3
	v_min_i32_e32 v1, v19, v1
	s_xor_b64 s[78:79], exec, -1
	v_mov_b32_e32 v21, v18
; %bb.42:                               ;   in Loop: Header=BB40_39 Depth=3
	s_or_b64 exec, exec, s[80:81]
	s_and_b64 s[78:79], s[78:79], exec
                                        ; implicit-def: $vgpr19
.LBB40_43:                              ;   in Loop: Header=BB40_39 Depth=3
	s_andn2_saveexec_b64 s[80:81], s[30:31]
	s_cbranch_execz .LBB40_38
; %bb.44:                               ;   in Loop: Header=BB40_39 Depth=3
	v_subrev_u32_e32 v19, s68, v19
	v_lshlrev_b32_e32 v22, 2, v19
	ds_write_b32 v22, v38 offset:18432
	s_and_saveexec_b64 s[82:83], s[4:5]
	s_cbranch_execz .LBB40_37
; %bb.45:                               ;   in Loop: Header=BB40_39 Depth=3
	s_andn2_b64 vcc, exec, s[42:43]
	v_cmp_ne_u32_e64 s[30:31], 1, v39
	s_cbranch_vccnz .LBB40_50
; %bb.46:                               ;   in Loop: Header=BB40_39 Depth=3
	v_pk_mov_b32 v[22:23], 0, 0
	s_and_b64 vcc, exec, s[30:31]
	s_cbranch_vccnz .LBB40_49
; %bb.47:                               ;   in Loop: Header=BB40_39 Depth=3
	v_mov_b32_e32 v24, v42
	s_mov_b32 s69, s58
	v_mov_b32_e32 v43, v34
.LBB40_48:                              ;   Parent Loop BB40_13 Depth=1
                                        ;     Parent Loop BB40_26 Depth=2
                                        ;       Parent Loop BB40_39 Depth=3
                                        ; =>      This Inner Loop Header: Depth=4
	v_ashrrev_i32_e32 v25, 31, v24
	v_lshlrev_b64 v[44:45], 3, v[24:25]
	v_add_co_u32_e32 v44, vcc, s66, v44
	v_addc_co_u32_e32 v45, vcc, v40, v45, vcc
	global_load_dwordx2 v[44:45], v[44:45], off
	ds_read_b64 v[46:47], v43
	s_add_i32 s69, s69, -1
	v_add_u32_e32 v43, 64, v43
	v_add_u32_e32 v24, 1, v24
	s_cmp_lg_u32 s69, 0
	s_waitcnt vmcnt(0) lgkmcnt(0)
	v_fmac_f64_e32 v[22:23], v[46:47], v[44:45]
	s_cbranch_scc1 .LBB40_48
.LBB40_49:                              ;   in Loop: Header=BB40_39 Depth=3
	s_cbranch_execnz .LBB40_36
	s_branch .LBB40_51
.LBB40_50:                              ;   in Loop: Header=BB40_39 Depth=3
                                        ; implicit-def: $vgpr22_vgpr23
.LBB40_51:                              ;   in Loop: Header=BB40_39 Depth=3
	v_pk_mov_b32 v[22:23], 0, 0
	s_and_b64 vcc, exec, s[30:31]
	s_cbranch_vccnz .LBB40_36
; %bb.52:                               ;   in Loop: Header=BB40_39 Depth=3
	v_mov_b32_e32 v43, v35
	v_mov_b32_e32 v24, v20
	s_mov_b32 s30, s58
.LBB40_53:                              ;   Parent Loop BB40_13 Depth=1
                                        ;     Parent Loop BB40_26 Depth=2
                                        ;       Parent Loop BB40_39 Depth=3
                                        ; =>      This Inner Loop Header: Depth=4
	v_ashrrev_i32_e32 v25, 31, v24
	v_lshlrev_b64 v[44:45], 3, v[24:25]
	v_add_co_u32_e32 v44, vcc, s66, v44
	v_addc_co_u32_e32 v45, vcc, v40, v45, vcc
	global_load_dwordx2 v[44:45], v[44:45], off
	ds_read_b64 v[46:47], v43
	s_add_i32 s30, s30, -1
	v_add_u32_e32 v43, 8, v43
	v_add_u32_e32 v24, s58, v24
	s_cmp_eq_u32 s30, 0
	s_waitcnt vmcnt(0) lgkmcnt(0)
	v_fmac_f64_e32 v[22:23], v[46:47], v[44:45]
	s_cbranch_scc0 .LBB40_53
	s_branch .LBB40_36
.LBB40_54:                              ;   in Loop: Header=BB40_26 Depth=2
	s_or_b64 exec, exec, s[76:77]
	v_mov_b32_e32 v18, v21
.LBB40_55:                              ;   in Loop: Header=BB40_26 Depth=2
	s_or_b64 exec, exec, s[74:75]
.LBB40_56:                              ;   in Loop: Header=BB40_26 Depth=2
	s_or_b64 exec, exec, s[72:73]
	s_waitcnt lgkmcnt(0)
	s_barrier
	s_and_saveexec_b64 s[30:31], s[28:29]
	s_cbranch_execz .LBB40_25
; %bb.57:                               ;   in Loop: Header=BB40_26 Depth=2
	v_ashrrev_i32_e32 v17, 31, v16
	v_lshlrev_b64 v[16:17], 2, v[16:17]
	v_mov_b32_e32 v19, s65
	v_add_co_u32_e32 v16, vcc, s64, v16
	v_addc_co_u32_e32 v17, vcc, v19, v17, vcc
	global_store_dword v[16:17], v18, off
	s_branch .LBB40_25
.LBB40_58:                              ;   in Loop: Header=BB40_26 Depth=2
                                        ; implicit-def: $vgpr18
	s_branch .LBB40_33
.LBB40_59:                              ;   in Loop: Header=BB40_13 Depth=1
	s_andn2_b64 vcc, exec, s[34:35]
	s_cbranch_vccnz .LBB40_71
; %bb.60:                               ;   in Loop: Header=BB40_13 Depth=1
	s_load_dwordx2 s[28:29], s[36:37], 0x0
	s_waitcnt lgkmcnt(0)
	s_sub_i32 s67, s29, s55
	v_add_u32_e32 v16, s28, v26
	v_cmp_gt_i32_e32 vcc, s67, v16
	s_and_saveexec_b64 s[70:71], vcc
	s_cbranch_execz .LBB40_70
; %bb.61:                               ;   in Loop: Header=BB40_13 Depth=1
	v_mad_u64_u32 v[18:19], s[28:29], s58, v16, v[10:11]
	v_mad_u64_u32 v[18:19], s[28:29], s58, v18, v[12:13]
	s_mov_b64 s[72:73], 0
	s_branch .LBB40_64
.LBB40_62:                              ;   in Loop: Header=BB40_64 Depth=2
	s_or_b64 exec, exec, s[74:75]
	s_or_b64 s[28:29], s[28:29], exec
.LBB40_63:                              ;   in Loop: Header=BB40_64 Depth=2
	s_or_b64 exec, exec, s[30:31]
	v_add_u32_e32 v16, 4, v16
	v_cmp_le_i32_e32 vcc, s67, v16
	s_xor_b64 s[28:29], s[28:29], -1
	s_or_b64 s[28:29], vcc, s[28:29]
	s_and_b64 s[28:29], exec, s[28:29]
	s_or_b64 s[72:73], s[28:29], s[72:73]
	v_add_u32_e32 v18, s88, v18
	s_andn2_b64 exec, exec, s[72:73]
	s_cbranch_execz .LBB40_69
.LBB40_64:                              ;   Parent Loop BB40_13 Depth=1
                                        ; =>  This Inner Loop Header: Depth=2
	v_ashrrev_i32_e32 v17, 31, v16
	v_lshlrev_b64 v[20:21], 2, v[16:17]
	v_mov_b32_e32 v17, s39
	v_add_co_u32_e32 v20, vcc, s38, v20
	v_addc_co_u32_e32 v21, vcc, v17, v21, vcc
	global_load_dword v17, v[20:21], off
	s_waitcnt vmcnt(0)
	v_subrev_u32_e32 v17, s55, v17
	v_cmp_gt_i32_e64 s[28:29], s68, v17
	v_cmp_ge_i32_e64 s[30:31], v17, v41
	v_cmp_lt_i32_e32 vcc, v17, v41
	s_or_b64 s[30:31], s[28:29], s[30:31]
                                        ; implicit-def: $sgpr28_sgpr29
	s_and_saveexec_b64 s[74:75], s[30:31]
	s_xor_b64 s[30:31], exec, s[74:75]
; %bb.65:                               ;   in Loop: Header=BB40_64 Depth=2
	v_min_i32_e32 v17, v17, v1
	v_cndmask_b32_e32 v1, v17, v1, vcc
	s_and_b64 s[28:29], vcc, exec
                                        ; implicit-def: $vgpr17
; %bb.66:                               ;   in Loop: Header=BB40_64 Depth=2
	s_andn2_saveexec_b64 s[30:31], s[30:31]
	s_cbranch_execz .LBB40_63
; %bb.67:                               ;   in Loop: Header=BB40_64 Depth=2
	v_subrev_u32_e32 v17, s68, v17
	v_lshlrev_b32_e32 v19, 2, v17
	ds_write_b32 v19, v38 offset:18432
	s_and_saveexec_b64 s[74:75], s[4:5]
	s_cbranch_execz .LBB40_62
; %bb.68:                               ;   in Loop: Header=BB40_64 Depth=2
	v_ashrrev_i32_e32 v19, 31, v18
	v_lshlrev_b64 v[20:21], 3, v[18:19]
	v_mov_b32_e32 v19, s41
	v_add_co_u32_e32 v20, vcc, s40, v20
	v_addc_co_u32_e32 v21, vcc, v19, v21, vcc
	global_load_dwordx2 v[20:21], v[20:21], off
	v_lshlrev_b32_e32 v17, 6, v17
	v_or3_b32 v17, v17, v13, v6
	v_lshlrev_b32_e32 v17, 3, v17
	s_waitcnt vmcnt(0)
	v_mul_f64 v[20:21], v[4:5], v[20:21]
	ds_add_f64 v17, v[20:21]
	s_branch .LBB40_62
.LBB40_69:                              ;   in Loop: Header=BB40_13 Depth=1
	s_or_b64 exec, exec, s[72:73]
.LBB40_70:                              ;   in Loop: Header=BB40_13 Depth=1
	s_or_b64 exec, exec, s[70:71]
.LBB40_71:                              ;   in Loop: Header=BB40_13 Depth=1
	s_and_saveexec_b64 s[28:29], s[6:7]
	s_cbranch_execz .LBB40_76
; %bb.72:                               ;   in Loop: Header=BB40_13 Depth=1
	s_mov_b64 s[30:31], exec
	s_brev_b32 s67, -2
.LBB40_73:                              ;   Parent Loop BB40_13 Depth=1
                                        ; =>  This Inner Loop Header: Depth=2
	s_ff1_i32_b64 s69, s[30:31]
	v_readlane_b32 s72, v1, s69
	s_lshl_b64 s[70:71], 1, s69
	s_min_i32 s67, s67, s72
	s_andn2_b64 s[30:31], s[30:31], s[70:71]
	s_cmp_lg_u64 s[30:31], 0
	s_cbranch_scc1 .LBB40_73
; %bb.74:                               ;   in Loop: Header=BB40_13 Depth=1
	v_mbcnt_lo_u32_b32 v1, exec_lo, 0
	v_mbcnt_hi_u32_b32 v1, exec_hi, v1
	v_cmp_eq_u32_e32 vcc, 0, v1
	s_and_saveexec_b64 s[30:31], vcc
	s_xor_b64 s[30:31], exec, s[30:31]
	s_cbranch_execz .LBB40_76
; %bb.75:                               ;   in Loop: Header=BB40_13 Depth=1
	v_mov_b32_e32 v1, s67
	ds_min_i32 v0, v1 offset:18560
.LBB40_76:                              ;   in Loop: Header=BB40_13 Depth=1
	s_or_b64 exec, exec, s[28:29]
	s_waitcnt lgkmcnt(0)
	s_barrier
	ds_read_b32 v1, v27
	s_waitcnt lgkmcnt(0)
	s_barrier
	s_and_saveexec_b64 s[28:29], s[10:11]
	s_cbranch_execz .LBB40_78
; %bb.77:                               ;   in Loop: Header=BB40_13 Depth=1
	ds_read_b32 v16, v28
	s_waitcnt lgkmcnt(0)
	v_add_u32_e32 v1, v16, v1
.LBB40_78:                              ;   in Loop: Header=BB40_13 Depth=1
	s_or_b64 exec, exec, s[28:29]
	s_barrier
	ds_write_b32 v27, v1
	s_waitcnt lgkmcnt(0)
	s_barrier
	s_and_saveexec_b64 s[28:29], s[12:13]
	s_cbranch_execz .LBB40_80
; %bb.79:                               ;   in Loop: Header=BB40_13 Depth=1
	ds_read_b32 v16, v30
	s_waitcnt lgkmcnt(0)
	v_add_u32_e32 v1, v16, v1
.LBB40_80:                              ;   in Loop: Header=BB40_13 Depth=1
	s_or_b64 exec, exec, s[28:29]
	s_barrier
	ds_write_b32 v27, v1
	;; [unrolled: 12-line block ×5, first 2 shown]
	s_waitcnt lgkmcnt(0)
	s_barrier
	ds_read_b32 v18, v0 offset:18556
	v_mov_b32_e32 v16, 0
	s_and_saveexec_b64 s[28:29], s[8:9]
	s_cbranch_execz .LBB40_88
; %bb.87:                               ;   in Loop: Header=BB40_13 Depth=1
	ds_read_b32 v16, v28
.LBB40_88:                              ;   in Loop: Header=BB40_13 Depth=1
	s_or_b64 exec, exec, s[28:29]
	s_waitcnt lgkmcnt(0)
	v_cmp_eq_u32_e32 vcc, v1, v16
	s_and_b64 s[30:31], s[8:9], vcc
	s_barrier
	s_and_saveexec_b64 s[28:29], s[30:31]
	s_cbranch_execz .LBB40_90
; %bb.89:                               ;   in Loop: Header=BB40_13 Depth=1
	ds_write_b32 v27, v0
.LBB40_90:                              ;   in Loop: Header=BB40_13 Depth=1
	s_or_b64 exec, exec, s[28:29]
	v_add_u32_e32 v1, -1, v37
	s_add_i32 s67, s54, s68
	s_mov_b64 s[28:29], 0
	v_mov_b32_e32 v19, v36
	v_mov_b32_e32 v20, v9
	;; [unrolled: 1-line block ×3, first 2 shown]
	s_waitcnt lgkmcnt(0)
	s_barrier
	s_branch .LBB40_92
.LBB40_91:                              ;   in Loop: Header=BB40_92 Depth=2
	s_or_b64 exec, exec, s[30:31]
	v_add_u32_e32 v16, 4, v21
	v_cmp_lt_u32_e32 vcc, 27, v21
	v_add_u32_e32 v20, 0x800, v20
	v_add_u32_e32 v19, 16, v19
	s_or_b64 s[28:29], vcc, s[28:29]
	v_mov_b32_e32 v21, v16
	s_andn2_b64 exec, exec, s[28:29]
	s_cbranch_execz .LBB40_12
.LBB40_92:                              ;   Parent Loop BB40_13 Depth=1
                                        ; =>  This Inner Loop Header: Depth=2
	ds_read_b32 v16, v19
	s_waitcnt lgkmcnt(0)
	v_cmp_ne_u32_e32 vcc, 0, v16
	s_and_saveexec_b64 s[30:31], vcc
	s_cbranch_execz .LBB40_91
; %bb.93:                               ;   in Loop: Header=BB40_92 Depth=2
	v_add_u32_e32 v16, v1, v16
	v_ashrrev_i32_e32 v17, 31, v16
	v_lshlrev_b64 v[22:23], 2, v[16:17]
	v_mov_b32_e32 v17, s61
	v_add_co_u32_e32 v22, vcc, s60, v22
	v_add_u32_e32 v24, s67, v21
	v_addc_co_u32_e32 v23, vcc, v17, v23, vcc
	global_store_dword v[22:23], v24, off
	s_and_b64 exec, exec, s[4:5]
	s_cbranch_execz .LBB40_91
; %bb.94:                               ;   in Loop: Header=BB40_92 Depth=2
	v_mad_u64_u32 v[16:17], s[68:69], v16, s58, v[10:11]
	ds_read_b64 v[22:23], v20
	v_mad_u64_u32 v[16:17], s[68:69], v16, s58, v[12:13]
	v_ashrrev_i32_e32 v17, 31, v16
	v_lshlrev_b64 v[16:17], 3, v[16:17]
	v_mov_b32_e32 v24, s63
	v_add_co_u32_e32 v16, vcc, s62, v16
	v_addc_co_u32_e32 v17, vcc, v24, v17, vcc
	s_waitcnt lgkmcnt(0)
	global_store_dwordx2 v[16:17], v[22:23], off
	s_branch .LBB40_91
.LBB40_95:
	s_endpgm
	.section	.rodata,"a",@progbits
	.p2align	6, 0x0
	.amdhsa_kernel _ZN9rocsparseL38bsrgemm_block_per_row_atomic_multipassILj256ELj32ELj8EiidEEv20rocsparse_direction_T3_S2_PKS2_S4_NS_24const_host_device_scalarIT4_EEPKT2_S4_PKS6_SA_S4_SC_S7_SA_S4_SC_SA_PS2_PS6_PS8_21rocsparse_index_base_SG_SG_SG_bbb
		.amdhsa_group_segment_fixed_size 18568
		.amdhsa_private_segment_fixed_size 0
		.amdhsa_kernarg_size 172
		.amdhsa_user_sgpr_count 6
		.amdhsa_user_sgpr_private_segment_buffer 1
		.amdhsa_user_sgpr_dispatch_ptr 0
		.amdhsa_user_sgpr_queue_ptr 0
		.amdhsa_user_sgpr_kernarg_segment_ptr 1
		.amdhsa_user_sgpr_dispatch_id 0
		.amdhsa_user_sgpr_flat_scratch_init 0
		.amdhsa_user_sgpr_kernarg_preload_length 0
		.amdhsa_user_sgpr_kernarg_preload_offset 0
		.amdhsa_user_sgpr_private_segment_size 0
		.amdhsa_uses_dynamic_stack 0
		.amdhsa_system_sgpr_private_segment_wavefront_offset 0
		.amdhsa_system_sgpr_workgroup_id_x 1
		.amdhsa_system_sgpr_workgroup_id_y 0
		.amdhsa_system_sgpr_workgroup_id_z 0
		.amdhsa_system_sgpr_workgroup_info 0
		.amdhsa_system_vgpr_workitem_id 0
		.amdhsa_next_free_vgpr 48
		.amdhsa_next_free_sgpr 89
		.amdhsa_accum_offset 48
		.amdhsa_reserve_vcc 1
		.amdhsa_reserve_flat_scratch 0
		.amdhsa_float_round_mode_32 0
		.amdhsa_float_round_mode_16_64 0
		.amdhsa_float_denorm_mode_32 3
		.amdhsa_float_denorm_mode_16_64 3
		.amdhsa_dx10_clamp 1
		.amdhsa_ieee_mode 1
		.amdhsa_fp16_overflow 0
		.amdhsa_tg_split 0
		.amdhsa_exception_fp_ieee_invalid_op 0
		.amdhsa_exception_fp_denorm_src 0
		.amdhsa_exception_fp_ieee_div_zero 0
		.amdhsa_exception_fp_ieee_overflow 0
		.amdhsa_exception_fp_ieee_underflow 0
		.amdhsa_exception_fp_ieee_inexact 0
		.amdhsa_exception_int_div_zero 0
	.end_amdhsa_kernel
	.section	.text._ZN9rocsparseL38bsrgemm_block_per_row_atomic_multipassILj256ELj32ELj8EiidEEv20rocsparse_direction_T3_S2_PKS2_S4_NS_24const_host_device_scalarIT4_EEPKT2_S4_PKS6_SA_S4_SC_S7_SA_S4_SC_SA_PS2_PS6_PS8_21rocsparse_index_base_SG_SG_SG_bbb,"axG",@progbits,_ZN9rocsparseL38bsrgemm_block_per_row_atomic_multipassILj256ELj32ELj8EiidEEv20rocsparse_direction_T3_S2_PKS2_S4_NS_24const_host_device_scalarIT4_EEPKT2_S4_PKS6_SA_S4_SC_S7_SA_S4_SC_SA_PS2_PS6_PS8_21rocsparse_index_base_SG_SG_SG_bbb,comdat
.Lfunc_end40:
	.size	_ZN9rocsparseL38bsrgemm_block_per_row_atomic_multipassILj256ELj32ELj8EiidEEv20rocsparse_direction_T3_S2_PKS2_S4_NS_24const_host_device_scalarIT4_EEPKT2_S4_PKS6_SA_S4_SC_S7_SA_S4_SC_SA_PS2_PS6_PS8_21rocsparse_index_base_SG_SG_SG_bbb, .Lfunc_end40-_ZN9rocsparseL38bsrgemm_block_per_row_atomic_multipassILj256ELj32ELj8EiidEEv20rocsparse_direction_T3_S2_PKS2_S4_NS_24const_host_device_scalarIT4_EEPKT2_S4_PKS6_SA_S4_SC_S7_SA_S4_SC_SA_PS2_PS6_PS8_21rocsparse_index_base_SG_SG_SG_bbb
                                        ; -- End function
	.section	.AMDGPU.csdata,"",@progbits
; Kernel info:
; codeLenInByte = 2924
; NumSgprs: 93
; NumVgprs: 48
; NumAgprs: 0
; TotalNumVgprs: 48
; ScratchSize: 0
; MemoryBound: 0
; FloatMode: 240
; IeeeMode: 1
; LDSByteSize: 18568 bytes/workgroup (compile time only)
; SGPRBlocks: 11
; VGPRBlocks: 5
; NumSGPRsForWavesPerEU: 93
; NumVGPRsForWavesPerEU: 48
; AccumOffset: 48
; Occupancy: 3
; WaveLimiterHint : 1
; COMPUTE_PGM_RSRC2:SCRATCH_EN: 0
; COMPUTE_PGM_RSRC2:USER_SGPR: 6
; COMPUTE_PGM_RSRC2:TRAP_HANDLER: 0
; COMPUTE_PGM_RSRC2:TGID_X_EN: 1
; COMPUTE_PGM_RSRC2:TGID_Y_EN: 0
; COMPUTE_PGM_RSRC2:TGID_Z_EN: 0
; COMPUTE_PGM_RSRC2:TIDIG_COMP_CNT: 0
; COMPUTE_PGM_RSRC3_GFX90A:ACCUM_OFFSET: 11
; COMPUTE_PGM_RSRC3_GFX90A:TG_SPLIT: 0
	.section	.text._ZN9rocsparseL31bsrgemm_block_per_row_multipassILj256ELj8ELj16EiidEEv20rocsparse_direction_T3_S2_PKS2_S4_NS_24const_host_device_scalarIT4_EEPKT2_S4_PKS6_SA_S4_SC_S7_SA_S4_SC_SA_PS2_PS6_PS8_21rocsparse_index_base_SG_SG_SG_bbb,"axG",@progbits,_ZN9rocsparseL31bsrgemm_block_per_row_multipassILj256ELj8ELj16EiidEEv20rocsparse_direction_T3_S2_PKS2_S4_NS_24const_host_device_scalarIT4_EEPKT2_S4_PKS6_SA_S4_SC_S7_SA_S4_SC_SA_PS2_PS6_PS8_21rocsparse_index_base_SG_SG_SG_bbb,comdat
	.globl	_ZN9rocsparseL31bsrgemm_block_per_row_multipassILj256ELj8ELj16EiidEEv20rocsparse_direction_T3_S2_PKS2_S4_NS_24const_host_device_scalarIT4_EEPKT2_S4_PKS6_SA_S4_SC_S7_SA_S4_SC_SA_PS2_PS6_PS8_21rocsparse_index_base_SG_SG_SG_bbb ; -- Begin function _ZN9rocsparseL31bsrgemm_block_per_row_multipassILj256ELj8ELj16EiidEEv20rocsparse_direction_T3_S2_PKS2_S4_NS_24const_host_device_scalarIT4_EEPKT2_S4_PKS6_SA_S4_SC_S7_SA_S4_SC_SA_PS2_PS6_PS8_21rocsparse_index_base_SG_SG_SG_bbb
	.p2align	8
	.type	_ZN9rocsparseL31bsrgemm_block_per_row_multipassILj256ELj8ELj16EiidEEv20rocsparse_direction_T3_S2_PKS2_S4_NS_24const_host_device_scalarIT4_EEPKT2_S4_PKS6_SA_S4_SC_S7_SA_S4_SC_SA_PS2_PS6_PS8_21rocsparse_index_base_SG_SG_SG_bbb,@function
_ZN9rocsparseL31bsrgemm_block_per_row_multipassILj256ELj8ELj16EiidEEv20rocsparse_direction_T3_S2_PKS2_S4_NS_24const_host_device_scalarIT4_EEPKT2_S4_PKS6_SA_S4_SC_S7_SA_S4_SC_SA_PS2_PS6_PS8_21rocsparse_index_base_SG_SG_SG_bbb: ; @_ZN9rocsparseL31bsrgemm_block_per_row_multipassILj256ELj8ELj16EiidEEv20rocsparse_direction_T3_S2_PKS2_S4_NS_24const_host_device_scalarIT4_EEPKT2_S4_PKS6_SA_S4_SC_S7_SA_S4_SC_SA_PS2_PS6_PS8_21rocsparse_index_base_SG_SG_SG_bbb
; %bb.0:
	s_load_dword s7, s[4:5], 0xa8
	s_load_dwordx4 s[28:31], s[4:5], 0x98
	s_load_dwordx2 s[10:11], s[4:5], 0x20
	s_waitcnt lgkmcnt(0)
	s_and_b32 s0, 1, s7
	s_bitcmp1_b32 s7, 16
	s_cselect_b64 s[2:3], -1, 0
	s_cmp_eq_u32 s0, 1
	s_load_dwordx2 s[0:1], s[4:5], 0x58
	s_cselect_b64 s[8:9], -1, 0
	s_and_b64 s[12:13], s[8:9], exec
	s_cselect_b32 s13, s11, 0
	s_cselect_b32 s12, s10, 0
	s_xor_b64 s[14:15], s[8:9], -1
	s_or_b64 s[14:15], s[14:15], s[2:3]
	s_and_b64 vcc, exec, s[14:15]
	v_pk_mov_b32 v[2:3], s[12:13], s[12:13] op_sel:[0,1]
	s_cbranch_vccnz .LBB41_2
; %bb.1:
	v_pk_mov_b32 v[2:3], s[10:11], s[10:11] op_sel:[0,1]
	flat_load_dwordx2 v[2:3], v[2:3]
.LBB41_2:
	s_bitcmp1_b32 s7, 8
	s_load_dwordx2 s[10:11], s[4:5], 0x18
	s_cselect_b64 s[34:35], -1, 0
	s_and_b64 s[12:13], s[34:35], exec
	s_waitcnt lgkmcnt(0)
	s_cselect_b32 s13, s1, 0
	s_cselect_b32 s12, s0, 0
	s_xor_b64 s[14:15], s[34:35], -1
	s_or_b64 s[2:3], s[14:15], s[2:3]
	s_and_b64 vcc, exec, s[2:3]
	v_pk_mov_b32 v[4:5], s[12:13], s[12:13] op_sel:[0,1]
	s_cbranch_vccnz .LBB41_4
; %bb.3:
	v_pk_mov_b32 v[4:5], s[0:1], s[0:1] op_sel:[0,1]
	flat_load_dwordx2 v[4:5], v[4:5]
.LBB41_4:
	s_load_dwordx2 s[2:3], s[4:5], 0x28
	s_cmp_eq_u64 s[10:11], 0
	s_cbranch_scc1 .LBB41_6
; %bb.5:
	s_load_dwordx2 s[0:1], s[4:5], 0x10
	s_waitcnt lgkmcnt(0)
	s_load_dword s0, s[0:1], 0x0
	s_mov_b32 s1, 0
	s_waitcnt lgkmcnt(0)
	s_add_i32 s0, s0, s6
	s_lshl_b64 s[0:1], s[0:1], 2
	s_add_u32 s0, s10, s0
	s_addc_u32 s1, s11, s1
	s_load_dword s6, s[0:1], 0x0
.LBB41_6:
	v_cndmask_b32_e64 v1, 0, 1, s[8:9]
	s_mov_b32 s33, 0
	v_cmp_ne_u32_e64 s[0:1], 1, v1
	s_andn2_b64 vcc, exec, s[8:9]
	s_mov_b32 s66, 0
	s_cbranch_vccz .LBB41_9
; %bb.7:
	s_and_b64 vcc, exec, s[0:1]
	s_cbranch_vccz .LBB41_10
.LBB41_8:
	s_load_dwordx4 s[36:39], s[4:5], 0x0
	s_waitcnt lgkmcnt(0)
	s_cmp_lt_i32 s37, 1
	s_cbranch_scc0 .LBB41_11
	s_branch .LBB41_94
.LBB41_9:
	s_waitcnt lgkmcnt(0)
	s_ashr_i32 s7, s6, 31
	s_lshl_b64 s[10:11], s[6:7], 2
	s_add_u32 s10, s2, s10
	s_addc_u32 s11, s3, s11
	s_load_dword s7, s[10:11], 0x0
	s_waitcnt lgkmcnt(0)
	s_sub_i32 s66, s7, s28
	s_and_b64 vcc, exec, s[0:1]
	s_cbranch_vccnz .LBB41_8
.LBB41_10:
	s_waitcnt lgkmcnt(0)
	s_ashr_i32 s7, s6, 31
	s_lshl_b64 s[0:1], s[6:7], 2
	s_add_u32 s0, s2, s0
	s_addc_u32 s1, s3, s1
	s_load_dword s0, s[0:1], 0x4
	s_waitcnt lgkmcnt(0)
	s_sub_i32 s33, s0, s28
	s_load_dwordx4 s[36:39], s[4:5], 0x0
	s_waitcnt lgkmcnt(0)
	s_cmp_lt_i32 s37, 1
	s_cbranch_scc1 .LBB41_94
.LBB41_11:
	s_load_dwordx8 s[12:19], s[4:5], 0x60
	s_load_dwordx2 s[44:45], s[4:5], 0x90
	s_load_dwordx4 s[40:43], s[4:5], 0x80
	s_ashr_i32 s7, s6, 31
	s_lshl_b64 s[6:7], s[6:7], 2
	s_waitcnt lgkmcnt(0)
	s_add_u32 s0, s18, s6
	s_addc_u32 s1, s19, s7
	s_load_dword s2, s[0:1], 0x0
	s_load_dwordx2 s[18:19], s[4:5], 0x50
	s_load_dwordx8 s[20:27], s[4:5], 0x30
	v_and_b32_e32 v1, 15, v0
	v_lshrrev_b32_e32 v8, 4, v0
	s_waitcnt lgkmcnt(0)
	s_sub_i32 s46, s2, s30
	s_cmp_lt_i32 s66, s33
	v_cmp_gt_u32_e32 vcc, s38, v1
	v_cmp_gt_i32_e64 s[2:3], s38, v8
	s_cselect_b64 s[10:11], -1, 0
	s_and_b64 s[48:49], vcc, s[2:3]
	s_cmp_eq_u32 s36, 0
	s_cselect_b64 vcc, -1, 0
	s_cmp_lg_u32 s36, 0
	s_cselect_b64 s[50:51], -1, 0
	s_cmp_gt_i32 s38, 0
	s_cselect_b64 s[54:55], -1, 0
	s_mul_i32 s36, s38, s38
	s_add_u32 s12, s12, s6
	v_and_b32_e32 v7, 0xf0, v0
	s_addc_u32 s13, s13, s7
	s_and_b64 s[8:9], s[8:9], s[10:11]
	s_mul_i32 s10, s66, s36
	s_mov_b32 s52, 0
	v_or_b32_e32 v6, v7, v1
	v_add_u32_e32 v23, s10, v8
	s_mul_i32 s10, s66, s38
	v_lshlrev_b32_e32 v21, 3, v6
	v_cndmask_b32_e32 v22, v1, v8, vcc
	v_cndmask_b32_e32 v6, v8, v1, vcc
	v_or_b32_e32 v9, 0x400, v0
	s_movk_i32 s2, 0x700
	s_movk_i32 s4, 0x200
	;; [unrolled: 1-line block ×3, first 2 shown]
	s_add_u32 s39, s24, 4
	v_add_u32_e32 v8, s10, v8
	s_mov_b32 s53, s52
	v_cndmask_b32_e64 v10, 0, 1, s[8:9]
	s_mov_b32 s47, 8
	v_cmp_gt_u32_e64 s[0:1], 8, v0
	v_lshlrev_b32_e32 v20, 3, v0
	v_cmp_gt_u32_e64 s[2:3], s2, v9
	v_cmp_gt_u32_e64 s[4:5], s4, v0
	;; [unrolled: 1-line block ×3, first 2 shown]
	s_addc_u32 s67, s25, 0
	v_mul_lo_u32 v24, s38, v8
	s_sub_i32 s68, 1, s31
	v_pk_mov_b32 v[8:9], s[52:53], s[52:53] op_sel:[0,1]
	v_cmp_ne_u32_e64 s[8:9], 1, v10
	v_mov_b32_e32 v11, 0
	v_cndmask_b32_e64 v25, 0, 1, s[54:55]
	v_mov_b32_e32 v26, s19
	v_mov_b32_e32 v27, 1
	s_branch .LBB41_14
.LBB41_12:                              ;   in Loop: Header=BB41_14 Depth=1
	s_or_b64 exec, exec, s[10:11]
	s_add_i32 s47, s47, 1
.LBB41_13:                              ;   in Loop: Header=BB41_14 Depth=1
	s_min_i32 s52, s19, s37
	s_add_i32 s46, s47, s46
	s_add_i32 s47, s52, 8
	s_cmp_lt_i32 s19, s37
	s_barrier
	s_barrier
	s_cbranch_scc0 .LBB41_94
.LBB41_14:                              ; =>This Loop Header: Depth=1
                                        ;     Child Loop BB41_24 Depth 2
                                        ;       Child Loop BB41_29 Depth 3
                                        ;         Child Loop BB41_38 Depth 4
                                        ;         Child Loop BB41_44 Depth 4
                                        ;     Child Loop BB41_58 Depth 2
	s_and_saveexec_b64 s[10:11], s[0:1]
	s_cbranch_execz .LBB41_16
; %bb.15:                               ;   in Loop: Header=BB41_14 Depth=1
	ds_write_b8 v0, v11 offset:16384
.LBB41_16:                              ;   in Loop: Header=BB41_14 Depth=1
	s_or_b64 exec, exec, s[10:11]
	ds_write2st64_b64 v20, v[8:9], v[8:9] offset1:4
	ds_write2st64_b64 v20, v[8:9], v[8:9] offset0:8 offset1:12
	ds_write_b64 v20, v[8:9] offset:8192
	s_and_saveexec_b64 s[10:11], s[2:3]
	s_xor_b64 s[10:11], exec, s[10:11]
	s_cbranch_execz .LBB41_22
; %bb.17:                               ;   in Loop: Header=BB41_14 Depth=1
	v_mov_b32_e32 v10, v11
	ds_write_b64 v20, v[10:11] offset:10240
	s_and_saveexec_b64 s[54:55], s[4:5]
	s_xor_b64 s[54:55], exec, s[54:55]
	s_cbranch_execz .LBB41_21
; %bb.18:                               ;   in Loop: Header=BB41_14 Depth=1
	ds_write_b64 v20, v[10:11] offset:12288
	s_and_saveexec_b64 s[56:57], s[6:7]
	s_xor_b64 s[56:57], exec, s[56:57]
	s_cbranch_execz .LBB41_20
; %bb.19:                               ;   in Loop: Header=BB41_14 Depth=1
	v_mov_b32_e32 v10, v11
	ds_write_b64 v20, v[10:11] offset:14336
.LBB41_20:                              ;   in Loop: Header=BB41_14 Depth=1
	s_or_b64 exec, exec, s[56:57]
.LBB41_21:                              ;   in Loop: Header=BB41_14 Depth=1
	s_or_b64 exec, exec, s[54:55]
.LBB41_22:                              ;   in Loop: Header=BB41_14 Depth=1
	s_or_b64 exec, exec, s[10:11]
	s_and_b64 vcc, exec, s[8:9]
	s_mov_b32 s19, s37
	s_waitcnt lgkmcnt(0)
	s_barrier
	s_cbranch_vccnz .LBB41_53
; %bb.23:                               ;   in Loop: Header=BB41_14 Depth=1
	s_cmp_lg_u32 s52, 0
	s_cselect_b64 s[54:55], -1, 0
	v_mov_b32_e32 v12, v24
	v_mov_b32_e32 v28, v23
	s_mov_b32 s53, s37
	s_mov_b32 s56, s66
.LBB41_24:                              ;   Parent Loop BB41_14 Depth=1
                                        ; =>  This Loop Header: Depth=2
                                        ;       Child Loop BB41_29 Depth 3
                                        ;         Child Loop BB41_38 Depth 4
                                        ;         Child Loop BB41_44 Depth 4
	s_ashr_i32 s57, s56, 31
	s_lshl_b64 s[58:59], s[56:57], 2
	s_add_u32 s10, s20, s58
	s_addc_u32 s11, s21, s59
	s_load_dword s10, s[10:11], 0x0
	s_and_b64 vcc, exec, s[54:55]
	s_waitcnt lgkmcnt(0)
	s_sub_i32 s10, s10, s28
	s_cbranch_vccz .LBB41_52
; %bb.25:                               ;   in Loop: Header=BB41_24 Depth=2
	s_add_u32 s60, s44, s58
	s_addc_u32 s61, s45, s59
	global_load_dword v10, v11, s[60:61]
	s_ashr_i32 s11, s10, 31
	s_waitcnt vmcnt(0)
	v_readfirstlane_b32 s60, v10
	s_cbranch_execnz .LBB41_27
.LBB41_26:                              ;   in Loop: Header=BB41_24 Depth=2
	s_ashr_i32 s11, s10, 31
	s_lshl_b64 s[60:61], s[10:11], 2
	s_add_u32 s60, s24, s60
	s_addc_u32 s61, s25, s61
	s_load_dword s19, s[60:61], 0x0
	s_waitcnt lgkmcnt(0)
	s_sub_i32 s60, s19, s29
.LBB41_27:                              ;   in Loop: Header=BB41_24 Depth=2
	s_lshl_b64 s[10:11], s[10:11], 2
	s_add_u32 s10, s39, s10
	s_addc_u32 s11, s67, s11
	s_load_dword s10, s[10:11], 0x0
	s_waitcnt lgkmcnt(0)
	s_sub_i32 s57, s10, s29
	s_cmp_ge_i32 s60, s57
	s_cbranch_scc1 .LBB41_49
; %bb.28:                               ;   in Loop: Header=BB41_24 Depth=2
	v_ashrrev_i32_e32 v13, 31, v12
	v_lshlrev_b64 v[14:15], 3, v[12:13]
	v_mov_b32_e32 v10, s23
	v_add_co_u32_e32 v14, vcc, s22, v14
	s_mul_i32 s10, s38, s60
	v_addc_co_u32_e32 v15, vcc, v10, v15, vcc
	v_add_u32_e32 v10, s10, v1
	s_mul_i32 s10, s36, s60
	v_mul_lo_u32 v13, s38, v10
	v_add_u32_e32 v29, s10, v1
	s_mov_b32 s69, s60
.LBB41_29:                              ;   Parent Loop BB41_14 Depth=1
                                        ;     Parent Loop BB41_24 Depth=2
                                        ; =>    This Loop Header: Depth=3
                                        ;         Child Loop BB41_38 Depth 4
                                        ;         Child Loop BB41_44 Depth 4
	s_ashr_i32 s61, s60, 31
	s_lshl_b64 s[10:11], s[60:61], 2
	s_add_u32 s10, s26, s10
	s_addc_u32 s11, s27, s11
	s_load_dword s10, s[10:11], 0x0
	s_mov_b64 s[62:63], -1
                                        ; implicit-def: $sgpr61
                                        ; implicit-def: $sgpr19
	s_waitcnt lgkmcnt(0)
	s_sub_i32 s70, s10, s29
	s_cmp_lt_i32 s70, s52
	s_cselect_b64 s[10:11], -1, 0
	s_cmp_ge_i32 s70, s47
	s_cselect_b64 s[64:65], -1, 0
	s_or_b64 s[10:11], s[10:11], s[64:65]
	s_and_b64 vcc, exec, s[10:11]
                                        ; implicit-def: $sgpr10_sgpr11
	s_cbranch_vccz .LBB41_33
; %bb.30:                               ;   in Loop: Header=BB41_29 Depth=3
	s_mov_b64 s[10:11], -1
	s_andn2_b64 vcc, exec, s[64:65]
	s_mov_b32 s61, s69
	s_mov_b32 s19, s53
	s_cbranch_vccnz .LBB41_32
; %bb.31:                               ;   in Loop: Header=BB41_29 Depth=3
	s_min_i32 s19, s70, s53
	s_mov_b64 s[10:11], 0
	s_mov_b32 s61, s60
.LBB41_32:                              ;   in Loop: Header=BB41_29 Depth=3
	s_mov_b64 s[62:63], 0
.LBB41_33:                              ;   in Loop: Header=BB41_29 Depth=3
	s_andn2_b64 vcc, exec, s[62:63]
	s_cbranch_vccnz .LBB41_47
; %bb.34:                               ;   in Loop: Header=BB41_29 Depth=3
	s_sub_i32 s19, s70, s52
	v_mov_b32_e32 v10, s19
	ds_write_b8 v10, v27 offset:16384
	s_and_saveexec_b64 s[62:63], s[48:49]
	s_cbranch_execz .LBB41_46
; %bb.35:                               ;   in Loop: Header=BB41_29 Depth=3
	s_andn2_b64 vcc, exec, s[50:51]
	v_cmp_ne_u32_e64 s[10:11], 1, v25
	s_cbranch_vccnz .LBB41_40
; %bb.36:                               ;   in Loop: Header=BB41_29 Depth=3
	s_and_b64 vcc, exec, s[10:11]
	s_cbranch_vccnz .LBB41_41
; %bb.37:                               ;   in Loop: Header=BB41_29 Depth=3
	s_mov_b32 s61, 0
	v_pk_mov_b32 v[16:17], 0, 0
	v_mov_b32_e32 v18, v28
.LBB41_38:                              ;   Parent Loop BB41_14 Depth=1
                                        ;     Parent Loop BB41_24 Depth=2
                                        ;       Parent Loop BB41_29 Depth=3
                                        ; =>      This Inner Loop Header: Depth=4
	v_ashrrev_i32_e32 v19, 31, v18
	v_lshlrev_b64 v[30:31], 3, v[18:19]
	v_mov_b32_e32 v34, s23
	v_add_u32_e32 v10, s61, v13
	v_add_co_u32_e32 v30, vcc, s22, v30
	v_lshlrev_b64 v[32:33], 3, v[10:11]
	v_addc_co_u32_e32 v31, vcc, v34, v31, vcc
	v_add_co_u32_e32 v32, vcc, s18, v32
	v_addc_co_u32_e32 v33, vcc, v26, v33, vcc
	global_load_dwordx2 v[30:31], v[30:31], off
	s_nop 0
	global_load_dwordx2 v[32:33], v[32:33], off
	s_add_i32 s61, s61, 1
	v_add_u32_e32 v18, s38, v18
	s_cmp_lg_u32 s38, s61
	s_waitcnt vmcnt(0)
	v_fmac_f64_e32 v[16:17], v[30:31], v[32:33]
	s_cbranch_scc1 .LBB41_38
; %bb.39:                               ;   in Loop: Header=BB41_29 Depth=3
	s_cbranch_execz .LBB41_42
	s_branch .LBB41_45
.LBB41_40:                              ;   in Loop: Header=BB41_29 Depth=3
                                        ; implicit-def: $vgpr16_vgpr17
	s_branch .LBB41_42
.LBB41_41:                              ;   in Loop: Header=BB41_29 Depth=3
	v_pk_mov_b32 v[16:17], 0, 0
	s_cbranch_execnz .LBB41_45
.LBB41_42:                              ;   in Loop: Header=BB41_29 Depth=3
	v_pk_mov_b32 v[16:17], 0, 0
	s_and_b64 vcc, exec, s[10:11]
	s_cbranch_vccnz .LBB41_45
; %bb.43:                               ;   in Loop: Header=BB41_29 Depth=3
	v_pk_mov_b32 v[18:19], v[14:15], v[14:15] op_sel:[0,1]
	v_mov_b32_e32 v10, v29
	s_mov_b32 s10, s38
.LBB41_44:                              ;   Parent Loop BB41_14 Depth=1
                                        ;     Parent Loop BB41_24 Depth=2
                                        ;       Parent Loop BB41_29 Depth=3
                                        ; =>      This Inner Loop Header: Depth=4
	v_lshlrev_b64 v[32:33], 3, v[10:11]
	v_add_co_u32_e32 v32, vcc, s18, v32
	v_addc_co_u32_e32 v33, vcc, v26, v33, vcc
	global_load_dwordx2 v[30:31], v[18:19], off
	s_add_i32 s10, s10, -1
	global_load_dwordx2 v[32:33], v[32:33], off
	v_add_co_u32_e32 v18, vcc, 8, v18
	v_add_u32_e32 v10, s38, v10
	v_addc_co_u32_e32 v19, vcc, 0, v19, vcc
	s_cmp_eq_u32 s10, 0
	s_waitcnt vmcnt(0)
	v_fmac_f64_e32 v[16:17], v[30:31], v[32:33]
	s_cbranch_scc0 .LBB41_44
.LBB41_45:                              ;   in Loop: Header=BB41_29 Depth=3
	s_lshl_b32 s10, s19, 8
	v_or3_b32 v10, s10, v7, v1
	v_lshlrev_b32_e32 v10, 3, v10
	ds_read_b64 v[18:19], v10
	s_waitcnt vmcnt(0) lgkmcnt(0)
	v_fmac_f64_e32 v[18:19], v[2:3], v[16:17]
	ds_write_b64 v10, v[18:19]
.LBB41_46:                              ;   in Loop: Header=BB41_29 Depth=3
	s_or_b64 exec, exec, s[62:63]
	s_mov_b64 s[10:11], -1
	s_mov_b32 s61, s69
	s_mov_b32 s19, s53
	s_waitcnt lgkmcnt(0)
	s_barrier
.LBB41_47:                              ;   in Loop: Header=BB41_29 Depth=3
	s_add_i32 s60, s60, 1
	s_cmp_lt_i32 s60, s57
	s_cselect_b64 s[62:63], -1, 0
	s_and_b64 s[10:11], s[10:11], s[62:63]
	v_add_u32_e32 v13, s36, v13
	v_add_u32_e32 v29, s36, v29
	s_and_b64 vcc, exec, s[10:11]
	s_cbranch_vccz .LBB41_50
; %bb.48:                               ;   in Loop: Header=BB41_29 Depth=3
	s_mov_b32 s69, s61
	s_mov_b32 s53, s19
	s_branch .LBB41_29
.LBB41_49:                              ;   in Loop: Header=BB41_24 Depth=2
	s_mov_b32 s61, s60
	s_mov_b32 s19, s53
.LBB41_50:                              ;   in Loop: Header=BB41_24 Depth=2
	s_add_u32 s10, s44, s58
	s_addc_u32 s11, s45, s59
	s_add_i32 s56, s56, 1
	v_mov_b32_e32 v10, s61
	v_add_u32_e32 v28, s36, v28
	s_cmp_lt_i32 s56, s33
	v_add_u32_e32 v12, s36, v12
	global_store_dword v11, v10, s[10:11]
	s_cbranch_scc0 .LBB41_53
; %bb.51:                               ;   in Loop: Header=BB41_24 Depth=2
	s_mov_b32 s53, s19
	s_branch .LBB41_24
.LBB41_52:                              ;   in Loop: Header=BB41_24 Depth=2
                                        ; implicit-def: $sgpr60
	s_branch .LBB41_26
.LBB41_53:                              ;   in Loop: Header=BB41_14 Depth=1
	s_andn2_b64 vcc, exec, s[34:35]
	s_cbranch_vccnz .LBB41_63
; %bb.54:                               ;   in Loop: Header=BB41_14 Depth=1
	s_load_dwordx2 s[10:11], s[12:13], 0x0
	s_waitcnt lgkmcnt(0)
	s_cmp_ge_i32 s10, s11
	s_cbranch_scc1 .LBB41_63
; %bb.55:                               ;   in Loop: Header=BB41_14 Depth=1
	s_sub_i32 s54, s10, s31
	s_sub_i32 s53, s11, s31
	s_mul_i32 s11, s38, s54
	s_ashr_i32 s55, s54, 31
	v_add_u32_e32 v10, s11, v22
	s_add_i32 s58, s68, s10
	s_lshl_b64 s[10:11], s[54:55], 2
	v_mad_u64_u32 v[12:13], s[56:57], s38, v10, v[6:7]
	s_add_u32 s10, s14, s10
	s_addc_u32 s11, s15, s11
	v_mov_b32_e32 v10, v12
	s_branch .LBB41_58
.LBB41_56:                              ;   in Loop: Header=BB41_58 Depth=2
	s_or_b64 exec, exec, s[54:55]
	s_mov_b64 s[54:55], -1
	s_mov_b32 s59, s19
	s_waitcnt lgkmcnt(0)
	s_barrier
.LBB41_57:                              ;   in Loop: Header=BB41_58 Depth=2
	s_cmp_lt_i32 s58, s53
	s_cselect_b64 s[56:57], -1, 0
	s_and_b64 s[54:55], s[54:55], s[56:57]
	s_add_i32 s58, s58, 1
	s_add_u32 s10, s10, 4
	v_add_u32_e32 v10, s36, v10
	s_addc_u32 s11, s11, 0
	s_mov_b32 s19, s59
	s_and_b64 vcc, exec, s[54:55]
	s_cbranch_vccz .LBB41_63
.LBB41_58:                              ;   Parent Loop BB41_14 Depth=1
                                        ; =>  This Inner Loop Header: Depth=2
	s_load_dword s54, s[10:11], 0x0
                                        ; implicit-def: $sgpr59
	s_waitcnt lgkmcnt(0)
	s_sub_i32 s60, s54, s31
	s_cmp_lt_i32 s60, s52
	s_cselect_b64 s[56:57], -1, 0
	s_cmp_lt_i32 s60, s47
	s_cselect_b64 s[54:55], -1, 0
	s_cmp_ge_i32 s60, s47
	s_cselect_b64 s[62:63], -1, 0
	s_or_b64 s[62:63], s[56:57], s[62:63]
	s_mov_b64 s[56:57], -1
	s_and_b64 vcc, exec, s[62:63]
	s_cbranch_vccz .LBB41_60
; %bb.59:                               ;   in Loop: Header=BB41_58 Depth=2
	s_min_i32 s59, s60, s19
	s_and_b64 s[56:57], s[54:55], exec
	s_cselect_b32 s59, s19, s59
	s_mov_b64 s[56:57], 0
.LBB41_60:                              ;   in Loop: Header=BB41_58 Depth=2
	s_andn2_b64 vcc, exec, s[56:57]
	s_cbranch_vccnz .LBB41_57
; %bb.61:                               ;   in Loop: Header=BB41_58 Depth=2
	s_sub_i32 s56, s60, s52
	v_mov_b32_e32 v12, s56
	ds_write_b8 v12, v27 offset:16384
	s_and_saveexec_b64 s[54:55], s[48:49]
	s_cbranch_execz .LBB41_56
; %bb.62:                               ;   in Loop: Header=BB41_58 Depth=2
	v_lshlrev_b64 v[12:13], 3, v[10:11]
	v_mov_b32_e32 v14, s17
	v_add_co_u32_e32 v12, vcc, s16, v12
	v_addc_co_u32_e32 v13, vcc, v14, v13, vcc
	global_load_dwordx2 v[12:13], v[12:13], off
	s_lshl_b32 s56, s56, 8
	v_or3_b32 v14, s56, v7, v1
	v_lshlrev_b32_e32 v16, 3, v14
	ds_read_b64 v[14:15], v16
	s_waitcnt vmcnt(0) lgkmcnt(0)
	v_fmac_f64_e32 v[14:15], v[4:5], v[12:13]
	ds_write_b64 v16, v[14:15]
	s_branch .LBB41_56
.LBB41_63:                              ;   in Loop: Header=BB41_14 Depth=1
	s_barrier
	ds_read_u8 v10, v11 offset:16384
	s_add_i32 s54, s52, s30
	s_mov_b32 s47, 0
	s_waitcnt lgkmcnt(0)
	v_cmp_eq_u32_e32 vcc, 0, v10
	s_cbranch_vccz .LBB41_71
; %bb.64:                               ;   in Loop: Header=BB41_14 Depth=1
	ds_read_u8 v10, v11 offset:16385
	s_waitcnt lgkmcnt(0)
	v_cmp_eq_u32_e32 vcc, 0, v10
	s_cbranch_vccz .LBB41_74
.LBB41_65:                              ;   in Loop: Header=BB41_14 Depth=1
	ds_read_u8 v10, v11 offset:16386
	s_waitcnt lgkmcnt(0)
	v_cmp_eq_u32_e32 vcc, 0, v10
	s_cbranch_vccz .LBB41_77
.LBB41_66:                              ;   in Loop: Header=BB41_14 Depth=1
	ds_read_u8 v10, v11 offset:16387
	s_waitcnt lgkmcnt(0)
	v_cmp_eq_u32_e32 vcc, 0, v10
	s_cbranch_vccz .LBB41_80
.LBB41_67:                              ;   in Loop: Header=BB41_14 Depth=1
	ds_read_u8 v10, v11 offset:16388
	s_waitcnt lgkmcnt(0)
	v_cmp_eq_u32_e32 vcc, 0, v10
	s_cbranch_vccz .LBB41_83
.LBB41_68:                              ;   in Loop: Header=BB41_14 Depth=1
	ds_read_u8 v10, v11 offset:16389
	s_waitcnt lgkmcnt(0)
	v_cmp_eq_u32_e32 vcc, 0, v10
	s_cbranch_vccz .LBB41_86
.LBB41_69:                              ;   in Loop: Header=BB41_14 Depth=1
	ds_read_u8 v10, v11 offset:16390
	s_waitcnt lgkmcnt(0)
	v_cmp_eq_u32_e32 vcc, 0, v10
	s_cbranch_vccz .LBB41_89
.LBB41_70:                              ;   in Loop: Header=BB41_14 Depth=1
	ds_read_u8 v10, v11 offset:16391
	s_waitcnt lgkmcnt(0)
	v_cmp_eq_u32_e32 vcc, 0, v10
	s_cbranch_vccnz .LBB41_13
	s_branch .LBB41_92
.LBB41_71:                              ;   in Loop: Header=BB41_14 Depth=1
	s_ashr_i32 s47, s46, 31
	s_lshl_b64 s[10:11], s[46:47], 2
	s_add_u32 s10, s40, s10
	s_addc_u32 s11, s41, s11
	v_mov_b32_e32 v10, s54
	global_store_dword v11, v10, s[10:11]
	s_and_saveexec_b64 s[10:11], s[48:49]
	s_cbranch_execz .LBB41_73
; %bb.72:                               ;   in Loop: Header=BB41_14 Depth=1
	s_mul_i32 s47, s46, s38
	v_add_u32_e32 v10, s47, v22
	ds_read_b64 v[12:13], v20
	v_mad_u64_u32 v[14:15], s[52:53], v10, s38, v[6:7]
	v_mov_b32_e32 v15, v11
	v_lshlrev_b64 v[14:15], 3, v[14:15]
	v_mov_b32_e32 v10, s43
	v_add_co_u32_e32 v14, vcc, s42, v14
	v_addc_co_u32_e32 v15, vcc, v10, v15, vcc
	s_waitcnt lgkmcnt(0)
	global_store_dwordx2 v[14:15], v[12:13], off
.LBB41_73:                              ;   in Loop: Header=BB41_14 Depth=1
	s_or_b64 exec, exec, s[10:11]
	s_mov_b32 s47, 1
	ds_read_u8 v10, v11 offset:16385
	s_waitcnt lgkmcnt(0)
	v_cmp_eq_u32_e32 vcc, 0, v10
	s_cbranch_vccnz .LBB41_65
.LBB41_74:                              ;   in Loop: Header=BB41_14 Depth=1
	s_add_i32 s52, s47, s46
	s_ashr_i32 s53, s52, 31
	s_add_i32 s55, s54, 1
	s_lshl_b64 s[10:11], s[52:53], 2
	s_add_u32 s10, s40, s10
	s_addc_u32 s11, s41, s11
	v_mov_b32_e32 v10, s55
	global_store_dword v11, v10, s[10:11]
	s_and_saveexec_b64 s[10:11], s[48:49]
	s_cbranch_execz .LBB41_76
; %bb.75:                               ;   in Loop: Header=BB41_14 Depth=1
	s_mul_i32 s52, s52, s38
	v_add_u32_e32 v10, s52, v22
	ds_read_b64 v[12:13], v21 offset:2048
	v_mad_u64_u32 v[14:15], s[52:53], v10, s38, v[6:7]
	v_mov_b32_e32 v15, v11
	v_lshlrev_b64 v[14:15], 3, v[14:15]
	v_mov_b32_e32 v10, s43
	v_add_co_u32_e32 v14, vcc, s42, v14
	v_addc_co_u32_e32 v15, vcc, v10, v15, vcc
	s_waitcnt lgkmcnt(0)
	global_store_dwordx2 v[14:15], v[12:13], off
.LBB41_76:                              ;   in Loop: Header=BB41_14 Depth=1
	s_or_b64 exec, exec, s[10:11]
	s_add_i32 s47, s47, 1
	ds_read_u8 v10, v11 offset:16386
	s_waitcnt lgkmcnt(0)
	v_cmp_eq_u32_e32 vcc, 0, v10
	s_cbranch_vccnz .LBB41_66
.LBB41_77:                              ;   in Loop: Header=BB41_14 Depth=1
	s_add_i32 s52, s47, s46
	s_ashr_i32 s53, s52, 31
	s_add_i32 s55, s54, 2
	s_lshl_b64 s[10:11], s[52:53], 2
	s_add_u32 s10, s40, s10
	s_addc_u32 s11, s41, s11
	v_mov_b32_e32 v10, s55
	global_store_dword v11, v10, s[10:11]
	s_and_saveexec_b64 s[10:11], s[48:49]
	s_cbranch_execz .LBB41_79
; %bb.78:                               ;   in Loop: Header=BB41_14 Depth=1
	s_mul_i32 s52, s52, s38
	v_add_u32_e32 v10, s52, v22
	ds_read_b64 v[12:13], v21 offset:4096
	v_mad_u64_u32 v[14:15], s[52:53], v10, s38, v[6:7]
	v_mov_b32_e32 v15, v11
	v_lshlrev_b64 v[14:15], 3, v[14:15]
	v_mov_b32_e32 v10, s43
	v_add_co_u32_e32 v14, vcc, s42, v14
	v_addc_co_u32_e32 v15, vcc, v10, v15, vcc
	s_waitcnt lgkmcnt(0)
	global_store_dwordx2 v[14:15], v[12:13], off
.LBB41_79:                              ;   in Loop: Header=BB41_14 Depth=1
	s_or_b64 exec, exec, s[10:11]
	s_add_i32 s47, s47, 1
	ds_read_u8 v10, v11 offset:16387
	s_waitcnt lgkmcnt(0)
	v_cmp_eq_u32_e32 vcc, 0, v10
	s_cbranch_vccnz .LBB41_67
.LBB41_80:                              ;   in Loop: Header=BB41_14 Depth=1
	s_add_i32 s52, s47, s46
	s_ashr_i32 s53, s52, 31
	s_add_i32 s55, s54, 3
	s_lshl_b64 s[10:11], s[52:53], 2
	s_add_u32 s10, s40, s10
	s_addc_u32 s11, s41, s11
	v_mov_b32_e32 v10, s55
	global_store_dword v11, v10, s[10:11]
	s_and_saveexec_b64 s[10:11], s[48:49]
	s_cbranch_execz .LBB41_82
; %bb.81:                               ;   in Loop: Header=BB41_14 Depth=1
	s_mul_i32 s52, s52, s38
	v_add_u32_e32 v10, s52, v22
	ds_read_b64 v[12:13], v21 offset:6144
	v_mad_u64_u32 v[14:15], s[52:53], v10, s38, v[6:7]
	v_mov_b32_e32 v15, v11
	v_lshlrev_b64 v[14:15], 3, v[14:15]
	v_mov_b32_e32 v10, s43
	v_add_co_u32_e32 v14, vcc, s42, v14
	v_addc_co_u32_e32 v15, vcc, v10, v15, vcc
	s_waitcnt lgkmcnt(0)
	global_store_dwordx2 v[14:15], v[12:13], off
.LBB41_82:                              ;   in Loop: Header=BB41_14 Depth=1
	s_or_b64 exec, exec, s[10:11]
	s_add_i32 s47, s47, 1
	ds_read_u8 v10, v11 offset:16388
	s_waitcnt lgkmcnt(0)
	v_cmp_eq_u32_e32 vcc, 0, v10
	s_cbranch_vccnz .LBB41_68
.LBB41_83:                              ;   in Loop: Header=BB41_14 Depth=1
	s_add_i32 s52, s47, s46
	s_ashr_i32 s53, s52, 31
	s_add_i32 s55, s54, 4
	s_lshl_b64 s[10:11], s[52:53], 2
	s_add_u32 s10, s40, s10
	s_addc_u32 s11, s41, s11
	v_mov_b32_e32 v10, s55
	global_store_dword v11, v10, s[10:11]
	s_and_saveexec_b64 s[10:11], s[48:49]
	s_cbranch_execz .LBB41_85
; %bb.84:                               ;   in Loop: Header=BB41_14 Depth=1
	s_mul_i32 s52, s52, s38
	v_add_u32_e32 v10, s52, v22
	ds_read_b64 v[12:13], v20 offset:8192
	v_mad_u64_u32 v[14:15], s[52:53], v10, s38, v[6:7]
	v_mov_b32_e32 v15, v11
	v_lshlrev_b64 v[14:15], 3, v[14:15]
	v_mov_b32_e32 v10, s43
	v_add_co_u32_e32 v14, vcc, s42, v14
	v_addc_co_u32_e32 v15, vcc, v10, v15, vcc
	s_waitcnt lgkmcnt(0)
	global_store_dwordx2 v[14:15], v[12:13], off
.LBB41_85:                              ;   in Loop: Header=BB41_14 Depth=1
	s_or_b64 exec, exec, s[10:11]
	s_add_i32 s47, s47, 1
	ds_read_u8 v10, v11 offset:16389
	s_waitcnt lgkmcnt(0)
	v_cmp_eq_u32_e32 vcc, 0, v10
	s_cbranch_vccnz .LBB41_69
.LBB41_86:                              ;   in Loop: Header=BB41_14 Depth=1
	s_add_i32 s52, s47, s46
	s_ashr_i32 s53, s52, 31
	s_add_i32 s55, s54, 5
	s_lshl_b64 s[10:11], s[52:53], 2
	s_add_u32 s10, s40, s10
	s_addc_u32 s11, s41, s11
	v_mov_b32_e32 v10, s55
	global_store_dword v11, v10, s[10:11]
	s_and_saveexec_b64 s[10:11], s[48:49]
	s_cbranch_execz .LBB41_88
; %bb.87:                               ;   in Loop: Header=BB41_14 Depth=1
	s_mul_i32 s52, s52, s38
	v_add_u32_e32 v10, s52, v22
	ds_read_b64 v[12:13], v21 offset:10240
	v_mad_u64_u32 v[14:15], s[52:53], v10, s38, v[6:7]
	v_mov_b32_e32 v15, v11
	v_lshlrev_b64 v[14:15], 3, v[14:15]
	v_mov_b32_e32 v10, s43
	v_add_co_u32_e32 v14, vcc, s42, v14
	v_addc_co_u32_e32 v15, vcc, v10, v15, vcc
	s_waitcnt lgkmcnt(0)
	global_store_dwordx2 v[14:15], v[12:13], off
.LBB41_88:                              ;   in Loop: Header=BB41_14 Depth=1
	s_or_b64 exec, exec, s[10:11]
	s_add_i32 s47, s47, 1
	ds_read_u8 v10, v11 offset:16390
	s_waitcnt lgkmcnt(0)
	v_cmp_eq_u32_e32 vcc, 0, v10
	s_cbranch_vccnz .LBB41_70
.LBB41_89:                              ;   in Loop: Header=BB41_14 Depth=1
	s_add_i32 s52, s47, s46
	s_ashr_i32 s53, s52, 31
	s_add_i32 s55, s54, 6
	s_lshl_b64 s[10:11], s[52:53], 2
	s_add_u32 s10, s40, s10
	s_addc_u32 s11, s41, s11
	v_mov_b32_e32 v10, s55
	global_store_dword v11, v10, s[10:11]
	s_and_saveexec_b64 s[10:11], s[48:49]
	s_cbranch_execz .LBB41_91
; %bb.90:                               ;   in Loop: Header=BB41_14 Depth=1
	s_mul_i32 s52, s52, s38
	v_add_u32_e32 v10, s52, v22
	ds_read_b64 v[12:13], v21 offset:12288
	v_mad_u64_u32 v[14:15], s[52:53], v10, s38, v[6:7]
	v_mov_b32_e32 v15, v11
	v_lshlrev_b64 v[14:15], 3, v[14:15]
	v_mov_b32_e32 v10, s43
	v_add_co_u32_e32 v14, vcc, s42, v14
	v_addc_co_u32_e32 v15, vcc, v10, v15, vcc
	s_waitcnt lgkmcnt(0)
	global_store_dwordx2 v[14:15], v[12:13], off
.LBB41_91:                              ;   in Loop: Header=BB41_14 Depth=1
	s_or_b64 exec, exec, s[10:11]
	s_add_i32 s47, s47, 1
	ds_read_u8 v10, v11 offset:16391
	s_waitcnt lgkmcnt(0)
	v_cmp_eq_u32_e32 vcc, 0, v10
	s_cbranch_vccnz .LBB41_13
.LBB41_92:                              ;   in Loop: Header=BB41_14 Depth=1
	s_add_i32 s52, s47, s46
	s_ashr_i32 s53, s52, 31
	s_add_i32 s54, s54, 7
	s_lshl_b64 s[10:11], s[52:53], 2
	s_add_u32 s10, s40, s10
	s_addc_u32 s11, s41, s11
	v_mov_b32_e32 v10, s54
	global_store_dword v11, v10, s[10:11]
	s_and_saveexec_b64 s[10:11], s[48:49]
	s_cbranch_execz .LBB41_12
; %bb.93:                               ;   in Loop: Header=BB41_14 Depth=1
	s_mul_i32 s52, s52, s38
	v_add_u32_e32 v10, s52, v22
	ds_read_b64 v[12:13], v21 offset:14336
	v_mad_u64_u32 v[14:15], s[52:53], v10, s38, v[6:7]
	v_mov_b32_e32 v15, v11
	v_lshlrev_b64 v[14:15], 3, v[14:15]
	v_mov_b32_e32 v10, s43
	v_add_co_u32_e32 v14, vcc, s42, v14
	v_addc_co_u32_e32 v15, vcc, v10, v15, vcc
	s_waitcnt lgkmcnt(0)
	global_store_dwordx2 v[14:15], v[12:13], off
	s_branch .LBB41_12
.LBB41_94:
	s_endpgm
	.section	.rodata,"a",@progbits
	.p2align	6, 0x0
	.amdhsa_kernel _ZN9rocsparseL31bsrgemm_block_per_row_multipassILj256ELj8ELj16EiidEEv20rocsparse_direction_T3_S2_PKS2_S4_NS_24const_host_device_scalarIT4_EEPKT2_S4_PKS6_SA_S4_SC_S7_SA_S4_SC_SA_PS2_PS6_PS8_21rocsparse_index_base_SG_SG_SG_bbb
		.amdhsa_group_segment_fixed_size 16392
		.amdhsa_private_segment_fixed_size 0
		.amdhsa_kernarg_size 172
		.amdhsa_user_sgpr_count 6
		.amdhsa_user_sgpr_private_segment_buffer 1
		.amdhsa_user_sgpr_dispatch_ptr 0
		.amdhsa_user_sgpr_queue_ptr 0
		.amdhsa_user_sgpr_kernarg_segment_ptr 1
		.amdhsa_user_sgpr_dispatch_id 0
		.amdhsa_user_sgpr_flat_scratch_init 0
		.amdhsa_user_sgpr_kernarg_preload_length 0
		.amdhsa_user_sgpr_kernarg_preload_offset 0
		.amdhsa_user_sgpr_private_segment_size 0
		.amdhsa_uses_dynamic_stack 0
		.amdhsa_system_sgpr_private_segment_wavefront_offset 0
		.amdhsa_system_sgpr_workgroup_id_x 1
		.amdhsa_system_sgpr_workgroup_id_y 0
		.amdhsa_system_sgpr_workgroup_id_z 0
		.amdhsa_system_sgpr_workgroup_info 0
		.amdhsa_system_vgpr_workitem_id 0
		.amdhsa_next_free_vgpr 35
		.amdhsa_next_free_sgpr 71
		.amdhsa_accum_offset 36
		.amdhsa_reserve_vcc 1
		.amdhsa_reserve_flat_scratch 0
		.amdhsa_float_round_mode_32 0
		.amdhsa_float_round_mode_16_64 0
		.amdhsa_float_denorm_mode_32 3
		.amdhsa_float_denorm_mode_16_64 3
		.amdhsa_dx10_clamp 1
		.amdhsa_ieee_mode 1
		.amdhsa_fp16_overflow 0
		.amdhsa_tg_split 0
		.amdhsa_exception_fp_ieee_invalid_op 0
		.amdhsa_exception_fp_denorm_src 0
		.amdhsa_exception_fp_ieee_div_zero 0
		.amdhsa_exception_fp_ieee_overflow 0
		.amdhsa_exception_fp_ieee_underflow 0
		.amdhsa_exception_fp_ieee_inexact 0
		.amdhsa_exception_int_div_zero 0
	.end_amdhsa_kernel
	.section	.text._ZN9rocsparseL31bsrgemm_block_per_row_multipassILj256ELj8ELj16EiidEEv20rocsparse_direction_T3_S2_PKS2_S4_NS_24const_host_device_scalarIT4_EEPKT2_S4_PKS6_SA_S4_SC_S7_SA_S4_SC_SA_PS2_PS6_PS8_21rocsparse_index_base_SG_SG_SG_bbb,"axG",@progbits,_ZN9rocsparseL31bsrgemm_block_per_row_multipassILj256ELj8ELj16EiidEEv20rocsparse_direction_T3_S2_PKS2_S4_NS_24const_host_device_scalarIT4_EEPKT2_S4_PKS6_SA_S4_SC_S7_SA_S4_SC_SA_PS2_PS6_PS8_21rocsparse_index_base_SG_SG_SG_bbb,comdat
.Lfunc_end41:
	.size	_ZN9rocsparseL31bsrgemm_block_per_row_multipassILj256ELj8ELj16EiidEEv20rocsparse_direction_T3_S2_PKS2_S4_NS_24const_host_device_scalarIT4_EEPKT2_S4_PKS6_SA_S4_SC_S7_SA_S4_SC_SA_PS2_PS6_PS8_21rocsparse_index_base_SG_SG_SG_bbb, .Lfunc_end41-_ZN9rocsparseL31bsrgemm_block_per_row_multipassILj256ELj8ELj16EiidEEv20rocsparse_direction_T3_S2_PKS2_S4_NS_24const_host_device_scalarIT4_EEPKT2_S4_PKS6_SA_S4_SC_S7_SA_S4_SC_SA_PS2_PS6_PS8_21rocsparse_index_base_SG_SG_SG_bbb
                                        ; -- End function
	.section	.AMDGPU.csdata,"",@progbits
; Kernel info:
; codeLenInByte = 3200
; NumSgprs: 75
; NumVgprs: 35
; NumAgprs: 0
; TotalNumVgprs: 35
; ScratchSize: 0
; MemoryBound: 0
; FloatMode: 240
; IeeeMode: 1
; LDSByteSize: 16392 bytes/workgroup (compile time only)
; SGPRBlocks: 9
; VGPRBlocks: 4
; NumSGPRsForWavesPerEU: 75
; NumVGPRsForWavesPerEU: 35
; AccumOffset: 36
; Occupancy: 3
; WaveLimiterHint : 1
; COMPUTE_PGM_RSRC2:SCRATCH_EN: 0
; COMPUTE_PGM_RSRC2:USER_SGPR: 6
; COMPUTE_PGM_RSRC2:TRAP_HANDLER: 0
; COMPUTE_PGM_RSRC2:TGID_X_EN: 1
; COMPUTE_PGM_RSRC2:TGID_Y_EN: 0
; COMPUTE_PGM_RSRC2:TGID_Z_EN: 0
; COMPUTE_PGM_RSRC2:TIDIG_COMP_CNT: 0
; COMPUTE_PGM_RSRC3_GFX90A:ACCUM_OFFSET: 8
; COMPUTE_PGM_RSRC3_GFX90A:TG_SPLIT: 0
	.section	.text._ZN9rocsparseL31bsrgemm_block_per_row_multipassILj256ELj2ELj32EiidEEv20rocsparse_direction_T3_S2_PKS2_S4_NS_24const_host_device_scalarIT4_EEPKT2_S4_PKS6_SA_S4_SC_S7_SA_S4_SC_SA_PS2_PS6_PS8_21rocsparse_index_base_SG_SG_SG_bbb,"axG",@progbits,_ZN9rocsparseL31bsrgemm_block_per_row_multipassILj256ELj2ELj32EiidEEv20rocsparse_direction_T3_S2_PKS2_S4_NS_24const_host_device_scalarIT4_EEPKT2_S4_PKS6_SA_S4_SC_S7_SA_S4_SC_SA_PS2_PS6_PS8_21rocsparse_index_base_SG_SG_SG_bbb,comdat
	.globl	_ZN9rocsparseL31bsrgemm_block_per_row_multipassILj256ELj2ELj32EiidEEv20rocsparse_direction_T3_S2_PKS2_S4_NS_24const_host_device_scalarIT4_EEPKT2_S4_PKS6_SA_S4_SC_S7_SA_S4_SC_SA_PS2_PS6_PS8_21rocsparse_index_base_SG_SG_SG_bbb ; -- Begin function _ZN9rocsparseL31bsrgemm_block_per_row_multipassILj256ELj2ELj32EiidEEv20rocsparse_direction_T3_S2_PKS2_S4_NS_24const_host_device_scalarIT4_EEPKT2_S4_PKS6_SA_S4_SC_S7_SA_S4_SC_SA_PS2_PS6_PS8_21rocsparse_index_base_SG_SG_SG_bbb
	.p2align	8
	.type	_ZN9rocsparseL31bsrgemm_block_per_row_multipassILj256ELj2ELj32EiidEEv20rocsparse_direction_T3_S2_PKS2_S4_NS_24const_host_device_scalarIT4_EEPKT2_S4_PKS6_SA_S4_SC_S7_SA_S4_SC_SA_PS2_PS6_PS8_21rocsparse_index_base_SG_SG_SG_bbb,@function
_ZN9rocsparseL31bsrgemm_block_per_row_multipassILj256ELj2ELj32EiidEEv20rocsparse_direction_T3_S2_PKS2_S4_NS_24const_host_device_scalarIT4_EEPKT2_S4_PKS6_SA_S4_SC_S7_SA_S4_SC_SA_PS2_PS6_PS8_21rocsparse_index_base_SG_SG_SG_bbb: ; @_ZN9rocsparseL31bsrgemm_block_per_row_multipassILj256ELj2ELj32EiidEEv20rocsparse_direction_T3_S2_PKS2_S4_NS_24const_host_device_scalarIT4_EEPKT2_S4_PKS6_SA_S4_SC_S7_SA_S4_SC_SA_PS2_PS6_PS8_21rocsparse_index_base_SG_SG_SG_bbb
; %bb.0:
	s_load_dword s7, s[4:5], 0xa8
	s_load_dwordx4 s[28:31], s[4:5], 0x98
	s_load_dwordx2 s[10:11], s[4:5], 0x20
	s_waitcnt lgkmcnt(0)
	s_and_b32 s0, 1, s7
	s_bitcmp1_b32 s7, 16
	s_cselect_b64 s[2:3], -1, 0
	s_cmp_eq_u32 s0, 1
	s_load_dwordx2 s[0:1], s[4:5], 0x58
	s_cselect_b64 s[8:9], -1, 0
	s_and_b64 s[12:13], s[8:9], exec
	s_cselect_b32 s13, s11, 0
	s_cselect_b32 s12, s10, 0
	s_xor_b64 s[14:15], s[8:9], -1
	s_or_b64 s[14:15], s[14:15], s[2:3]
	s_and_b64 vcc, exec, s[14:15]
	v_pk_mov_b32 v[2:3], s[12:13], s[12:13] op_sel:[0,1]
	s_cbranch_vccnz .LBB42_2
; %bb.1:
	v_pk_mov_b32 v[2:3], s[10:11], s[10:11] op_sel:[0,1]
	flat_load_dwordx2 v[2:3], v[2:3]
.LBB42_2:
	s_bitcmp1_b32 s7, 8
	s_load_dwordx2 s[10:11], s[4:5], 0x18
	s_cselect_b64 s[34:35], -1, 0
	s_and_b64 s[12:13], s[34:35], exec
	s_waitcnt lgkmcnt(0)
	s_cselect_b32 s13, s1, 0
	s_cselect_b32 s12, s0, 0
	s_xor_b64 s[14:15], s[34:35], -1
	s_or_b64 s[2:3], s[14:15], s[2:3]
	s_and_b64 vcc, exec, s[2:3]
	v_pk_mov_b32 v[4:5], s[12:13], s[12:13] op_sel:[0,1]
	s_cbranch_vccnz .LBB42_4
; %bb.3:
	v_pk_mov_b32 v[4:5], s[0:1], s[0:1] op_sel:[0,1]
	flat_load_dwordx2 v[4:5], v[4:5]
.LBB42_4:
	s_load_dwordx2 s[2:3], s[4:5], 0x28
	s_cmp_eq_u64 s[10:11], 0
	s_cbranch_scc1 .LBB42_6
; %bb.5:
	s_load_dwordx2 s[0:1], s[4:5], 0x10
	s_waitcnt lgkmcnt(0)
	s_load_dword s0, s[0:1], 0x0
	s_mov_b32 s1, 0
	s_waitcnt lgkmcnt(0)
	s_add_i32 s0, s0, s6
	s_lshl_b64 s[0:1], s[0:1], 2
	s_add_u32 s0, s10, s0
	s_addc_u32 s1, s11, s1
	s_load_dword s6, s[0:1], 0x0
.LBB42_6:
	v_cndmask_b32_e64 v1, 0, 1, s[8:9]
	s_mov_b32 s33, 0
	v_cmp_ne_u32_e64 s[0:1], 1, v1
	s_andn2_b64 vcc, exec, s[8:9]
	s_mov_b32 s74, 0
	s_cbranch_vccz .LBB42_9
; %bb.7:
	s_and_b64 vcc, exec, s[0:1]
	s_cbranch_vccz .LBB42_10
.LBB42_8:
	s_load_dwordx4 s[36:39], s[4:5], 0x0
	s_waitcnt lgkmcnt(0)
	s_cmp_lt_i32 s37, 1
	s_cbranch_scc0 .LBB42_11
	s_branch .LBB42_172
.LBB42_9:
	s_waitcnt lgkmcnt(0)
	s_ashr_i32 s7, s6, 31
	s_lshl_b64 s[10:11], s[6:7], 2
	s_add_u32 s10, s2, s10
	s_addc_u32 s11, s3, s11
	s_load_dword s7, s[10:11], 0x0
	s_waitcnt lgkmcnt(0)
	s_sub_i32 s74, s7, s28
	s_and_b64 vcc, exec, s[0:1]
	s_cbranch_vccnz .LBB42_8
.LBB42_10:
	s_waitcnt lgkmcnt(0)
	s_ashr_i32 s7, s6, 31
	s_lshl_b64 s[0:1], s[6:7], 2
	s_add_u32 s0, s2, s0
	s_addc_u32 s1, s3, s1
	s_load_dword s0, s[0:1], 0x4
	s_waitcnt lgkmcnt(0)
	s_sub_i32 s33, s0, s28
	s_load_dwordx4 s[36:39], s[4:5], 0x0
	s_waitcnt lgkmcnt(0)
	s_cmp_lt_i32 s37, 1
	s_cbranch_scc1 .LBB42_172
.LBB42_11:
	s_load_dwordx8 s[12:19], s[4:5], 0x60
	s_load_dwordx2 s[44:45], s[4:5], 0x90
	s_load_dwordx4 s[40:43], s[4:5], 0x80
	s_load_dwordx2 s[46:47], s[4:5], 0x50
	s_ashr_i32 s7, s6, 31
	s_lshl_b64 s[2:3], s[6:7], 2
	s_waitcnt lgkmcnt(0)
	s_add_u32 s0, s18, s2
	s_addc_u32 s1, s19, s3
	s_load_dword s6, s[0:1], 0x0
	s_load_dwordx8 s[20:27], s[4:5], 0x30
	v_lshrrev_b32_e32 v6, 3, v0
	v_and_b32_e32 v1, 7, v0
	v_lshlrev_b32_e32 v7, 5, v6
	s_waitcnt lgkmcnt(0)
	s_sub_i32 s18, s6, s30
	s_cmp_lt_i32 s74, s33
	s_cselect_b64 s[10:11], -1, 0
	s_cmp_lg_u32 s36, 0
	s_cselect_b64 s[48:49], -1, 0
	s_cmp_gt_i32 s38, 0
	s_cselect_b64 s[50:51], -1, 0
	s_add_u32 s12, s12, s2
	v_cmp_gt_i32_e32 vcc, s38, v6
	s_addc_u32 s13, s13, s3
	v_cmp_gt_u32_e64 s[2:3], s38, v1
	v_or_b32_e32 v20, 8, v1
	v_or_b32_e32 v8, v7, v1
	s_and_b64 s[52:53], vcc, s[2:3]
	v_cmp_gt_u32_e64 s[2:3], s38, v20
	v_or_b32_e32 v21, 16, v1
	v_lshlrev_b32_e32 v23, 3, v8
	v_or_b32_e32 v8, v7, v20
	s_mul_i32 s36, s38, s38
	s_and_b64 s[54:55], vcc, s[2:3]
	v_cmp_gt_u32_e64 s[2:3], s38, v21
	v_or_b32_e32 v22, 24, v1
	v_lshlrev_b32_e32 v24, 3, v8
	v_or_b32_e32 v8, v7, v21
	s_and_b64 s[56:57], vcc, s[2:3]
	v_cmp_gt_u32_e64 s[2:3], s38, v22
	v_lshlrev_b32_e32 v25, 3, v8
	v_or_b32_e32 v8, v7, v22
	s_and_b64 s[8:9], s[8:9], s[10:11]
	s_mul_i32 s10, s74, s36
	s_mov_b32 s60, 0
	s_and_b64 s[58:59], vcc, s[2:3]
	v_lshlrev_b32_e32 v26, 3, v8
	v_or_b32_e32 v8, 0x400, v0
	s_movk_i32 s2, 0x700
	v_add_u32_e32 v28, s10, v6
	s_mul_i32 s10, s74, s38
	v_cmp_gt_u32_e64 s[2:3], s2, v8
	s_movk_i32 s4, 0x200
	s_movk_i32 s6, 0x100
	s_add_u32 s39, s24, 4
	v_add_u32_e32 v8, s10, v6
	s_mov_b32 s61, s60
	v_cndmask_b32_e64 v10, 0, 1, s[8:9]
	s_mov_b32 s19, 2
	v_cmp_gt_u32_e64 s[0:1], 2, v0
	v_lshlrev_b32_e32 v27, 3, v0
	v_cmp_gt_u32_e64 s[4:5], s4, v0
	v_cmp_gt_u32_e64 s[6:7], s6, v0
	s_addc_u32 s75, s25, 0
	v_mul_lo_u32 v29, s38, v8
	s_sub_i32 s76, 1, s31
	v_pk_mov_b32 v[8:9], s[60:61], s[60:61] op_sel:[0,1]
	v_cmp_ne_u32_e64 s[8:9], 1, v10
	v_mov_b32_e32 v11, 0
	v_cndmask_b32_e64 v30, 0, 1, s[48:49]
	v_cndmask_b32_e64 v31, 0, 1, s[50:51]
	v_mov_b32_e32 v32, s47
	v_mov_b32_e32 v33, 1
	s_branch .LBB42_15
.LBB42_12:                              ;   in Loop: Header=BB42_15 Depth=1
	ds_read_b64 v[12:13], v26 offset:8192
	v_lshlrev_b64 v[14:15], 3, v[10:11]
	v_mov_b32_e32 v10, s43
	v_add_co_u32_e32 v14, vcc, s42, v14
	v_addc_co_u32_e32 v15, vcc, v10, v15, vcc
	s_waitcnt lgkmcnt(0)
	global_store_dwordx2 v[14:15], v[12:13], off
.LBB42_13:                              ;   in Loop: Header=BB42_15 Depth=1
	s_or_b64 exec, exec, s[60:61]
	s_add_i32 s19, s19, 1
.LBB42_14:                              ;   in Loop: Header=BB42_15 Depth=1
	s_min_i32 s60, s69, s37
	s_add_i32 s18, s19, s18
	s_add_i32 s19, s60, 2
	s_cmp_lt_i32 s69, s37
	s_barrier
	s_barrier
	s_cbranch_scc0 .LBB42_172
.LBB42_15:                              ; =>This Loop Header: Depth=1
                                        ;     Child Loop BB42_25 Depth 2
                                        ;       Child Loop BB42_30 Depth 3
                                        ;         Child Loop BB42_42 Depth 4
                                        ;         Child Loop BB42_48 Depth 4
	;; [unrolled: 1-line block ×8, first 2 shown]
                                        ;     Child Loop BB42_96 Depth 2
	s_and_saveexec_b64 s[10:11], s[0:1]
	s_cbranch_execz .LBB42_17
; %bb.16:                               ;   in Loop: Header=BB42_15 Depth=1
	ds_write_b8 v0, v11 offset:16384
.LBB42_17:                              ;   in Loop: Header=BB42_15 Depth=1
	s_or_b64 exec, exec, s[10:11]
	ds_write2st64_b64 v27, v[8:9], v[8:9] offset1:4
	ds_write2st64_b64 v27, v[8:9], v[8:9] offset0:8 offset1:12
	ds_write_b64 v27, v[8:9] offset:8192
	s_and_saveexec_b64 s[10:11], s[2:3]
	s_xor_b64 s[10:11], exec, s[10:11]
	s_cbranch_execz .LBB42_23
; %bb.18:                               ;   in Loop: Header=BB42_15 Depth=1
	v_mov_b32_e32 v10, v11
	ds_write_b64 v27, v[10:11] offset:10240
	s_and_saveexec_b64 s[62:63], s[4:5]
	s_xor_b64 s[62:63], exec, s[62:63]
	s_cbranch_execz .LBB42_22
; %bb.19:                               ;   in Loop: Header=BB42_15 Depth=1
	ds_write_b64 v27, v[10:11] offset:12288
	s_and_saveexec_b64 s[64:65], s[6:7]
	s_xor_b64 s[64:65], exec, s[64:65]
	s_cbranch_execz .LBB42_21
; %bb.20:                               ;   in Loop: Header=BB42_15 Depth=1
	v_mov_b32_e32 v10, v11
	ds_write_b64 v27, v[10:11] offset:14336
.LBB42_21:                              ;   in Loop: Header=BB42_15 Depth=1
	s_or_b64 exec, exec, s[64:65]
.LBB42_22:                              ;   in Loop: Header=BB42_15 Depth=1
	s_or_b64 exec, exec, s[62:63]
.LBB42_23:                              ;   in Loop: Header=BB42_15 Depth=1
	s_or_b64 exec, exec, s[10:11]
	s_and_b64 vcc, exec, s[8:9]
	s_mov_b32 s69, s37
	s_waitcnt lgkmcnt(0)
	s_barrier
	s_cbranch_vccnz .LBB42_90
; %bb.24:                               ;   in Loop: Header=BB42_15 Depth=1
	s_cmp_lg_u32 s60, 0
	s_cselect_b64 s[62:63], -1, 0
	v_mov_b32_e32 v12, v29
	v_mov_b32_e32 v34, v28
	s_mov_b32 s61, s37
	s_mov_b32 s64, s74
.LBB42_25:                              ;   Parent Loop BB42_15 Depth=1
                                        ; =>  This Loop Header: Depth=2
                                        ;       Child Loop BB42_30 Depth 3
                                        ;         Child Loop BB42_42 Depth 4
                                        ;         Child Loop BB42_48 Depth 4
	;; [unrolled: 1-line block ×8, first 2 shown]
	s_ashr_i32 s65, s64, 31
	s_lshl_b64 s[66:67], s[64:65], 2
	s_add_u32 s10, s20, s66
	s_addc_u32 s11, s21, s67
	s_load_dword s10, s[10:11], 0x0
	s_and_b64 vcc, exec, s[62:63]
	s_waitcnt lgkmcnt(0)
	s_sub_i32 s10, s10, s28
	s_cbranch_vccz .LBB42_89
; %bb.26:                               ;   in Loop: Header=BB42_25 Depth=2
	s_add_u32 s68, s44, s66
	s_addc_u32 s69, s45, s67
	global_load_dword v10, v11, s[68:69]
	s_ashr_i32 s11, s10, 31
	s_waitcnt vmcnt(0)
	v_readfirstlane_b32 s68, v10
	s_cbranch_execnz .LBB42_28
.LBB42_27:                              ;   in Loop: Header=BB42_25 Depth=2
	s_ashr_i32 s11, s10, 31
	s_lshl_b64 s[68:69], s[10:11], 2
	s_add_u32 s68, s24, s68
	s_addc_u32 s69, s25, s69
	s_load_dword s65, s[68:69], 0x0
	s_waitcnt lgkmcnt(0)
	s_sub_i32 s68, s65, s29
.LBB42_28:                              ;   in Loop: Header=BB42_25 Depth=2
	s_lshl_b64 s[10:11], s[10:11], 2
	s_add_u32 s10, s39, s10
	s_addc_u32 s11, s75, s11
	s_load_dword s10, s[10:11], 0x0
	s_waitcnt lgkmcnt(0)
	s_sub_i32 s65, s10, s29
	s_cmp_ge_i32 s68, s65
	s_cbranch_scc1 .LBB42_86
; %bb.29:                               ;   in Loop: Header=BB42_25 Depth=2
	v_ashrrev_i32_e32 v13, 31, v12
	v_lshlrev_b64 v[14:15], 3, v[12:13]
	v_mov_b32_e32 v10, s23
	v_add_co_u32_e32 v14, vcc, s22, v14
	s_mul_i32 s10, s38, s68
	v_addc_co_u32_e32 v15, vcc, v10, v15, vcc
	v_add_u32_e32 v10, s10, v1
	v_mul_lo_u32 v13, s38, v10
	v_add_u32_e32 v10, s10, v20
	v_mul_lo_u32 v36, s38, v10
	v_add_u32_e32 v10, s10, v21
	s_mul_i32 s11, s36, s68
	v_mul_lo_u32 v38, s38, v10
	v_add_u32_e32 v10, s10, v22
	v_add_u32_e32 v35, s11, v1
	v_add_u32_e32 v37, s11, v20
	v_add_u32_e32 v39, s11, v21
	v_mul_lo_u32 v40, s38, v10
	v_add_u32_e32 v41, s11, v22
	s_mov_b32 s77, s68
.LBB42_30:                              ;   Parent Loop BB42_15 Depth=1
                                        ;     Parent Loop BB42_25 Depth=2
                                        ; =>    This Loop Header: Depth=3
                                        ;         Child Loop BB42_42 Depth 4
                                        ;         Child Loop BB42_48 Depth 4
	;; [unrolled: 1-line block ×8, first 2 shown]
	s_ashr_i32 s69, s68, 31
	s_lshl_b64 s[10:11], s[68:69], 2
	s_add_u32 s10, s26, s10
	s_addc_u32 s11, s27, s11
	s_load_dword s10, s[10:11], 0x0
	s_mov_b64 s[70:71], -1
                                        ; implicit-def: $sgpr78
                                        ; implicit-def: $sgpr69
	s_waitcnt lgkmcnt(0)
	s_sub_i32 s79, s10, s29
	s_cmp_lt_i32 s79, s60
	s_cselect_b64 s[10:11], -1, 0
	s_cmp_ge_i32 s79, s19
	s_cselect_b64 s[72:73], -1, 0
	s_or_b64 s[10:11], s[10:11], s[72:73]
	s_and_b64 vcc, exec, s[10:11]
                                        ; implicit-def: $sgpr10_sgpr11
	s_cbranch_vccz .LBB42_34
; %bb.31:                               ;   in Loop: Header=BB42_30 Depth=3
	s_mov_b64 s[10:11], -1
	s_andn2_b64 vcc, exec, s[72:73]
	s_mov_b32 s78, s77
	s_mov_b32 s69, s61
	s_cbranch_vccnz .LBB42_33
; %bb.32:                               ;   in Loop: Header=BB42_30 Depth=3
	s_min_i32 s69, s79, s61
	s_mov_b64 s[10:11], 0
	s_mov_b32 s78, s68
.LBB42_33:                              ;   in Loop: Header=BB42_30 Depth=3
	s_mov_b64 s[70:71], 0
.LBB42_34:                              ;   in Loop: Header=BB42_30 Depth=3
	s_andn2_b64 vcc, exec, s[70:71]
	s_cbranch_vccnz .LBB42_84
; %bb.35:                               ;   in Loop: Header=BB42_30 Depth=3
	s_sub_i32 s10, s79, s60
	v_mov_b32_e32 v10, s10
	v_lshl_or_b32 v42, s10, 10, v7
	ds_write_b8 v10, v33 offset:16384
	s_and_saveexec_b64 s[10:11], s[52:53]
	s_cbranch_execnz .LBB42_39
; %bb.36:                               ;   in Loop: Header=BB42_30 Depth=3
	s_or_b64 exec, exec, s[10:11]
	s_and_saveexec_b64 s[10:11], s[54:55]
	s_cbranch_execnz .LBB42_50
.LBB42_37:                              ;   in Loop: Header=BB42_30 Depth=3
	s_or_b64 exec, exec, s[10:11]
	s_and_saveexec_b64 s[70:71], s[56:57]
	s_cbranch_execnz .LBB42_61
.LBB42_38:                              ;   in Loop: Header=BB42_30 Depth=3
	s_or_b64 exec, exec, s[70:71]
	s_and_saveexec_b64 s[70:71], s[58:59]
	s_cbranch_execnz .LBB42_72
	s_branch .LBB42_83
.LBB42_39:                              ;   in Loop: Header=BB42_30 Depth=3
	s_andn2_b64 vcc, exec, s[48:49]
	s_cbranch_vccnz .LBB42_44
; %bb.40:                               ;   in Loop: Header=BB42_30 Depth=3
	s_andn2_b64 vcc, exec, s[50:51]
	s_cbranch_vccnz .LBB42_45
; %bb.41:                               ;   in Loop: Header=BB42_30 Depth=3
	s_mov_b32 s69, 0
	v_pk_mov_b32 v[16:17], 0, 0
	v_mov_b32_e32 v18, v34
.LBB42_42:                              ;   Parent Loop BB42_15 Depth=1
                                        ;     Parent Loop BB42_25 Depth=2
                                        ;       Parent Loop BB42_30 Depth=3
                                        ; =>      This Inner Loop Header: Depth=4
	v_ashrrev_i32_e32 v19, 31, v18
	v_lshlrev_b64 v[44:45], 3, v[18:19]
	v_mov_b32_e32 v43, s23
	v_add_u32_e32 v10, s69, v13
	v_add_co_u32_e32 v44, vcc, s22, v44
	v_lshlrev_b64 v[46:47], 3, v[10:11]
	v_addc_co_u32_e32 v45, vcc, v43, v45, vcc
	v_add_co_u32_e32 v46, vcc, s46, v46
	v_addc_co_u32_e32 v47, vcc, v32, v47, vcc
	global_load_dwordx2 v[44:45], v[44:45], off
	s_nop 0
	global_load_dwordx2 v[46:47], v[46:47], off
	s_add_i32 s69, s69, 1
	v_add_u32_e32 v18, s38, v18
	s_cmp_lg_u32 s38, s69
	s_waitcnt vmcnt(0)
	v_fmac_f64_e32 v[16:17], v[44:45], v[46:47]
	s_cbranch_scc1 .LBB42_42
; %bb.43:                               ;   in Loop: Header=BB42_30 Depth=3
	s_cbranch_execz .LBB42_46
	s_branch .LBB42_49
.LBB42_44:                              ;   in Loop: Header=BB42_30 Depth=3
                                        ; implicit-def: $vgpr16_vgpr17
	s_branch .LBB42_46
.LBB42_45:                              ;   in Loop: Header=BB42_30 Depth=3
	v_pk_mov_b32 v[16:17], 0, 0
	s_cbranch_execnz .LBB42_49
.LBB42_46:                              ;   in Loop: Header=BB42_30 Depth=3
	v_pk_mov_b32 v[16:17], 0, 0
	s_andn2_b64 vcc, exec, s[50:51]
	s_cbranch_vccnz .LBB42_49
; %bb.47:                               ;   in Loop: Header=BB42_30 Depth=3
	v_pk_mov_b32 v[18:19], v[14:15], v[14:15] op_sel:[0,1]
	v_mov_b32_e32 v10, v35
	s_mov_b32 s69, s38
.LBB42_48:                              ;   Parent Loop BB42_15 Depth=1
                                        ;     Parent Loop BB42_25 Depth=2
                                        ;       Parent Loop BB42_30 Depth=3
                                        ; =>      This Inner Loop Header: Depth=4
	v_lshlrev_b64 v[46:47], 3, v[10:11]
	v_add_co_u32_e32 v46, vcc, s46, v46
	v_addc_co_u32_e32 v47, vcc, v32, v47, vcc
	global_load_dwordx2 v[44:45], v[18:19], off
	s_add_i32 s69, s69, -1
	global_load_dwordx2 v[46:47], v[46:47], off
	v_add_co_u32_e32 v18, vcc, 8, v18
	v_add_u32_e32 v10, s38, v10
	v_addc_co_u32_e32 v19, vcc, 0, v19, vcc
	s_cmp_eq_u32 s69, 0
	s_waitcnt vmcnt(0)
	v_fmac_f64_e32 v[16:17], v[44:45], v[46:47]
	s_cbranch_scc0 .LBB42_48
.LBB42_49:                              ;   in Loop: Header=BB42_30 Depth=3
	v_or_b32_e32 v10, v42, v1
	v_lshlrev_b32_e32 v10, 3, v10
	ds_read_b64 v[18:19], v10
	s_waitcnt vmcnt(0) lgkmcnt(0)
	v_fmac_f64_e32 v[18:19], v[2:3], v[16:17]
	ds_write_b64 v10, v[18:19]
	s_or_b64 exec, exec, s[10:11]
	s_and_saveexec_b64 s[10:11], s[54:55]
	s_cbranch_execz .LBB42_37
.LBB42_50:                              ;   in Loop: Header=BB42_30 Depth=3
	s_andn2_b64 vcc, exec, s[48:49]
	s_cbranch_vccnz .LBB42_54
; %bb.51:                               ;   in Loop: Header=BB42_30 Depth=3
	s_andn2_b64 vcc, exec, s[50:51]
	s_cbranch_vccnz .LBB42_55
; %bb.52:                               ;   in Loop: Header=BB42_30 Depth=3
	s_mov_b32 s69, 0
	v_pk_mov_b32 v[16:17], 0, 0
	v_mov_b32_e32 v18, v34
.LBB42_53:                              ;   Parent Loop BB42_15 Depth=1
                                        ;     Parent Loop BB42_25 Depth=2
                                        ;       Parent Loop BB42_30 Depth=3
                                        ; =>      This Inner Loop Header: Depth=4
	v_ashrrev_i32_e32 v19, 31, v18
	v_lshlrev_b64 v[44:45], 3, v[18:19]
	v_mov_b32_e32 v43, s23
	v_add_u32_e32 v10, s69, v36
	v_add_co_u32_e32 v44, vcc, s22, v44
	v_lshlrev_b64 v[46:47], 3, v[10:11]
	v_addc_co_u32_e32 v45, vcc, v43, v45, vcc
	v_add_co_u32_e32 v46, vcc, s46, v46
	v_addc_co_u32_e32 v47, vcc, v32, v47, vcc
	global_load_dwordx2 v[44:45], v[44:45], off
	s_nop 0
	global_load_dwordx2 v[46:47], v[46:47], off
	s_add_i32 s69, s69, 1
	v_add_u32_e32 v18, s38, v18
	s_cmp_eq_u32 s38, s69
	s_waitcnt vmcnt(0)
	v_fmac_f64_e32 v[16:17], v[44:45], v[46:47]
	s_cbranch_scc0 .LBB42_53
	s_branch .LBB42_56
.LBB42_54:                              ;   in Loop: Header=BB42_30 Depth=3
                                        ; implicit-def: $vgpr16_vgpr17
	s_branch .LBB42_57
.LBB42_55:                              ;   in Loop: Header=BB42_30 Depth=3
	v_pk_mov_b32 v[16:17], 0, 0
.LBB42_56:                              ;   in Loop: Header=BB42_30 Depth=3
	s_cbranch_execnz .LBB42_60
.LBB42_57:                              ;   in Loop: Header=BB42_30 Depth=3
	v_pk_mov_b32 v[16:17], 0, 0
	s_andn2_b64 vcc, exec, s[50:51]
	s_cbranch_vccnz .LBB42_60
; %bb.58:                               ;   in Loop: Header=BB42_30 Depth=3
	v_pk_mov_b32 v[18:19], v[14:15], v[14:15] op_sel:[0,1]
	v_mov_b32_e32 v10, v37
	s_mov_b32 s69, s38
.LBB42_59:                              ;   Parent Loop BB42_15 Depth=1
                                        ;     Parent Loop BB42_25 Depth=2
                                        ;       Parent Loop BB42_30 Depth=3
                                        ; =>      This Inner Loop Header: Depth=4
	v_lshlrev_b64 v[46:47], 3, v[10:11]
	v_add_co_u32_e32 v46, vcc, s46, v46
	v_addc_co_u32_e32 v47, vcc, v32, v47, vcc
	global_load_dwordx2 v[44:45], v[18:19], off
	s_add_i32 s69, s69, -1
	global_load_dwordx2 v[46:47], v[46:47], off
	v_add_co_u32_e32 v18, vcc, 8, v18
	v_add_u32_e32 v10, s38, v10
	v_addc_co_u32_e32 v19, vcc, 0, v19, vcc
	s_cmp_eq_u32 s69, 0
	s_waitcnt vmcnt(0)
	v_fmac_f64_e32 v[16:17], v[44:45], v[46:47]
	s_cbranch_scc0 .LBB42_59
.LBB42_60:                              ;   in Loop: Header=BB42_30 Depth=3
	v_add_lshl_u32 v10, v42, v1, 3
	ds_read_b64 v[18:19], v10 offset:64
	s_waitcnt vmcnt(0) lgkmcnt(0)
	v_fmac_f64_e32 v[18:19], v[2:3], v[16:17]
	ds_write_b64 v10, v[18:19] offset:64
	s_or_b64 exec, exec, s[10:11]
	s_and_saveexec_b64 s[70:71], s[56:57]
	s_cbranch_execz .LBB42_38
.LBB42_61:                              ;   in Loop: Header=BB42_30 Depth=3
	s_andn2_b64 vcc, exec, s[48:49]
	v_cmp_ne_u32_e64 s[10:11], 1, v31
	s_cbranch_vccnz .LBB42_65
; %bb.62:                               ;   in Loop: Header=BB42_30 Depth=3
	s_and_b64 vcc, exec, s[10:11]
	s_cbranch_vccnz .LBB42_66
; %bb.63:                               ;   in Loop: Header=BB42_30 Depth=3
	s_mov_b32 s69, 0
	v_pk_mov_b32 v[16:17], 0, 0
	v_mov_b32_e32 v18, v34
.LBB42_64:                              ;   Parent Loop BB42_15 Depth=1
                                        ;     Parent Loop BB42_25 Depth=2
                                        ;       Parent Loop BB42_30 Depth=3
                                        ; =>      This Inner Loop Header: Depth=4
	v_ashrrev_i32_e32 v19, 31, v18
	v_lshlrev_b64 v[44:45], 3, v[18:19]
	v_mov_b32_e32 v43, s23
	v_add_u32_e32 v10, s69, v38
	v_add_co_u32_e32 v44, vcc, s22, v44
	v_lshlrev_b64 v[46:47], 3, v[10:11]
	v_addc_co_u32_e32 v45, vcc, v43, v45, vcc
	v_add_co_u32_e32 v46, vcc, s46, v46
	v_addc_co_u32_e32 v47, vcc, v32, v47, vcc
	global_load_dwordx2 v[44:45], v[44:45], off
	s_nop 0
	global_load_dwordx2 v[46:47], v[46:47], off
	s_add_i32 s69, s69, 1
	v_add_u32_e32 v18, s38, v18
	s_cmp_eq_u32 s38, s69
	s_waitcnt vmcnt(0)
	v_fmac_f64_e32 v[16:17], v[44:45], v[46:47]
	s_cbranch_scc0 .LBB42_64
	s_branch .LBB42_67
.LBB42_65:                              ;   in Loop: Header=BB42_30 Depth=3
                                        ; implicit-def: $vgpr16_vgpr17
	s_branch .LBB42_68
.LBB42_66:                              ;   in Loop: Header=BB42_30 Depth=3
	v_pk_mov_b32 v[16:17], 0, 0
.LBB42_67:                              ;   in Loop: Header=BB42_30 Depth=3
	s_cbranch_execnz .LBB42_71
.LBB42_68:                              ;   in Loop: Header=BB42_30 Depth=3
	v_pk_mov_b32 v[16:17], 0, 0
	s_and_b64 vcc, exec, s[10:11]
	s_cbranch_vccnz .LBB42_71
; %bb.69:                               ;   in Loop: Header=BB42_30 Depth=3
	v_pk_mov_b32 v[18:19], v[14:15], v[14:15] op_sel:[0,1]
	v_mov_b32_e32 v10, v39
	s_mov_b32 s10, s38
.LBB42_70:                              ;   Parent Loop BB42_15 Depth=1
                                        ;     Parent Loop BB42_25 Depth=2
                                        ;       Parent Loop BB42_30 Depth=3
                                        ; =>      This Inner Loop Header: Depth=4
	v_lshlrev_b64 v[46:47], 3, v[10:11]
	v_add_co_u32_e32 v46, vcc, s46, v46
	v_addc_co_u32_e32 v47, vcc, v32, v47, vcc
	global_load_dwordx2 v[44:45], v[18:19], off
	s_add_i32 s10, s10, -1
	global_load_dwordx2 v[46:47], v[46:47], off
	v_add_co_u32_e32 v18, vcc, 8, v18
	v_add_u32_e32 v10, s38, v10
	v_addc_co_u32_e32 v19, vcc, 0, v19, vcc
	s_cmp_eq_u32 s10, 0
	s_waitcnt vmcnt(0)
	v_fmac_f64_e32 v[16:17], v[44:45], v[46:47]
	s_cbranch_scc0 .LBB42_70
.LBB42_71:                              ;   in Loop: Header=BB42_30 Depth=3
	v_add_lshl_u32 v10, v42, v1, 3
	ds_read_b64 v[18:19], v10 offset:128
	s_waitcnt vmcnt(0) lgkmcnt(0)
	v_fmac_f64_e32 v[18:19], v[2:3], v[16:17]
	ds_write_b64 v10, v[18:19] offset:128
	s_or_b64 exec, exec, s[70:71]
	s_and_saveexec_b64 s[70:71], s[58:59]
	s_cbranch_execz .LBB42_83
.LBB42_72:                              ;   in Loop: Header=BB42_30 Depth=3
	s_andn2_b64 vcc, exec, s[48:49]
	v_cmp_ne_u32_e64 s[10:11], 1, v31
	s_cbranch_vccnz .LBB42_76
; %bb.73:                               ;   in Loop: Header=BB42_30 Depth=3
	s_and_b64 vcc, exec, s[10:11]
	s_cbranch_vccnz .LBB42_77
; %bb.74:                               ;   in Loop: Header=BB42_30 Depth=3
	s_mov_b32 s69, 0
	v_pk_mov_b32 v[16:17], 0, 0
	v_mov_b32_e32 v18, v34
.LBB42_75:                              ;   Parent Loop BB42_15 Depth=1
                                        ;     Parent Loop BB42_25 Depth=2
                                        ;       Parent Loop BB42_30 Depth=3
                                        ; =>      This Inner Loop Header: Depth=4
	v_ashrrev_i32_e32 v19, 31, v18
	v_lshlrev_b64 v[44:45], 3, v[18:19]
	v_mov_b32_e32 v43, s23
	v_add_u32_e32 v10, s69, v40
	v_add_co_u32_e32 v44, vcc, s22, v44
	v_lshlrev_b64 v[46:47], 3, v[10:11]
	v_addc_co_u32_e32 v45, vcc, v43, v45, vcc
	v_mov_b32_e32 v48, s47
	v_add_co_u32_e32 v46, vcc, s46, v46
	v_addc_co_u32_e32 v47, vcc, v48, v47, vcc
	global_load_dwordx2 v[44:45], v[44:45], off
	s_nop 0
	global_load_dwordx2 v[46:47], v[46:47], off
	s_add_i32 s69, s69, 1
	v_add_u32_e32 v18, s38, v18
	s_cmp_eq_u32 s38, s69
	s_waitcnt vmcnt(0)
	v_fmac_f64_e32 v[16:17], v[44:45], v[46:47]
	s_cbranch_scc0 .LBB42_75
	s_branch .LBB42_78
.LBB42_76:                              ;   in Loop: Header=BB42_30 Depth=3
                                        ; implicit-def: $vgpr16_vgpr17
	s_branch .LBB42_79
.LBB42_77:                              ;   in Loop: Header=BB42_30 Depth=3
	v_pk_mov_b32 v[16:17], 0, 0
.LBB42_78:                              ;   in Loop: Header=BB42_30 Depth=3
	s_cbranch_execnz .LBB42_82
.LBB42_79:                              ;   in Loop: Header=BB42_30 Depth=3
	v_pk_mov_b32 v[16:17], 0, 0
	s_and_b64 vcc, exec, s[10:11]
	s_cbranch_vccnz .LBB42_82
; %bb.80:                               ;   in Loop: Header=BB42_30 Depth=3
	v_pk_mov_b32 v[18:19], v[14:15], v[14:15] op_sel:[0,1]
	v_mov_b32_e32 v10, v41
	s_mov_b32 s10, s38
.LBB42_81:                              ;   Parent Loop BB42_15 Depth=1
                                        ;     Parent Loop BB42_25 Depth=2
                                        ;       Parent Loop BB42_30 Depth=3
                                        ; =>      This Inner Loop Header: Depth=4
	v_lshlrev_b64 v[46:47], 3, v[10:11]
	v_mov_b32_e32 v43, s47
	v_add_co_u32_e32 v46, vcc, s46, v46
	v_addc_co_u32_e32 v47, vcc, v43, v47, vcc
	global_load_dwordx2 v[44:45], v[18:19], off
	s_add_i32 s10, s10, -1
	global_load_dwordx2 v[46:47], v[46:47], off
	v_add_co_u32_e32 v18, vcc, 8, v18
	v_add_u32_e32 v10, s38, v10
	v_addc_co_u32_e32 v19, vcc, 0, v19, vcc
	s_cmp_eq_u32 s10, 0
	s_waitcnt vmcnt(0)
	v_fmac_f64_e32 v[16:17], v[44:45], v[46:47]
	s_cbranch_scc0 .LBB42_81
.LBB42_82:                              ;   in Loop: Header=BB42_30 Depth=3
	v_add_lshl_u32 v10, v42, v1, 3
	ds_read_b64 v[18:19], v10 offset:192
	s_waitcnt vmcnt(0) lgkmcnt(0)
	v_fmac_f64_e32 v[18:19], v[2:3], v[16:17]
	ds_write_b64 v10, v[18:19] offset:192
.LBB42_83:                              ;   in Loop: Header=BB42_30 Depth=3
	s_or_b64 exec, exec, s[70:71]
	s_mov_b64 s[10:11], -1
	s_mov_b32 s78, s77
	s_mov_b32 s69, s61
	s_waitcnt lgkmcnt(0)
	s_barrier
.LBB42_84:                              ;   in Loop: Header=BB42_30 Depth=3
	s_add_i32 s68, s68, 1
	s_cmp_lt_i32 s68, s65
	s_cselect_b64 s[70:71], -1, 0
	s_and_b64 s[10:11], s[10:11], s[70:71]
	v_add_u32_e32 v13, s36, v13
	v_add_u32_e32 v35, s36, v35
	;; [unrolled: 1-line block ×8, first 2 shown]
	s_and_b64 vcc, exec, s[10:11]
	s_cbranch_vccz .LBB42_87
; %bb.85:                               ;   in Loop: Header=BB42_30 Depth=3
	s_mov_b32 s77, s78
	s_mov_b32 s61, s69
	s_branch .LBB42_30
.LBB42_86:                              ;   in Loop: Header=BB42_25 Depth=2
	s_mov_b32 s78, s68
	s_mov_b32 s69, s61
.LBB42_87:                              ;   in Loop: Header=BB42_25 Depth=2
	s_add_u32 s10, s44, s66
	s_addc_u32 s11, s45, s67
	s_add_i32 s64, s64, 1
	v_mov_b32_e32 v10, s78
	v_add_u32_e32 v34, s36, v34
	s_cmp_lt_i32 s64, s33
	v_add_u32_e32 v12, s36, v12
	global_store_dword v11, v10, s[10:11]
	s_cbranch_scc0 .LBB42_90
; %bb.88:                               ;   in Loop: Header=BB42_25 Depth=2
	s_mov_b32 s61, s69
	s_branch .LBB42_25
.LBB42_89:                              ;   in Loop: Header=BB42_25 Depth=2
                                        ; implicit-def: $sgpr68
	s_branch .LBB42_27
.LBB42_90:                              ;   in Loop: Header=BB42_15 Depth=1
	s_andn2_b64 vcc, exec, s[34:35]
	s_cbranch_vccnz .LBB42_122
; %bb.91:                               ;   in Loop: Header=BB42_15 Depth=1
	s_load_dwordx2 s[62:63], s[12:13], 0x0
	s_waitcnt lgkmcnt(0)
	s_cmp_ge_i32 s62, s63
	s_cbranch_scc1 .LBB42_122
; %bb.92:                               ;   in Loop: Header=BB42_15 Depth=1
	s_sub_i32 s10, s62, s31
	s_mul_i32 s11, s38, s10
	v_add_u32_e32 v10, s11, v1
	v_mul_lo_u32 v12, s38, v10
	v_add_u32_e32 v10, s11, v20
	v_mul_lo_u32 v13, s38, v10
	;; [unrolled: 2-line block ×3, first 2 shown]
	v_add_u32_e32 v10, s11, v22
	s_ashr_i32 s11, s10, 31
	s_sub_i32 s61, s63, s31
	s_add_i32 s68, s76, s62
	s_lshl_b64 s[62:63], s[10:11], 2
	s_add_u32 s62, s14, s62
	v_mul_lo_u32 v15, s38, v10
	s_addc_u32 s63, s15, s63
	v_mov_b32_e32 v16, v6
	s_branch .LBB42_96
.LBB42_93:                              ;   in Loop: Header=BB42_96 Depth=2
	v_lshlrev_b64 v[18:19], 3, v[10:11]
	v_mov_b32_e32 v10, s17
	v_add_co_u32_e32 v18, vcc, s16, v18
	v_addc_co_u32_e32 v19, vcc, v10, v19, vcc
	global_load_dwordx2 v[18:19], v[18:19], off
	v_add_lshl_u32 v10, v17, v1, 3
	ds_read_b64 v[34:35], v10 offset:192
	s_waitcnt vmcnt(0) lgkmcnt(0)
	v_fmac_f64_e32 v[34:35], v[4:5], v[18:19]
	ds_write_b64 v10, v[34:35] offset:192
.LBB42_94:                              ;   in Loop: Header=BB42_96 Depth=2
	s_or_b64 exec, exec, s[64:65]
	s_mov_b64 s[64:65], -1
	s_mov_b32 s11, s69
	s_waitcnt lgkmcnt(0)
	s_barrier
.LBB42_95:                              ;   in Loop: Header=BB42_96 Depth=2
	s_add_i32 s10, s10, 1
	s_cmp_lt_i32 s68, s61
	s_cselect_b64 s[66:67], -1, 0
	s_and_b64 s[64:65], s[64:65], s[66:67]
	s_add_i32 s68, s68, 1
	s_add_u32 s62, s62, 4
	v_add_u32_e32 v16, s36, v16
	s_addc_u32 s63, s63, 0
	s_mov_b32 s69, s11
	s_and_b64 vcc, exec, s[64:65]
	s_cbranch_vccz .LBB42_122
.LBB42_96:                              ;   Parent Loop BB42_15 Depth=1
                                        ; =>  This Inner Loop Header: Depth=2
	s_load_dword s11, s[62:63], 0x0
	s_waitcnt lgkmcnt(0)
	s_sub_i32 s70, s11, s31
	s_cmp_lt_i32 s70, s60
	s_cselect_b64 s[66:67], -1, 0
	s_cmp_lt_i32 s70, s19
	s_cselect_b64 s[64:65], -1, 0
	s_cmp_ge_i32 s70, s19
	s_cselect_b64 s[72:73], -1, 0
	s_or_b64 s[72:73], s[66:67], s[72:73]
	s_mov_b64 s[66:67], -1
	s_and_b64 vcc, exec, s[72:73]
                                        ; implicit-def: $sgpr11
	s_cbranch_vccz .LBB42_98
; %bb.97:                               ;   in Loop: Header=BB42_96 Depth=2
	s_min_i32 s11, s70, s69
	s_and_b64 s[66:67], s[64:65], exec
	s_cselect_b32 s11, s69, s11
	s_mov_b64 s[66:67], 0
.LBB42_98:                              ;   in Loop: Header=BB42_96 Depth=2
	s_andn2_b64 vcc, exec, s[66:67]
	s_cbranch_vccnz .LBB42_95
; %bb.99:                               ;   in Loop: Header=BB42_96 Depth=2
	s_sub_i32 s11, s70, s60
	v_mov_b32_e32 v10, s11
	s_mul_i32 s64, s10, s38
	ds_write_b8 v10, v33 offset:16384
	v_add_u32_e32 v10, s64, v6
	v_mul_lo_u32 v18, v10, s38
	v_lshl_or_b32 v17, s11, 10, v7
	s_and_saveexec_b64 s[64:65], s[52:53]
	s_cbranch_execnz .LBB42_103
; %bb.100:                              ;   in Loop: Header=BB42_96 Depth=2
	s_or_b64 exec, exec, s[64:65]
	s_and_saveexec_b64 s[64:65], s[54:55]
	s_cbranch_execnz .LBB42_107
.LBB42_101:                             ;   in Loop: Header=BB42_96 Depth=2
	s_or_b64 exec, exec, s[64:65]
	s_and_saveexec_b64 s[64:65], s[56:57]
	s_cbranch_execnz .LBB42_111
.LBB42_102:                             ;   in Loop: Header=BB42_96 Depth=2
	s_or_b64 exec, exec, s[64:65]
	s_and_saveexec_b64 s[64:65], s[58:59]
	s_cbranch_execz .LBB42_94
	s_branch .LBB42_115
.LBB42_103:                             ;   in Loop: Header=BB42_96 Depth=2
	s_and_b64 vcc, exec, s[48:49]
	s_cbranch_vccz .LBB42_117
; %bb.104:                              ;   in Loop: Header=BB42_96 Depth=2
	v_add_u32_e32 v10, v12, v16
	s_cbranch_execnz .LBB42_106
.LBB42_105:                             ;   in Loop: Header=BB42_96 Depth=2
	v_add_u32_e32 v10, v18, v1
.LBB42_106:                             ;   in Loop: Header=BB42_96 Depth=2
	v_lshlrev_b64 v[34:35], 3, v[10:11]
	v_mov_b32_e32 v10, s17
	v_add_co_u32_e32 v34, vcc, s16, v34
	v_addc_co_u32_e32 v35, vcc, v10, v35, vcc
	global_load_dwordx2 v[34:35], v[34:35], off
	v_or_b32_e32 v10, v17, v1
	v_lshlrev_b32_e32 v10, 3, v10
	ds_read_b64 v[36:37], v10
	s_waitcnt vmcnt(0) lgkmcnt(0)
	v_fmac_f64_e32 v[36:37], v[4:5], v[34:35]
	ds_write_b64 v10, v[36:37]
	s_or_b64 exec, exec, s[64:65]
	s_and_saveexec_b64 s[64:65], s[54:55]
	s_cbranch_execz .LBB42_101
.LBB42_107:                             ;   in Loop: Header=BB42_96 Depth=2
	s_andn2_b64 vcc, exec, s[48:49]
	s_cbranch_vccnz .LBB42_118
; %bb.108:                              ;   in Loop: Header=BB42_96 Depth=2
	v_add_u32_e32 v10, v13, v16
	s_cbranch_execnz .LBB42_110
.LBB42_109:                             ;   in Loop: Header=BB42_96 Depth=2
	v_add_u32_e32 v10, v18, v20
.LBB42_110:                             ;   in Loop: Header=BB42_96 Depth=2
	v_lshlrev_b64 v[34:35], 3, v[10:11]
	v_mov_b32_e32 v10, s17
	v_add_co_u32_e32 v34, vcc, s16, v34
	v_addc_co_u32_e32 v35, vcc, v10, v35, vcc
	global_load_dwordx2 v[34:35], v[34:35], off
	v_add_lshl_u32 v10, v17, v1, 3
	ds_read_b64 v[36:37], v10 offset:64
	s_waitcnt vmcnt(0) lgkmcnt(0)
	v_fmac_f64_e32 v[36:37], v[4:5], v[34:35]
	ds_write_b64 v10, v[36:37] offset:64
	s_or_b64 exec, exec, s[64:65]
	s_and_saveexec_b64 s[64:65], s[56:57]
	s_cbranch_execz .LBB42_102
.LBB42_111:                             ;   in Loop: Header=BB42_96 Depth=2
	s_andn2_b64 vcc, exec, s[48:49]
	s_cbranch_vccnz .LBB42_119
; %bb.112:                              ;   in Loop: Header=BB42_96 Depth=2
	v_add_u32_e32 v10, v14, v16
	s_cbranch_execnz .LBB42_114
.LBB42_113:                             ;   in Loop: Header=BB42_96 Depth=2
	v_add_u32_e32 v10, v18, v21
.LBB42_114:                             ;   in Loop: Header=BB42_96 Depth=2
	v_lshlrev_b64 v[34:35], 3, v[10:11]
	v_mov_b32_e32 v10, s17
	v_add_co_u32_e32 v34, vcc, s16, v34
	v_addc_co_u32_e32 v35, vcc, v10, v35, vcc
	global_load_dwordx2 v[34:35], v[34:35], off
	v_add_lshl_u32 v10, v17, v1, 3
	ds_read_b64 v[36:37], v10 offset:128
	s_waitcnt vmcnt(0) lgkmcnt(0)
	v_fmac_f64_e32 v[36:37], v[4:5], v[34:35]
	ds_write_b64 v10, v[36:37] offset:128
	s_or_b64 exec, exec, s[64:65]
	s_and_saveexec_b64 s[64:65], s[58:59]
	s_cbranch_execz .LBB42_94
.LBB42_115:                             ;   in Loop: Header=BB42_96 Depth=2
	s_andn2_b64 vcc, exec, s[48:49]
	s_cbranch_vccnz .LBB42_120
; %bb.116:                              ;   in Loop: Header=BB42_96 Depth=2
	v_add_u32_e32 v10, v15, v16
	s_cbranch_execnz .LBB42_93
	s_branch .LBB42_121
.LBB42_117:                             ;   in Loop: Header=BB42_96 Depth=2
	s_branch .LBB42_105
.LBB42_118:                             ;   in Loop: Header=BB42_96 Depth=2
	s_branch .LBB42_109
.LBB42_119:                             ;   in Loop: Header=BB42_96 Depth=2
	s_branch .LBB42_113
.LBB42_120:                             ;   in Loop: Header=BB42_96 Depth=2
.LBB42_121:                             ;   in Loop: Header=BB42_96 Depth=2
	v_add_u32_e32 v10, v18, v22
	s_branch .LBB42_93
.LBB42_122:                             ;   in Loop: Header=BB42_15 Depth=1
	s_barrier
	ds_read_u8 v10, v11 offset:16384
	s_add_i32 s62, s60, s30
	s_mov_b32 s19, 0
	s_waitcnt lgkmcnt(0)
	v_cmp_eq_u32_e32 vcc, 0, v10
	s_cbranch_vccnz .LBB42_144
; %bb.123:                              ;   in Loop: Header=BB42_15 Depth=1
	s_ashr_i32 s19, s18, 31
	s_lshl_b64 s[10:11], s[18:19], 2
	s_add_u32 s10, s40, s10
	s_addc_u32 s11, s41, s11
	v_mov_b32_e32 v10, s62
	s_mul_i32 s19, s18, s38
	global_store_dword v11, v10, s[10:11]
	v_add_u32_e32 v10, s19, v6
	v_mul_lo_u32 v12, v10, s38
	s_and_saveexec_b64 s[10:11], s[52:53]
	s_cbranch_execnz .LBB42_127
; %bb.124:                              ;   in Loop: Header=BB42_15 Depth=1
	s_or_b64 exec, exec, s[10:11]
	s_and_saveexec_b64 s[10:11], s[54:55]
	s_cbranch_execnz .LBB42_131
.LBB42_125:                             ;   in Loop: Header=BB42_15 Depth=1
	s_or_b64 exec, exec, s[10:11]
	s_and_saveexec_b64 s[10:11], s[56:57]
	s_cbranch_execnz .LBB42_135
.LBB42_126:                             ;   in Loop: Header=BB42_15 Depth=1
	s_or_b64 exec, exec, s[10:11]
	s_and_saveexec_b64 s[10:11], s[58:59]
	s_cbranch_execnz .LBB42_139
	s_branch .LBB42_143
.LBB42_127:                             ;   in Loop: Header=BB42_15 Depth=1
	s_and_b64 vcc, exec, s[48:49]
	s_cbranch_vccz .LBB42_163
; %bb.128:                              ;   in Loop: Header=BB42_15 Depth=1
	v_add_u32_e32 v10, s19, v1
	v_mad_u64_u32 v[14:15], s[60:61], v10, s38, v[6:7]
	v_mov_b32_e32 v10, v14
	s_cbranch_execnz .LBB42_130
.LBB42_129:                             ;   in Loop: Header=BB42_15 Depth=1
	v_add_u32_e32 v10, v12, v1
.LBB42_130:                             ;   in Loop: Header=BB42_15 Depth=1
	ds_read_b64 v[14:15], v23
	v_lshlrev_b64 v[16:17], 3, v[10:11]
	v_mov_b32_e32 v10, s43
	v_add_co_u32_e32 v16, vcc, s42, v16
	v_addc_co_u32_e32 v17, vcc, v10, v17, vcc
	s_waitcnt lgkmcnt(0)
	global_store_dwordx2 v[16:17], v[14:15], off
	s_or_b64 exec, exec, s[10:11]
	s_and_saveexec_b64 s[10:11], s[54:55]
	s_cbranch_execz .LBB42_125
.LBB42_131:                             ;   in Loop: Header=BB42_15 Depth=1
	s_andn2_b64 vcc, exec, s[48:49]
	s_cbranch_vccnz .LBB42_164
; %bb.132:                              ;   in Loop: Header=BB42_15 Depth=1
	v_add_u32_e32 v10, s19, v20
	v_mad_u64_u32 v[14:15], s[60:61], v10, s38, v[6:7]
	v_mov_b32_e32 v10, v14
	s_cbranch_execnz .LBB42_134
.LBB42_133:                             ;   in Loop: Header=BB42_15 Depth=1
	v_add_u32_e32 v10, v12, v20
.LBB42_134:                             ;   in Loop: Header=BB42_15 Depth=1
	ds_read_b64 v[14:15], v23 offset:64
	v_lshlrev_b64 v[16:17], 3, v[10:11]
	v_mov_b32_e32 v10, s43
	v_add_co_u32_e32 v16, vcc, s42, v16
	v_addc_co_u32_e32 v17, vcc, v10, v17, vcc
	s_waitcnt lgkmcnt(0)
	global_store_dwordx2 v[16:17], v[14:15], off
	s_or_b64 exec, exec, s[10:11]
	s_and_saveexec_b64 s[10:11], s[56:57]
	s_cbranch_execz .LBB42_126
.LBB42_135:                             ;   in Loop: Header=BB42_15 Depth=1
	s_andn2_b64 vcc, exec, s[48:49]
	s_cbranch_vccnz .LBB42_165
; %bb.136:                              ;   in Loop: Header=BB42_15 Depth=1
	v_add_u32_e32 v10, s19, v21
	v_mad_u64_u32 v[14:15], s[60:61], v10, s38, v[6:7]
	v_mov_b32_e32 v10, v14
	s_cbranch_execnz .LBB42_138
.LBB42_137:                             ;   in Loop: Header=BB42_15 Depth=1
	v_add_u32_e32 v10, v12, v21
.LBB42_138:                             ;   in Loop: Header=BB42_15 Depth=1
	ds_read_b64 v[14:15], v23 offset:128
	v_lshlrev_b64 v[16:17], 3, v[10:11]
	v_mov_b32_e32 v10, s43
	v_add_co_u32_e32 v16, vcc, s42, v16
	v_addc_co_u32_e32 v17, vcc, v10, v17, vcc
	s_waitcnt lgkmcnt(0)
	global_store_dwordx2 v[16:17], v[14:15], off
	s_or_b64 exec, exec, s[10:11]
	s_and_saveexec_b64 s[10:11], s[58:59]
	s_cbranch_execz .LBB42_143
.LBB42_139:                             ;   in Loop: Header=BB42_15 Depth=1
	s_andn2_b64 vcc, exec, s[48:49]
	s_cbranch_vccnz .LBB42_166
; %bb.140:                              ;   in Loop: Header=BB42_15 Depth=1
	v_add_u32_e32 v10, s19, v22
	v_mad_u64_u32 v[14:15], s[60:61], v10, s38, v[6:7]
	v_mov_b32_e32 v10, v14
	s_cbranch_execnz .LBB42_142
.LBB42_141:                             ;   in Loop: Header=BB42_15 Depth=1
	v_add_u32_e32 v10, v12, v22
.LBB42_142:                             ;   in Loop: Header=BB42_15 Depth=1
	ds_read_b64 v[12:13], v23 offset:192
	v_lshlrev_b64 v[14:15], 3, v[10:11]
	v_mov_b32_e32 v10, s43
	v_add_co_u32_e32 v14, vcc, s42, v14
	v_addc_co_u32_e32 v15, vcc, v10, v15, vcc
	s_waitcnt lgkmcnt(0)
	global_store_dwordx2 v[14:15], v[12:13], off
.LBB42_143:                             ;   in Loop: Header=BB42_15 Depth=1
	s_or_b64 exec, exec, s[10:11]
	s_mov_b32 s19, 1
.LBB42_144:                             ;   in Loop: Header=BB42_15 Depth=1
	ds_read_u8 v10, v11 offset:16385
	s_waitcnt lgkmcnt(0)
	v_cmp_eq_u32_e32 vcc, 0, v10
	s_cbranch_vccnz .LBB42_14
; %bb.145:                              ;   in Loop: Header=BB42_15 Depth=1
	s_add_i32 s10, s19, s18
	s_ashr_i32 s11, s10, 31
	s_add_i32 s62, s62, 1
	s_lshl_b64 s[60:61], s[10:11], 2
	s_add_u32 s60, s40, s60
	s_addc_u32 s61, s41, s61
	v_mov_b32_e32 v10, s62
	s_mul_i32 s64, s10, s38
	global_store_dword v11, v10, s[60:61]
	v_add_u32_e32 v10, s64, v6
	v_mul_lo_u32 v12, v10, s38
	v_cmp_ne_u32_e64 s[10:11], 1, v30
	s_and_saveexec_b64 s[60:61], s[52:53]
	s_cbranch_execnz .LBB42_149
; %bb.146:                              ;   in Loop: Header=BB42_15 Depth=1
	s_or_b64 exec, exec, s[60:61]
	s_and_saveexec_b64 s[60:61], s[54:55]
	s_cbranch_execnz .LBB42_153
.LBB42_147:                             ;   in Loop: Header=BB42_15 Depth=1
	s_or_b64 exec, exec, s[60:61]
	s_and_saveexec_b64 s[60:61], s[56:57]
	s_cbranch_execnz .LBB42_157
.LBB42_148:                             ;   in Loop: Header=BB42_15 Depth=1
	s_or_b64 exec, exec, s[60:61]
	s_and_saveexec_b64 s[60:61], s[58:59]
	s_cbranch_execz .LBB42_13
	s_branch .LBB42_161
.LBB42_149:                             ;   in Loop: Header=BB42_15 Depth=1
	s_and_b64 vcc, exec, s[10:11]
	s_cbranch_vccnz .LBB42_167
; %bb.150:                              ;   in Loop: Header=BB42_15 Depth=1
	v_add_u32_e32 v10, s64, v1
	v_mad_u64_u32 v[14:15], s[62:63], v10, s38, v[6:7]
	v_mov_b32_e32 v10, v14
	s_cbranch_execnz .LBB42_152
.LBB42_151:                             ;   in Loop: Header=BB42_15 Depth=1
	v_add_u32_e32 v10, v12, v1
.LBB42_152:                             ;   in Loop: Header=BB42_15 Depth=1
	ds_read_b64 v[14:15], v23 offset:8192
	v_lshlrev_b64 v[16:17], 3, v[10:11]
	v_mov_b32_e32 v10, s43
	v_add_co_u32_e32 v16, vcc, s42, v16
	v_addc_co_u32_e32 v17, vcc, v10, v17, vcc
	s_waitcnt lgkmcnt(0)
	global_store_dwordx2 v[16:17], v[14:15], off
	s_or_b64 exec, exec, s[60:61]
	s_and_saveexec_b64 s[60:61], s[54:55]
	s_cbranch_execz .LBB42_147
.LBB42_153:                             ;   in Loop: Header=BB42_15 Depth=1
	s_and_b64 vcc, exec, s[10:11]
	s_cbranch_vccnz .LBB42_168
; %bb.154:                              ;   in Loop: Header=BB42_15 Depth=1
	v_add_u32_e32 v10, s64, v20
	v_mad_u64_u32 v[14:15], s[62:63], v10, s38, v[6:7]
	v_mov_b32_e32 v10, v14
	s_cbranch_execnz .LBB42_156
.LBB42_155:                             ;   in Loop: Header=BB42_15 Depth=1
	v_add_u32_e32 v10, v12, v20
.LBB42_156:                             ;   in Loop: Header=BB42_15 Depth=1
	ds_read_b64 v[14:15], v24 offset:8192
	v_lshlrev_b64 v[16:17], 3, v[10:11]
	v_mov_b32_e32 v10, s43
	v_add_co_u32_e32 v16, vcc, s42, v16
	v_addc_co_u32_e32 v17, vcc, v10, v17, vcc
	s_waitcnt lgkmcnt(0)
	global_store_dwordx2 v[16:17], v[14:15], off
	s_or_b64 exec, exec, s[60:61]
	s_and_saveexec_b64 s[60:61], s[56:57]
	s_cbranch_execz .LBB42_148
.LBB42_157:                             ;   in Loop: Header=BB42_15 Depth=1
	s_and_b64 vcc, exec, s[10:11]
	s_cbranch_vccnz .LBB42_169
; %bb.158:                              ;   in Loop: Header=BB42_15 Depth=1
	v_add_u32_e32 v10, s64, v21
	v_mad_u64_u32 v[14:15], s[62:63], v10, s38, v[6:7]
	v_mov_b32_e32 v10, v14
	s_cbranch_execnz .LBB42_160
.LBB42_159:                             ;   in Loop: Header=BB42_15 Depth=1
	v_add_u32_e32 v10, v12, v21
.LBB42_160:                             ;   in Loop: Header=BB42_15 Depth=1
	ds_read_b64 v[14:15], v25 offset:8192
	v_lshlrev_b64 v[16:17], 3, v[10:11]
	v_mov_b32_e32 v10, s43
	v_add_co_u32_e32 v16, vcc, s42, v16
	v_addc_co_u32_e32 v17, vcc, v10, v17, vcc
	s_waitcnt lgkmcnt(0)
	global_store_dwordx2 v[16:17], v[14:15], off
	s_or_b64 exec, exec, s[60:61]
	s_and_saveexec_b64 s[60:61], s[58:59]
	s_cbranch_execz .LBB42_13
.LBB42_161:                             ;   in Loop: Header=BB42_15 Depth=1
	s_and_b64 vcc, exec, s[10:11]
	s_cbranch_vccnz .LBB42_170
; %bb.162:                              ;   in Loop: Header=BB42_15 Depth=1
	v_add_u32_e32 v10, s64, v22
	v_mad_u64_u32 v[14:15], s[10:11], v10, s38, v[6:7]
	v_mov_b32_e32 v10, v14
	s_cbranch_execnz .LBB42_12
	s_branch .LBB42_171
.LBB42_163:                             ;   in Loop: Header=BB42_15 Depth=1
	s_branch .LBB42_129
.LBB42_164:                             ;   in Loop: Header=BB42_15 Depth=1
	s_branch .LBB42_133
.LBB42_165:                             ;   in Loop: Header=BB42_15 Depth=1
	s_branch .LBB42_137
.LBB42_166:                             ;   in Loop: Header=BB42_15 Depth=1
	s_branch .LBB42_141
.LBB42_167:                             ;   in Loop: Header=BB42_15 Depth=1
	s_branch .LBB42_151
.LBB42_168:                             ;   in Loop: Header=BB42_15 Depth=1
	s_branch .LBB42_155
.LBB42_169:                             ;   in Loop: Header=BB42_15 Depth=1
	s_branch .LBB42_159
.LBB42_170:                             ;   in Loop: Header=BB42_15 Depth=1
.LBB42_171:                             ;   in Loop: Header=BB42_15 Depth=1
	v_add_u32_e32 v10, v12, v22
	s_branch .LBB42_12
.LBB42_172:
	s_endpgm
	.section	.rodata,"a",@progbits
	.p2align	6, 0x0
	.amdhsa_kernel _ZN9rocsparseL31bsrgemm_block_per_row_multipassILj256ELj2ELj32EiidEEv20rocsparse_direction_T3_S2_PKS2_S4_NS_24const_host_device_scalarIT4_EEPKT2_S4_PKS6_SA_S4_SC_S7_SA_S4_SC_SA_PS2_PS6_PS8_21rocsparse_index_base_SG_SG_SG_bbb
		.amdhsa_group_segment_fixed_size 16392
		.amdhsa_private_segment_fixed_size 0
		.amdhsa_kernarg_size 172
		.amdhsa_user_sgpr_count 6
		.amdhsa_user_sgpr_private_segment_buffer 1
		.amdhsa_user_sgpr_dispatch_ptr 0
		.amdhsa_user_sgpr_queue_ptr 0
		.amdhsa_user_sgpr_kernarg_segment_ptr 1
		.amdhsa_user_sgpr_dispatch_id 0
		.amdhsa_user_sgpr_flat_scratch_init 0
		.amdhsa_user_sgpr_kernarg_preload_length 0
		.amdhsa_user_sgpr_kernarg_preload_offset 0
		.amdhsa_user_sgpr_private_segment_size 0
		.amdhsa_uses_dynamic_stack 0
		.amdhsa_system_sgpr_private_segment_wavefront_offset 0
		.amdhsa_system_sgpr_workgroup_id_x 1
		.amdhsa_system_sgpr_workgroup_id_y 0
		.amdhsa_system_sgpr_workgroup_id_z 0
		.amdhsa_system_sgpr_workgroup_info 0
		.amdhsa_system_vgpr_workitem_id 0
		.amdhsa_next_free_vgpr 49
		.amdhsa_next_free_sgpr 80
		.amdhsa_accum_offset 52
		.amdhsa_reserve_vcc 1
		.amdhsa_reserve_flat_scratch 0
		.amdhsa_float_round_mode_32 0
		.amdhsa_float_round_mode_16_64 0
		.amdhsa_float_denorm_mode_32 3
		.amdhsa_float_denorm_mode_16_64 3
		.amdhsa_dx10_clamp 1
		.amdhsa_ieee_mode 1
		.amdhsa_fp16_overflow 0
		.amdhsa_tg_split 0
		.amdhsa_exception_fp_ieee_invalid_op 0
		.amdhsa_exception_fp_denorm_src 0
		.amdhsa_exception_fp_ieee_div_zero 0
		.amdhsa_exception_fp_ieee_overflow 0
		.amdhsa_exception_fp_ieee_underflow 0
		.amdhsa_exception_fp_ieee_inexact 0
		.amdhsa_exception_int_div_zero 0
	.end_amdhsa_kernel
	.section	.text._ZN9rocsparseL31bsrgemm_block_per_row_multipassILj256ELj2ELj32EiidEEv20rocsparse_direction_T3_S2_PKS2_S4_NS_24const_host_device_scalarIT4_EEPKT2_S4_PKS6_SA_S4_SC_S7_SA_S4_SC_SA_PS2_PS6_PS8_21rocsparse_index_base_SG_SG_SG_bbb,"axG",@progbits,_ZN9rocsparseL31bsrgemm_block_per_row_multipassILj256ELj2ELj32EiidEEv20rocsparse_direction_T3_S2_PKS2_S4_NS_24const_host_device_scalarIT4_EEPKT2_S4_PKS6_SA_S4_SC_S7_SA_S4_SC_SA_PS2_PS6_PS8_21rocsparse_index_base_SG_SG_SG_bbb,comdat
.Lfunc_end42:
	.size	_ZN9rocsparseL31bsrgemm_block_per_row_multipassILj256ELj2ELj32EiidEEv20rocsparse_direction_T3_S2_PKS2_S4_NS_24const_host_device_scalarIT4_EEPKT2_S4_PKS6_SA_S4_SC_S7_SA_S4_SC_SA_PS2_PS6_PS8_21rocsparse_index_base_SG_SG_SG_bbb, .Lfunc_end42-_ZN9rocsparseL31bsrgemm_block_per_row_multipassILj256ELj2ELj32EiidEEv20rocsparse_direction_T3_S2_PKS2_S4_NS_24const_host_device_scalarIT4_EEPKT2_S4_PKS6_SA_S4_SC_S7_SA_S4_SC_SA_PS2_PS6_PS8_21rocsparse_index_base_SG_SG_SG_bbb
                                        ; -- End function
	.section	.AMDGPU.csdata,"",@progbits
; Kernel info:
; codeLenInByte = 4380
; NumSgprs: 84
; NumVgprs: 49
; NumAgprs: 0
; TotalNumVgprs: 49
; ScratchSize: 0
; MemoryBound: 0
; FloatMode: 240
; IeeeMode: 1
; LDSByteSize: 16392 bytes/workgroup (compile time only)
; SGPRBlocks: 10
; VGPRBlocks: 6
; NumSGPRsForWavesPerEU: 84
; NumVGPRsForWavesPerEU: 49
; AccumOffset: 52
; Occupancy: 3
; WaveLimiterHint : 1
; COMPUTE_PGM_RSRC2:SCRATCH_EN: 0
; COMPUTE_PGM_RSRC2:USER_SGPR: 6
; COMPUTE_PGM_RSRC2:TRAP_HANDLER: 0
; COMPUTE_PGM_RSRC2:TGID_X_EN: 1
; COMPUTE_PGM_RSRC2:TGID_Y_EN: 0
; COMPUTE_PGM_RSRC2:TGID_Z_EN: 0
; COMPUTE_PGM_RSRC2:TIDIG_COMP_CNT: 0
; COMPUTE_PGM_RSRC3_GFX90A:ACCUM_OFFSET: 12
; COMPUTE_PGM_RSRC3_GFX90A:TG_SPLIT: 0
	.section	.text._ZN9rocsparseL26bsrgemm_group_reduce_part2ILj256ELj8ELj2E21rocsparse_complex_numIfEiiEEvT4_PKT3_PS3_Pi,"axG",@progbits,_ZN9rocsparseL26bsrgemm_group_reduce_part2ILj256ELj8ELj2E21rocsparse_complex_numIfEiiEEvT4_PKT3_PS3_Pi,comdat
	.globl	_ZN9rocsparseL26bsrgemm_group_reduce_part2ILj256ELj8ELj2E21rocsparse_complex_numIfEiiEEvT4_PKT3_PS3_Pi ; -- Begin function _ZN9rocsparseL26bsrgemm_group_reduce_part2ILj256ELj8ELj2E21rocsparse_complex_numIfEiiEEvT4_PKT3_PS3_Pi
	.p2align	8
	.type	_ZN9rocsparseL26bsrgemm_group_reduce_part2ILj256ELj8ELj2E21rocsparse_complex_numIfEiiEEvT4_PKT3_PS3_Pi,@function
_ZN9rocsparseL26bsrgemm_group_reduce_part2ILj256ELj8ELj2E21rocsparse_complex_numIfEiiEEvT4_PKT3_PS3_Pi: ; @_ZN9rocsparseL26bsrgemm_group_reduce_part2ILj256ELj8ELj2E21rocsparse_complex_numIfEiiEEvT4_PKT3_PS3_Pi
; %bb.0:
	s_mov_b32 s8, 0
	s_load_dword s7, s[4:5], 0x0
	s_load_dwordx2 s[2:3], s[4:5], 0x10
	s_mov_b32 s9, s8
	s_mov_b32 s10, s8
	s_mov_b32 s11, s8
	v_pk_mov_b32 v[2:3], s[8:9], s[8:9] op_sel:[0,1]
	v_lshlrev_b32_e32 v1, 5, v0
	v_pk_mov_b32 v[4:5], s[10:11], s[10:11] op_sel:[0,1]
	ds_write_b128 v1, v[2:5]
	ds_write_b128 v1, v[2:5] offset:16
	v_lshl_or_b32 v2, s6, 8, v0
	s_waitcnt lgkmcnt(0)
	v_cmp_gt_i32_e32 vcc, s7, v2
	s_and_saveexec_b64 s[8:9], vcc
	s_cbranch_execz .LBB43_31
; %bb.1:
	s_load_dword s0, s[4:5], 0x20
	s_load_dwordx2 s[10:11], s[4:5], 0x8
	s_load_dwordx2 s[12:13], s[4:5], 0x18
	s_mov_b64 s[4:5], 0
	s_movk_i32 s27, 0x100
	s_waitcnt lgkmcnt(0)
	s_lshl_b32 s26, s0, 8
	v_mov_b32_e32 v6, s11
	s_movk_i32 s11, 0x80
	s_movk_i32 s28, 0x200
	v_mov_b32_e32 v7, 7
	v_mov_b32_e32 v8, 6
	v_mov_b32_e32 v9, 5
	v_mov_b32_e32 v10, 4
	v_mov_b32_e32 v11, 3
	v_mov_b32_e32 v12, 2
	v_mov_b32_e32 v13, 1
	v_mov_b32_e32 v14, 0
	s_branch .LBB43_3
.LBB43_2:                               ;   in Loop: Header=BB43_3 Depth=1
	s_or_b64 exec, exec, s[0:1]
	v_add_u32_e32 v2, s26, v2
	v_cmp_le_i32_e32 vcc, s7, v2
	s_or_b64 s[4:5], vcc, s[4:5]
	s_andn2_b64 exec, exec, s[4:5]
	s_cbranch_execz .LBB43_31
.LBB43_3:                               ; =>This Inner Loop Header: Depth=1
	v_ashrrev_i32_e32 v3, 31, v2
	v_lshlrev_b64 v[4:5], 2, v[2:3]
	v_add_co_u32_e32 v16, vcc, s10, v4
	v_addc_co_u32_e32 v17, vcc, v6, v5, vcc
	global_load_dwordx2 v[16:17], v[16:17], off
	s_waitcnt vmcnt(0)
	v_sub_u32_e32 v3, v17, v16
	v_cmp_lt_i32_e32 vcc, 8, v3
	s_and_saveexec_b64 s[0:1], vcc
	s_xor_b64 s[14:15], exec, s[0:1]
	s_cbranch_execz .LBB43_29
; %bb.4:                                ;   in Loop: Header=BB43_3 Depth=1
	v_cmp_lt_u32_e32 vcc, 16, v3
	s_and_saveexec_b64 s[0:1], vcc
	s_xor_b64 s[16:17], exec, s[0:1]
	s_cbranch_execz .LBB43_26
; %bb.5:                                ;   in Loop: Header=BB43_3 Depth=1
	v_cmp_lt_u32_e32 vcc, 32, v3
	;; [unrolled: 5-line block ×6, first 2 shown]
	v_mov_b32_e32 v3, s13
	v_add_co_u32_e64 v4, s[0:1], s12, v4
	v_addc_co_u32_e64 v5, s[0:1], v3, v5, s[0:1]
	s_and_saveexec_b64 s[0:1], vcc
	s_xor_b64 s[0:1], exec, s[0:1]
	s_cbranch_execz .LBB43_11
; %bb.10:                               ;   in Loop: Header=BB43_3 Depth=1
	ds_read_b32 v3, v1 offset:28
	global_store_dword v[4:5], v7, off
                                        ; implicit-def: $vgpr4_vgpr5
	s_waitcnt lgkmcnt(0)
	v_add_u32_e32 v3, 1, v3
	ds_write_b32 v1, v3 offset:28
.LBB43_11:                              ;   in Loop: Header=BB43_3 Depth=1
	s_andn2_saveexec_b64 s[0:1], s[0:1]
	s_cbranch_execz .LBB43_13
; %bb.12:                               ;   in Loop: Header=BB43_3 Depth=1
	ds_read_b32 v3, v1 offset:24
	global_store_dword v[4:5], v8, off
	s_waitcnt lgkmcnt(0)
	v_add_u32_e32 v3, 1, v3
	ds_write_b32 v1, v3 offset:24
.LBB43_13:                              ;   in Loop: Header=BB43_3 Depth=1
	s_or_b64 exec, exec, s[0:1]
                                        ; implicit-def: $vgpr4_vgpr5
.LBB43_14:                              ;   in Loop: Header=BB43_3 Depth=1
	s_andn2_saveexec_b64 s[0:1], s[24:25]
	s_cbranch_execz .LBB43_16
; %bb.15:                               ;   in Loop: Header=BB43_3 Depth=1
	ds_read_b32 v3, v1 offset:20
	v_mov_b32_e32 v15, s13
	v_add_co_u32_e32 v4, vcc, s12, v4
	v_addc_co_u32_e32 v5, vcc, v15, v5, vcc
	s_waitcnt lgkmcnt(0)
	v_add_u32_e32 v3, 1, v3
	ds_write_b32 v1, v3 offset:20
	global_store_dword v[4:5], v9, off
.LBB43_16:                              ;   in Loop: Header=BB43_3 Depth=1
	s_or_b64 exec, exec, s[0:1]
                                        ; implicit-def: $vgpr4_vgpr5
.LBB43_17:                              ;   in Loop: Header=BB43_3 Depth=1
	s_andn2_saveexec_b64 s[0:1], s[22:23]
	s_cbranch_execz .LBB43_19
; %bb.18:                               ;   in Loop: Header=BB43_3 Depth=1
	ds_read_b32 v3, v1 offset:16
	v_mov_b32_e32 v15, s13
	v_add_co_u32_e32 v4, vcc, s12, v4
	v_addc_co_u32_e32 v5, vcc, v15, v5, vcc
	s_waitcnt lgkmcnt(0)
	v_add_u32_e32 v3, 1, v3
	ds_write_b32 v1, v3 offset:16
	global_store_dword v[4:5], v10, off
.LBB43_19:                              ;   in Loop: Header=BB43_3 Depth=1
	s_or_b64 exec, exec, s[0:1]
                                        ; implicit-def: $vgpr4_vgpr5
.LBB43_20:                              ;   in Loop: Header=BB43_3 Depth=1
	s_andn2_saveexec_b64 s[0:1], s[20:21]
	s_cbranch_execz .LBB43_22
; %bb.21:                               ;   in Loop: Header=BB43_3 Depth=1
	ds_read_b32 v3, v1 offset:12
	v_mov_b32_e32 v15, s13
	v_add_co_u32_e32 v4, vcc, s12, v4
	v_addc_co_u32_e32 v5, vcc, v15, v5, vcc
	s_waitcnt lgkmcnt(0)
	v_add_u32_e32 v3, 1, v3
	ds_write_b32 v1, v3 offset:12
	global_store_dword v[4:5], v11, off
.LBB43_22:                              ;   in Loop: Header=BB43_3 Depth=1
	s_or_b64 exec, exec, s[0:1]
                                        ; implicit-def: $vgpr4_vgpr5
.LBB43_23:                              ;   in Loop: Header=BB43_3 Depth=1
	s_andn2_saveexec_b64 s[0:1], s[18:19]
	s_cbranch_execz .LBB43_25
; %bb.24:                               ;   in Loop: Header=BB43_3 Depth=1
	ds_read_b32 v3, v1 offset:8
	v_mov_b32_e32 v15, s13
	v_add_co_u32_e32 v4, vcc, s12, v4
	v_addc_co_u32_e32 v5, vcc, v15, v5, vcc
	s_waitcnt lgkmcnt(0)
	v_add_u32_e32 v3, 1, v3
	ds_write_b32 v1, v3 offset:8
	global_store_dword v[4:5], v12, off
.LBB43_25:                              ;   in Loop: Header=BB43_3 Depth=1
	s_or_b64 exec, exec, s[0:1]
                                        ; implicit-def: $vgpr4_vgpr5
.LBB43_26:                              ;   in Loop: Header=BB43_3 Depth=1
	s_andn2_saveexec_b64 s[0:1], s[16:17]
	s_cbranch_execz .LBB43_28
; %bb.27:                               ;   in Loop: Header=BB43_3 Depth=1
	ds_read_b32 v3, v1 offset:4
	v_mov_b32_e32 v15, s13
	v_add_co_u32_e32 v4, vcc, s12, v4
	v_addc_co_u32_e32 v5, vcc, v15, v5, vcc
	s_waitcnt lgkmcnt(0)
	v_add_u32_e32 v3, 1, v3
	ds_write_b32 v1, v3 offset:4
	global_store_dword v[4:5], v13, off
.LBB43_28:                              ;   in Loop: Header=BB43_3 Depth=1
	s_or_b64 exec, exec, s[0:1]
                                        ; implicit-def: $vgpr4_vgpr5
.LBB43_29:                              ;   in Loop: Header=BB43_3 Depth=1
	s_andn2_saveexec_b64 s[0:1], s[14:15]
	s_cbranch_execz .LBB43_2
; %bb.30:                               ;   in Loop: Header=BB43_3 Depth=1
	ds_read_b32 v3, v1
	v_mov_b32_e32 v15, s13
	v_add_co_u32_e32 v4, vcc, s12, v4
	v_addc_co_u32_e32 v5, vcc, v15, v5, vcc
	s_waitcnt lgkmcnt(0)
	v_add_u32_e32 v3, 1, v3
	ds_write_b32 v1, v3
	global_store_dword v[4:5], v14, off
	s_branch .LBB43_2
.LBB43_31:
	s_or_b64 exec, exec, s[8:9]
	s_movk_i32 s0, 0x80
	v_cmp_gt_u32_e32 vcc, s0, v0
	s_waitcnt lgkmcnt(0)
	s_barrier
	s_barrier
	;; [unrolled: 1-line block ×3, first 2 shown]
	s_and_saveexec_b64 s[0:1], vcc
	s_cbranch_execz .LBB43_33
; %bb.32:
	ds_read_b128 v[2:5], v1 offset:4096
	ds_read_b128 v[6:9], v1
	ds_read_b128 v[10:13], v1 offset:16
	ds_read_b128 v[14:17], v1 offset:4112
	s_waitcnt lgkmcnt(2)
	v_add_u32_e32 v3, v7, v3
	v_add_u32_e32 v2, v6, v2
	v_add_u32_e32 v5, v9, v5
	v_add_u32_e32 v4, v8, v4
	ds_write_b128 v1, v[2:5]
	s_waitcnt lgkmcnt(1)
	v_add_u32_e32 v3, v11, v15
	v_add_u32_e32 v2, v10, v14
	v_add_u32_e32 v5, v13, v17
	v_add_u32_e32 v4, v12, v16
	ds_write_b128 v1, v[2:5] offset:16
.LBB43_33:
	s_or_b64 exec, exec, s[0:1]
	v_cmp_gt_u32_e32 vcc, 64, v0
	s_waitcnt lgkmcnt(0)
	s_barrier
	s_and_saveexec_b64 s[0:1], vcc
	s_cbranch_execz .LBB43_35
; %bb.34:
	ds_read_b128 v[2:5], v1 offset:2048
	ds_read_b128 v[6:9], v1
	ds_read_b128 v[10:13], v1 offset:16
	ds_read_b128 v[14:17], v1 offset:2064
	s_waitcnt lgkmcnt(2)
	v_add_u32_e32 v3, v7, v3
	v_add_u32_e32 v2, v6, v2
	v_add_u32_e32 v5, v9, v5
	v_add_u32_e32 v4, v8, v4
	ds_write_b128 v1, v[2:5]
	s_waitcnt lgkmcnt(1)
	v_add_u32_e32 v3, v11, v15
	v_add_u32_e32 v2, v10, v14
	v_add_u32_e32 v5, v13, v17
	v_add_u32_e32 v4, v12, v16
	ds_write_b128 v1, v[2:5] offset:16
.LBB43_35:
	s_or_b64 exec, exec, s[0:1]
	v_cmp_gt_u32_e32 vcc, 32, v0
	s_waitcnt lgkmcnt(0)
	s_barrier
	;; [unrolled: 24-line block ×4, first 2 shown]
	s_and_saveexec_b64 s[0:1], vcc
	s_cbranch_execz .LBB43_41
; %bb.40:
	ds_read_b128 v[2:5], v1 offset:256
	ds_read_b128 v[6:9], v1
	ds_read_b128 v[10:13], v1 offset:16
	ds_read_b128 v[14:17], v1 offset:272
	s_waitcnt lgkmcnt(2)
	v_add_u32_e32 v3, v7, v3
	v_add_u32_e32 v2, v6, v2
	;; [unrolled: 1-line block ×4, first 2 shown]
	ds_write_b128 v1, v[2:5]
	s_waitcnt lgkmcnt(1)
	v_add_u32_e32 v3, v11, v15
	v_add_u32_e32 v2, v10, v14
	;; [unrolled: 1-line block ×4, first 2 shown]
	ds_write_b128 v1, v[2:5] offset:16
.LBB43_41:
	s_or_b64 exec, exec, s[0:1]
	v_cmp_gt_u32_e64 s[0:1], 4, v0
	s_waitcnt lgkmcnt(0)
	s_barrier
	s_and_saveexec_b64 s[4:5], s[0:1]
	s_cbranch_execz .LBB43_43
; %bb.42:
	ds_read_b128 v[2:5], v1 offset:128
	ds_read_b128 v[6:9], v1
	ds_read_b128 v[10:13], v1 offset:16
	ds_read_b128 v[14:17], v1 offset:144
	s_waitcnt lgkmcnt(2)
	v_add_u32_e32 v3, v7, v3
	v_add_u32_e32 v2, v6, v2
	;; [unrolled: 1-line block ×4, first 2 shown]
	ds_write_b128 v1, v[2:5]
	s_waitcnt lgkmcnt(1)
	v_add_u32_e32 v3, v11, v15
	v_add_u32_e32 v2, v10, v14
	;; [unrolled: 1-line block ×4, first 2 shown]
	ds_write_b128 v1, v[2:5] offset:16
.LBB43_43:
	s_or_b64 exec, exec, s[4:5]
	v_cmp_gt_u32_e64 s[0:1], 2, v0
	s_waitcnt lgkmcnt(0)
	s_barrier
	s_and_saveexec_b64 s[4:5], s[0:1]
	s_cbranch_execz .LBB43_45
; %bb.44:
	ds_read_b128 v[2:5], v1 offset:64
	ds_read_b128 v[6:9], v1
	ds_read_b128 v[10:13], v1 offset:16
	ds_read_b128 v[14:17], v1 offset:80
	s_waitcnt lgkmcnt(2)
	v_add_u32_e32 v3, v7, v3
	v_add_u32_e32 v2, v6, v2
	;; [unrolled: 1-line block ×4, first 2 shown]
	ds_write_b128 v1, v[2:5]
	s_waitcnt lgkmcnt(1)
	v_add_u32_e32 v3, v11, v15
	v_add_u32_e32 v2, v10, v14
	;; [unrolled: 1-line block ×4, first 2 shown]
	ds_write_b128 v1, v[2:5] offset:16
.LBB43_45:
	s_or_b64 exec, exec, s[4:5]
	v_cmp_eq_u32_e64 s[0:1], 0, v0
	s_waitcnt lgkmcnt(0)
	s_barrier
	s_and_saveexec_b64 s[4:5], s[0:1]
	s_cbranch_execz .LBB43_47
; %bb.46:
	v_mov_b32_e32 v1, 0
	ds_read_b128 v[2:5], v1 offset:32
	ds_read_b128 v[6:9], v1
	ds_read_b128 v[10:13], v1 offset:16
	ds_read_b128 v[14:17], v1 offset:48
	s_waitcnt lgkmcnt(2)
	v_add_u32_e32 v3, v7, v3
	v_add_u32_e32 v2, v6, v2
	;; [unrolled: 1-line block ×4, first 2 shown]
	ds_write_b128 v1, v[2:5]
	s_waitcnt lgkmcnt(1)
	v_add_u32_e32 v3, v11, v15
	v_add_u32_e32 v2, v10, v14
	;; [unrolled: 1-line block ×4, first 2 shown]
	ds_write_b128 v1, v[2:5] offset:16
.LBB43_47:
	s_or_b64 exec, exec, s[4:5]
	s_waitcnt lgkmcnt(0)
	s_barrier
	s_and_saveexec_b64 s[0:1], vcc
	s_cbranch_execz .LBB43_49
; %bb.48:
	v_lshl_or_b32 v2, s6, 3, v0
	v_lshlrev_b32_e32 v0, 2, v0
	ds_read_b32 v4, v0
	v_mov_b32_e32 v3, 0
	v_lshlrev_b64 v[2:3], 2, v[2:3]
	v_mov_b32_e32 v1, s3
	v_add_co_u32_e32 v0, vcc, s2, v2
	v_addc_co_u32_e32 v1, vcc, v1, v3, vcc
	s_waitcnt lgkmcnt(0)
	global_store_dword v[0:1], v4, off
.LBB43_49:
	s_endpgm
	.section	.rodata,"a",@progbits
	.p2align	6, 0x0
	.amdhsa_kernel _ZN9rocsparseL26bsrgemm_group_reduce_part2ILj256ELj8ELj2E21rocsparse_complex_numIfEiiEEvT4_PKT3_PS3_Pi
		.amdhsa_group_segment_fixed_size 8192
		.amdhsa_private_segment_fixed_size 0
		.amdhsa_kernarg_size 288
		.amdhsa_user_sgpr_count 6
		.amdhsa_user_sgpr_private_segment_buffer 1
		.amdhsa_user_sgpr_dispatch_ptr 0
		.amdhsa_user_sgpr_queue_ptr 0
		.amdhsa_user_sgpr_kernarg_segment_ptr 1
		.amdhsa_user_sgpr_dispatch_id 0
		.amdhsa_user_sgpr_flat_scratch_init 0
		.amdhsa_user_sgpr_kernarg_preload_length 0
		.amdhsa_user_sgpr_kernarg_preload_offset 0
		.amdhsa_user_sgpr_private_segment_size 0
		.amdhsa_uses_dynamic_stack 0
		.amdhsa_system_sgpr_private_segment_wavefront_offset 0
		.amdhsa_system_sgpr_workgroup_id_x 1
		.amdhsa_system_sgpr_workgroup_id_y 0
		.amdhsa_system_sgpr_workgroup_id_z 0
		.amdhsa_system_sgpr_workgroup_info 0
		.amdhsa_system_vgpr_workitem_id 0
		.amdhsa_next_free_vgpr 18
		.amdhsa_next_free_sgpr 29
		.amdhsa_accum_offset 20
		.amdhsa_reserve_vcc 1
		.amdhsa_reserve_flat_scratch 0
		.amdhsa_float_round_mode_32 0
		.amdhsa_float_round_mode_16_64 0
		.amdhsa_float_denorm_mode_32 3
		.amdhsa_float_denorm_mode_16_64 3
		.amdhsa_dx10_clamp 1
		.amdhsa_ieee_mode 1
		.amdhsa_fp16_overflow 0
		.amdhsa_tg_split 0
		.amdhsa_exception_fp_ieee_invalid_op 0
		.amdhsa_exception_fp_denorm_src 0
		.amdhsa_exception_fp_ieee_div_zero 0
		.amdhsa_exception_fp_ieee_overflow 0
		.amdhsa_exception_fp_ieee_underflow 0
		.amdhsa_exception_fp_ieee_inexact 0
		.amdhsa_exception_int_div_zero 0
	.end_amdhsa_kernel
	.section	.text._ZN9rocsparseL26bsrgemm_group_reduce_part2ILj256ELj8ELj2E21rocsparse_complex_numIfEiiEEvT4_PKT3_PS3_Pi,"axG",@progbits,_ZN9rocsparseL26bsrgemm_group_reduce_part2ILj256ELj8ELj2E21rocsparse_complex_numIfEiiEEvT4_PKT3_PS3_Pi,comdat
.Lfunc_end43:
	.size	_ZN9rocsparseL26bsrgemm_group_reduce_part2ILj256ELj8ELj2E21rocsparse_complex_numIfEiiEEvT4_PKT3_PS3_Pi, .Lfunc_end43-_ZN9rocsparseL26bsrgemm_group_reduce_part2ILj256ELj8ELj2E21rocsparse_complex_numIfEiiEEvT4_PKT3_PS3_Pi
                                        ; -- End function
	.section	.AMDGPU.csdata,"",@progbits
; Kernel info:
; codeLenInByte = 1788
; NumSgprs: 33
; NumVgprs: 18
; NumAgprs: 0
; TotalNumVgprs: 18
; ScratchSize: 0
; MemoryBound: 0
; FloatMode: 240
; IeeeMode: 1
; LDSByteSize: 8192 bytes/workgroup (compile time only)
; SGPRBlocks: 4
; VGPRBlocks: 2
; NumSGPRsForWavesPerEU: 33
; NumVGPRsForWavesPerEU: 18
; AccumOffset: 20
; Occupancy: 8
; WaveLimiterHint : 0
; COMPUTE_PGM_RSRC2:SCRATCH_EN: 0
; COMPUTE_PGM_RSRC2:USER_SGPR: 6
; COMPUTE_PGM_RSRC2:TRAP_HANDLER: 0
; COMPUTE_PGM_RSRC2:TGID_X_EN: 1
; COMPUTE_PGM_RSRC2:TGID_Y_EN: 0
; COMPUTE_PGM_RSRC2:TGID_Z_EN: 0
; COMPUTE_PGM_RSRC2:TIDIG_COMP_CNT: 0
; COMPUTE_PGM_RSRC3_GFX90A:ACCUM_OFFSET: 4
; COMPUTE_PGM_RSRC3_GFX90A:TG_SPLIT: 0
	.section	.text._ZN9rocsparseL26bsrgemm_group_reduce_part2ILj256ELj8ELj8E21rocsparse_complex_numIfEiiEEvT4_PKT3_PS3_Pi,"axG",@progbits,_ZN9rocsparseL26bsrgemm_group_reduce_part2ILj256ELj8ELj8E21rocsparse_complex_numIfEiiEEvT4_PKT3_PS3_Pi,comdat
	.globl	_ZN9rocsparseL26bsrgemm_group_reduce_part2ILj256ELj8ELj8E21rocsparse_complex_numIfEiiEEvT4_PKT3_PS3_Pi ; -- Begin function _ZN9rocsparseL26bsrgemm_group_reduce_part2ILj256ELj8ELj8E21rocsparse_complex_numIfEiiEEvT4_PKT3_PS3_Pi
	.p2align	8
	.type	_ZN9rocsparseL26bsrgemm_group_reduce_part2ILj256ELj8ELj8E21rocsparse_complex_numIfEiiEEvT4_PKT3_PS3_Pi,@function
_ZN9rocsparseL26bsrgemm_group_reduce_part2ILj256ELj8ELj8E21rocsparse_complex_numIfEiiEEvT4_PKT3_PS3_Pi: ; @_ZN9rocsparseL26bsrgemm_group_reduce_part2ILj256ELj8ELj8E21rocsparse_complex_numIfEiiEEvT4_PKT3_PS3_Pi
; %bb.0:
	s_mov_b32 s8, 0
	s_load_dword s7, s[4:5], 0x0
	s_load_dwordx2 s[2:3], s[4:5], 0x10
	s_mov_b32 s9, s8
	s_mov_b32 s10, s8
	;; [unrolled: 1-line block ×3, first 2 shown]
	v_pk_mov_b32 v[2:3], s[8:9], s[8:9] op_sel:[0,1]
	v_lshlrev_b32_e32 v1, 5, v0
	v_pk_mov_b32 v[4:5], s[10:11], s[10:11] op_sel:[0,1]
	ds_write_b128 v1, v[2:5]
	ds_write_b128 v1, v[2:5] offset:16
	v_lshl_or_b32 v2, s6, 8, v0
	s_waitcnt lgkmcnt(0)
	v_cmp_gt_i32_e32 vcc, s7, v2
	s_and_saveexec_b64 s[8:9], vcc
	s_cbranch_execz .LBB44_31
; %bb.1:
	s_load_dword s0, s[4:5], 0x20
	s_load_dwordx2 s[10:11], s[4:5], 0x8
	s_load_dwordx2 s[12:13], s[4:5], 0x18
	s_mov_b64 s[4:5], 0
	s_movk_i32 s27, 0x100
	s_waitcnt lgkmcnt(0)
	s_lshl_b32 s26, s0, 8
	v_mov_b32_e32 v6, s11
	s_movk_i32 s11, 0x80
	s_movk_i32 s28, 0x200
	v_mov_b32_e32 v7, 7
	v_mov_b32_e32 v8, 6
	;; [unrolled: 1-line block ×8, first 2 shown]
	s_branch .LBB44_3
.LBB44_2:                               ;   in Loop: Header=BB44_3 Depth=1
	s_or_b64 exec, exec, s[0:1]
	v_add_u32_e32 v2, s26, v2
	v_cmp_le_i32_e32 vcc, s7, v2
	s_or_b64 s[4:5], vcc, s[4:5]
	s_andn2_b64 exec, exec, s[4:5]
	s_cbranch_execz .LBB44_31
.LBB44_3:                               ; =>This Inner Loop Header: Depth=1
	v_ashrrev_i32_e32 v3, 31, v2
	v_lshlrev_b64 v[4:5], 2, v[2:3]
	v_add_co_u32_e32 v16, vcc, s10, v4
	v_addc_co_u32_e32 v17, vcc, v6, v5, vcc
	global_load_dwordx2 v[16:17], v[16:17], off
	s_waitcnt vmcnt(0)
	v_sub_u32_e32 v3, v17, v16
	v_cmp_lt_i32_e32 vcc, 8, v3
	s_and_saveexec_b64 s[0:1], vcc
	s_xor_b64 s[14:15], exec, s[0:1]
	s_cbranch_execz .LBB44_29
; %bb.4:                                ;   in Loop: Header=BB44_3 Depth=1
	v_cmp_lt_u32_e32 vcc, 16, v3
	s_and_saveexec_b64 s[0:1], vcc
	s_xor_b64 s[16:17], exec, s[0:1]
	s_cbranch_execz .LBB44_26
; %bb.5:                                ;   in Loop: Header=BB44_3 Depth=1
	v_cmp_lt_u32_e32 vcc, 32, v3
	;; [unrolled: 5-line block ×6, first 2 shown]
	v_mov_b32_e32 v3, s13
	v_add_co_u32_e64 v4, s[0:1], s12, v4
	v_addc_co_u32_e64 v5, s[0:1], v3, v5, s[0:1]
	s_and_saveexec_b64 s[0:1], vcc
	s_xor_b64 s[0:1], exec, s[0:1]
	s_cbranch_execz .LBB44_11
; %bb.10:                               ;   in Loop: Header=BB44_3 Depth=1
	ds_read_b32 v3, v1 offset:28
	global_store_dword v[4:5], v7, off
                                        ; implicit-def: $vgpr4_vgpr5
	s_waitcnt lgkmcnt(0)
	v_add_u32_e32 v3, 1, v3
	ds_write_b32 v1, v3 offset:28
.LBB44_11:                              ;   in Loop: Header=BB44_3 Depth=1
	s_andn2_saveexec_b64 s[0:1], s[0:1]
	s_cbranch_execz .LBB44_13
; %bb.12:                               ;   in Loop: Header=BB44_3 Depth=1
	ds_read_b32 v3, v1 offset:24
	global_store_dword v[4:5], v8, off
	s_waitcnt lgkmcnt(0)
	v_add_u32_e32 v3, 1, v3
	ds_write_b32 v1, v3 offset:24
.LBB44_13:                              ;   in Loop: Header=BB44_3 Depth=1
	s_or_b64 exec, exec, s[0:1]
                                        ; implicit-def: $vgpr4_vgpr5
.LBB44_14:                              ;   in Loop: Header=BB44_3 Depth=1
	s_andn2_saveexec_b64 s[0:1], s[24:25]
	s_cbranch_execz .LBB44_16
; %bb.15:                               ;   in Loop: Header=BB44_3 Depth=1
	ds_read_b32 v3, v1 offset:20
	v_mov_b32_e32 v15, s13
	v_add_co_u32_e32 v4, vcc, s12, v4
	v_addc_co_u32_e32 v5, vcc, v15, v5, vcc
	s_waitcnt lgkmcnt(0)
	v_add_u32_e32 v3, 1, v3
	ds_write_b32 v1, v3 offset:20
	global_store_dword v[4:5], v9, off
.LBB44_16:                              ;   in Loop: Header=BB44_3 Depth=1
	s_or_b64 exec, exec, s[0:1]
                                        ; implicit-def: $vgpr4_vgpr5
.LBB44_17:                              ;   in Loop: Header=BB44_3 Depth=1
	s_andn2_saveexec_b64 s[0:1], s[22:23]
	s_cbranch_execz .LBB44_19
; %bb.18:                               ;   in Loop: Header=BB44_3 Depth=1
	ds_read_b32 v3, v1 offset:16
	v_mov_b32_e32 v15, s13
	v_add_co_u32_e32 v4, vcc, s12, v4
	v_addc_co_u32_e32 v5, vcc, v15, v5, vcc
	s_waitcnt lgkmcnt(0)
	v_add_u32_e32 v3, 1, v3
	ds_write_b32 v1, v3 offset:16
	global_store_dword v[4:5], v10, off
.LBB44_19:                              ;   in Loop: Header=BB44_3 Depth=1
	s_or_b64 exec, exec, s[0:1]
                                        ; implicit-def: $vgpr4_vgpr5
.LBB44_20:                              ;   in Loop: Header=BB44_3 Depth=1
	s_andn2_saveexec_b64 s[0:1], s[20:21]
	s_cbranch_execz .LBB44_22
; %bb.21:                               ;   in Loop: Header=BB44_3 Depth=1
	ds_read_b32 v3, v1 offset:12
	v_mov_b32_e32 v15, s13
	v_add_co_u32_e32 v4, vcc, s12, v4
	v_addc_co_u32_e32 v5, vcc, v15, v5, vcc
	s_waitcnt lgkmcnt(0)
	v_add_u32_e32 v3, 1, v3
	ds_write_b32 v1, v3 offset:12
	global_store_dword v[4:5], v11, off
.LBB44_22:                              ;   in Loop: Header=BB44_3 Depth=1
	s_or_b64 exec, exec, s[0:1]
                                        ; implicit-def: $vgpr4_vgpr5
.LBB44_23:                              ;   in Loop: Header=BB44_3 Depth=1
	s_andn2_saveexec_b64 s[0:1], s[18:19]
	s_cbranch_execz .LBB44_25
; %bb.24:                               ;   in Loop: Header=BB44_3 Depth=1
	ds_read_b32 v3, v1 offset:8
	v_mov_b32_e32 v15, s13
	v_add_co_u32_e32 v4, vcc, s12, v4
	v_addc_co_u32_e32 v5, vcc, v15, v5, vcc
	s_waitcnt lgkmcnt(0)
	v_add_u32_e32 v3, 1, v3
	ds_write_b32 v1, v3 offset:8
	global_store_dword v[4:5], v12, off
.LBB44_25:                              ;   in Loop: Header=BB44_3 Depth=1
	s_or_b64 exec, exec, s[0:1]
                                        ; implicit-def: $vgpr4_vgpr5
.LBB44_26:                              ;   in Loop: Header=BB44_3 Depth=1
	s_andn2_saveexec_b64 s[0:1], s[16:17]
	s_cbranch_execz .LBB44_28
; %bb.27:                               ;   in Loop: Header=BB44_3 Depth=1
	ds_read_b32 v3, v1 offset:4
	v_mov_b32_e32 v15, s13
	v_add_co_u32_e32 v4, vcc, s12, v4
	v_addc_co_u32_e32 v5, vcc, v15, v5, vcc
	s_waitcnt lgkmcnt(0)
	v_add_u32_e32 v3, 1, v3
	ds_write_b32 v1, v3 offset:4
	global_store_dword v[4:5], v13, off
.LBB44_28:                              ;   in Loop: Header=BB44_3 Depth=1
	s_or_b64 exec, exec, s[0:1]
                                        ; implicit-def: $vgpr4_vgpr5
.LBB44_29:                              ;   in Loop: Header=BB44_3 Depth=1
	s_andn2_saveexec_b64 s[0:1], s[14:15]
	s_cbranch_execz .LBB44_2
; %bb.30:                               ;   in Loop: Header=BB44_3 Depth=1
	ds_read_b32 v3, v1
	v_mov_b32_e32 v15, s13
	v_add_co_u32_e32 v4, vcc, s12, v4
	v_addc_co_u32_e32 v5, vcc, v15, v5, vcc
	s_waitcnt lgkmcnt(0)
	v_add_u32_e32 v3, 1, v3
	ds_write_b32 v1, v3
	global_store_dword v[4:5], v14, off
	s_branch .LBB44_2
.LBB44_31:
	s_or_b64 exec, exec, s[8:9]
	s_movk_i32 s0, 0x80
	v_cmp_gt_u32_e32 vcc, s0, v0
	s_waitcnt lgkmcnt(0)
	s_barrier
	s_barrier
	;; [unrolled: 1-line block ×3, first 2 shown]
	s_and_saveexec_b64 s[0:1], vcc
	s_cbranch_execz .LBB44_33
; %bb.32:
	ds_read_b128 v[2:5], v1 offset:4096
	ds_read_b128 v[6:9], v1
	ds_read_b128 v[10:13], v1 offset:16
	ds_read_b128 v[14:17], v1 offset:4112
	s_waitcnt lgkmcnt(2)
	v_add_u32_e32 v3, v7, v3
	v_add_u32_e32 v2, v6, v2
	v_add_u32_e32 v5, v9, v5
	v_add_u32_e32 v4, v8, v4
	ds_write_b128 v1, v[2:5]
	s_waitcnt lgkmcnt(1)
	v_add_u32_e32 v3, v11, v15
	v_add_u32_e32 v2, v10, v14
	v_add_u32_e32 v5, v13, v17
	v_add_u32_e32 v4, v12, v16
	ds_write_b128 v1, v[2:5] offset:16
.LBB44_33:
	s_or_b64 exec, exec, s[0:1]
	v_cmp_gt_u32_e32 vcc, 64, v0
	s_waitcnt lgkmcnt(0)
	s_barrier
	s_and_saveexec_b64 s[0:1], vcc
	s_cbranch_execz .LBB44_35
; %bb.34:
	ds_read_b128 v[2:5], v1 offset:2048
	ds_read_b128 v[6:9], v1
	ds_read_b128 v[10:13], v1 offset:16
	ds_read_b128 v[14:17], v1 offset:2064
	s_waitcnt lgkmcnt(2)
	v_add_u32_e32 v3, v7, v3
	v_add_u32_e32 v2, v6, v2
	v_add_u32_e32 v5, v9, v5
	v_add_u32_e32 v4, v8, v4
	ds_write_b128 v1, v[2:5]
	s_waitcnt lgkmcnt(1)
	v_add_u32_e32 v3, v11, v15
	v_add_u32_e32 v2, v10, v14
	v_add_u32_e32 v5, v13, v17
	v_add_u32_e32 v4, v12, v16
	ds_write_b128 v1, v[2:5] offset:16
.LBB44_35:
	s_or_b64 exec, exec, s[0:1]
	v_cmp_gt_u32_e32 vcc, 32, v0
	s_waitcnt lgkmcnt(0)
	s_barrier
	;; [unrolled: 24-line block ×4, first 2 shown]
	s_and_saveexec_b64 s[0:1], vcc
	s_cbranch_execz .LBB44_41
; %bb.40:
	ds_read_b128 v[2:5], v1 offset:256
	ds_read_b128 v[6:9], v1
	ds_read_b128 v[10:13], v1 offset:16
	ds_read_b128 v[14:17], v1 offset:272
	s_waitcnt lgkmcnt(2)
	v_add_u32_e32 v3, v7, v3
	v_add_u32_e32 v2, v6, v2
	;; [unrolled: 1-line block ×4, first 2 shown]
	ds_write_b128 v1, v[2:5]
	s_waitcnt lgkmcnt(1)
	v_add_u32_e32 v3, v11, v15
	v_add_u32_e32 v2, v10, v14
	;; [unrolled: 1-line block ×4, first 2 shown]
	ds_write_b128 v1, v[2:5] offset:16
.LBB44_41:
	s_or_b64 exec, exec, s[0:1]
	v_cmp_gt_u32_e64 s[0:1], 4, v0
	s_waitcnt lgkmcnt(0)
	s_barrier
	s_and_saveexec_b64 s[4:5], s[0:1]
	s_cbranch_execz .LBB44_43
; %bb.42:
	ds_read_b128 v[2:5], v1 offset:128
	ds_read_b128 v[6:9], v1
	ds_read_b128 v[10:13], v1 offset:16
	ds_read_b128 v[14:17], v1 offset:144
	s_waitcnt lgkmcnt(2)
	v_add_u32_e32 v3, v7, v3
	v_add_u32_e32 v2, v6, v2
	;; [unrolled: 1-line block ×4, first 2 shown]
	ds_write_b128 v1, v[2:5]
	s_waitcnt lgkmcnt(1)
	v_add_u32_e32 v3, v11, v15
	v_add_u32_e32 v2, v10, v14
	;; [unrolled: 1-line block ×4, first 2 shown]
	ds_write_b128 v1, v[2:5] offset:16
.LBB44_43:
	s_or_b64 exec, exec, s[4:5]
	v_cmp_gt_u32_e64 s[0:1], 2, v0
	s_waitcnt lgkmcnt(0)
	s_barrier
	s_and_saveexec_b64 s[4:5], s[0:1]
	s_cbranch_execz .LBB44_45
; %bb.44:
	ds_read_b128 v[2:5], v1 offset:64
	ds_read_b128 v[6:9], v1
	ds_read_b128 v[10:13], v1 offset:16
	ds_read_b128 v[14:17], v1 offset:80
	s_waitcnt lgkmcnt(2)
	v_add_u32_e32 v3, v7, v3
	v_add_u32_e32 v2, v6, v2
	;; [unrolled: 1-line block ×4, first 2 shown]
	ds_write_b128 v1, v[2:5]
	s_waitcnt lgkmcnt(1)
	v_add_u32_e32 v3, v11, v15
	v_add_u32_e32 v2, v10, v14
	;; [unrolled: 1-line block ×4, first 2 shown]
	ds_write_b128 v1, v[2:5] offset:16
.LBB44_45:
	s_or_b64 exec, exec, s[4:5]
	v_cmp_eq_u32_e64 s[0:1], 0, v0
	s_waitcnt lgkmcnt(0)
	s_barrier
	s_and_saveexec_b64 s[4:5], s[0:1]
	s_cbranch_execz .LBB44_47
; %bb.46:
	v_mov_b32_e32 v1, 0
	ds_read_b128 v[2:5], v1 offset:32
	ds_read_b128 v[6:9], v1
	ds_read_b128 v[10:13], v1 offset:16
	ds_read_b128 v[14:17], v1 offset:48
	s_waitcnt lgkmcnt(2)
	v_add_u32_e32 v3, v7, v3
	v_add_u32_e32 v2, v6, v2
	;; [unrolled: 1-line block ×4, first 2 shown]
	ds_write_b128 v1, v[2:5]
	s_waitcnt lgkmcnt(1)
	v_add_u32_e32 v3, v11, v15
	v_add_u32_e32 v2, v10, v14
	;; [unrolled: 1-line block ×4, first 2 shown]
	ds_write_b128 v1, v[2:5] offset:16
.LBB44_47:
	s_or_b64 exec, exec, s[4:5]
	s_waitcnt lgkmcnt(0)
	s_barrier
	s_and_saveexec_b64 s[0:1], vcc
	s_cbranch_execz .LBB44_49
; %bb.48:
	v_lshl_or_b32 v2, s6, 3, v0
	v_lshlrev_b32_e32 v0, 2, v0
	ds_read_b32 v4, v0
	v_mov_b32_e32 v3, 0
	v_lshlrev_b64 v[2:3], 2, v[2:3]
	v_mov_b32_e32 v1, s3
	v_add_co_u32_e32 v0, vcc, s2, v2
	v_addc_co_u32_e32 v1, vcc, v1, v3, vcc
	s_waitcnt lgkmcnt(0)
	global_store_dword v[0:1], v4, off
.LBB44_49:
	s_endpgm
	.section	.rodata,"a",@progbits
	.p2align	6, 0x0
	.amdhsa_kernel _ZN9rocsparseL26bsrgemm_group_reduce_part2ILj256ELj8ELj8E21rocsparse_complex_numIfEiiEEvT4_PKT3_PS3_Pi
		.amdhsa_group_segment_fixed_size 8192
		.amdhsa_private_segment_fixed_size 0
		.amdhsa_kernarg_size 288
		.amdhsa_user_sgpr_count 6
		.amdhsa_user_sgpr_private_segment_buffer 1
		.amdhsa_user_sgpr_dispatch_ptr 0
		.amdhsa_user_sgpr_queue_ptr 0
		.amdhsa_user_sgpr_kernarg_segment_ptr 1
		.amdhsa_user_sgpr_dispatch_id 0
		.amdhsa_user_sgpr_flat_scratch_init 0
		.amdhsa_user_sgpr_kernarg_preload_length 0
		.amdhsa_user_sgpr_kernarg_preload_offset 0
		.amdhsa_user_sgpr_private_segment_size 0
		.amdhsa_uses_dynamic_stack 0
		.amdhsa_system_sgpr_private_segment_wavefront_offset 0
		.amdhsa_system_sgpr_workgroup_id_x 1
		.amdhsa_system_sgpr_workgroup_id_y 0
		.amdhsa_system_sgpr_workgroup_id_z 0
		.amdhsa_system_sgpr_workgroup_info 0
		.amdhsa_system_vgpr_workitem_id 0
		.amdhsa_next_free_vgpr 18
		.amdhsa_next_free_sgpr 29
		.amdhsa_accum_offset 20
		.amdhsa_reserve_vcc 1
		.amdhsa_reserve_flat_scratch 0
		.amdhsa_float_round_mode_32 0
		.amdhsa_float_round_mode_16_64 0
		.amdhsa_float_denorm_mode_32 3
		.amdhsa_float_denorm_mode_16_64 3
		.amdhsa_dx10_clamp 1
		.amdhsa_ieee_mode 1
		.amdhsa_fp16_overflow 0
		.amdhsa_tg_split 0
		.amdhsa_exception_fp_ieee_invalid_op 0
		.amdhsa_exception_fp_denorm_src 0
		.amdhsa_exception_fp_ieee_div_zero 0
		.amdhsa_exception_fp_ieee_overflow 0
		.amdhsa_exception_fp_ieee_underflow 0
		.amdhsa_exception_fp_ieee_inexact 0
		.amdhsa_exception_int_div_zero 0
	.end_amdhsa_kernel
	.section	.text._ZN9rocsparseL26bsrgemm_group_reduce_part2ILj256ELj8ELj8E21rocsparse_complex_numIfEiiEEvT4_PKT3_PS3_Pi,"axG",@progbits,_ZN9rocsparseL26bsrgemm_group_reduce_part2ILj256ELj8ELj8E21rocsparse_complex_numIfEiiEEvT4_PKT3_PS3_Pi,comdat
.Lfunc_end44:
	.size	_ZN9rocsparseL26bsrgemm_group_reduce_part2ILj256ELj8ELj8E21rocsparse_complex_numIfEiiEEvT4_PKT3_PS3_Pi, .Lfunc_end44-_ZN9rocsparseL26bsrgemm_group_reduce_part2ILj256ELj8ELj8E21rocsparse_complex_numIfEiiEEvT4_PKT3_PS3_Pi
                                        ; -- End function
	.section	.AMDGPU.csdata,"",@progbits
; Kernel info:
; codeLenInByte = 1788
; NumSgprs: 33
; NumVgprs: 18
; NumAgprs: 0
; TotalNumVgprs: 18
; ScratchSize: 0
; MemoryBound: 0
; FloatMode: 240
; IeeeMode: 1
; LDSByteSize: 8192 bytes/workgroup (compile time only)
; SGPRBlocks: 4
; VGPRBlocks: 2
; NumSGPRsForWavesPerEU: 33
; NumVGPRsForWavesPerEU: 18
; AccumOffset: 20
; Occupancy: 8
; WaveLimiterHint : 0
; COMPUTE_PGM_RSRC2:SCRATCH_EN: 0
; COMPUTE_PGM_RSRC2:USER_SGPR: 6
; COMPUTE_PGM_RSRC2:TRAP_HANDLER: 0
; COMPUTE_PGM_RSRC2:TGID_X_EN: 1
; COMPUTE_PGM_RSRC2:TGID_Y_EN: 0
; COMPUTE_PGM_RSRC2:TGID_Z_EN: 0
; COMPUTE_PGM_RSRC2:TIDIG_COMP_CNT: 0
; COMPUTE_PGM_RSRC3_GFX90A:ACCUM_OFFSET: 4
; COMPUTE_PGM_RSRC3_GFX90A:TG_SPLIT: 0
	.section	.text._ZN9rocsparseL27bsrgemm_fill_wf_per_row_2x2ILj256ELj16ELj8ELj137Eii21rocsparse_complex_numIfEEEv20rocsparse_direction_T4_S4_PKS4_S6_NS_24const_host_device_scalarIT5_EEPKT3_S6_PKS8_SC_S6_SE_S9_SC_S6_SE_SC_PS4_PS8_21rocsparse_index_base_SH_SH_SH_bbb,"axG",@progbits,_ZN9rocsparseL27bsrgemm_fill_wf_per_row_2x2ILj256ELj16ELj8ELj137Eii21rocsparse_complex_numIfEEEv20rocsparse_direction_T4_S4_PKS4_S6_NS_24const_host_device_scalarIT5_EEPKT3_S6_PKS8_SC_S6_SE_S9_SC_S6_SE_SC_PS4_PS8_21rocsparse_index_base_SH_SH_SH_bbb,comdat
	.globl	_ZN9rocsparseL27bsrgemm_fill_wf_per_row_2x2ILj256ELj16ELj8ELj137Eii21rocsparse_complex_numIfEEEv20rocsparse_direction_T4_S4_PKS4_S6_NS_24const_host_device_scalarIT5_EEPKT3_S6_PKS8_SC_S6_SE_S9_SC_S6_SE_SC_PS4_PS8_21rocsparse_index_base_SH_SH_SH_bbb ; -- Begin function _ZN9rocsparseL27bsrgemm_fill_wf_per_row_2x2ILj256ELj16ELj8ELj137Eii21rocsparse_complex_numIfEEEv20rocsparse_direction_T4_S4_PKS4_S6_NS_24const_host_device_scalarIT5_EEPKT3_S6_PKS8_SC_S6_SE_S9_SC_S6_SE_SC_PS4_PS8_21rocsparse_index_base_SH_SH_SH_bbb
	.p2align	8
	.type	_ZN9rocsparseL27bsrgemm_fill_wf_per_row_2x2ILj256ELj16ELj8ELj137Eii21rocsparse_complex_numIfEEEv20rocsparse_direction_T4_S4_PKS4_S6_NS_24const_host_device_scalarIT5_EEPKT3_S6_PKS8_SC_S6_SE_S9_SC_S6_SE_SC_PS4_PS8_21rocsparse_index_base_SH_SH_SH_bbb,@function
_ZN9rocsparseL27bsrgemm_fill_wf_per_row_2x2ILj256ELj16ELj8ELj137Eii21rocsparse_complex_numIfEEEv20rocsparse_direction_T4_S4_PKS4_S6_NS_24const_host_device_scalarIT5_EEPKT3_S6_PKS8_SC_S6_SE_S9_SC_S6_SE_SC_PS4_PS8_21rocsparse_index_base_SH_SH_SH_bbb: ; @_ZN9rocsparseL27bsrgemm_fill_wf_per_row_2x2ILj256ELj16ELj8ELj137Eii21rocsparse_complex_numIfEEEv20rocsparse_direction_T4_S4_PKS4_S6_NS_24const_host_device_scalarIT5_EEPKT3_S6_PKS8_SC_S6_SE_S9_SC_S6_SE_SC_PS4_PS8_21rocsparse_index_base_SH_SH_SH_bbb
; %bb.0:
	s_load_dwordx8 s[8:15], s[4:5], 0x68
	s_load_dwordx8 s[16:23], s[4:5], 0x48
	s_load_dword s7, s[4:5], 0xa0
	s_load_dwordx4 s[44:47], s[4:5], 0x10
	s_load_dwordx8 s[24:31], s[4:5], 0x28
	s_load_dwordx2 s[2:3], s[4:5], 0x88
	s_load_dwordx4 s[36:39], s[4:5], 0x90
	s_waitcnt lgkmcnt(0)
	s_bitcmp1_b32 s7, 0
	s_cselect_b64 s[50:51], -1, 0
	s_bitcmp1_b32 s7, 16
	s_cselect_b64 s[0:1], -1, 0
	s_xor_b64 s[0:1], s[0:1], -1
	v_cndmask_b32_e64 v1, 0, 1, s[0:1]
	s_mov_b32 s35, 0
	s_bitcmp0_b32 s7, 0
	v_cmp_ne_u32_e64 s[0:1], 1, v1
	s_mov_b32 s58, 0
	s_cbranch_scc1 .LBB45_5
; %bb.1:
	s_load_dwordx2 s[34:35], s[4:5], 0x20
	s_and_b64 vcc, exec, s[0:1]
	s_waitcnt lgkmcnt(0)
	s_mov_b32 s58, s34
	s_cbranch_vccnz .LBB45_3
; %bb.2:
	s_load_dword s58, s[34:35], 0x0
.LBB45_3:
	s_and_b64 vcc, exec, s[0:1]
	s_cbranch_vccnz .LBB45_5
; %bb.4:
	s_load_dword s35, s[34:35], 0x4
.LBB45_5:
	s_bitcmp1_b32 s7, 8
	s_cselect_b64 s[48:49], -1, 0
	s_bfe_u32 s7, s7, 0x10008
	s_mov_b32 s34, 0
	s_cmp_eq_u32 s7, 0
	s_mov_b32 s33, 0
	s_cbranch_scc1 .LBB45_11
; %bb.6:
	s_and_b64 vcc, exec, s[0:1]
	s_mov_b32 s33, s20
	s_cbranch_vccnz .LBB45_8
; %bb.7:
	s_load_dword s33, s[20:21], 0x0
.LBB45_8:
	s_and_b64 vcc, exec, s[0:1]
	s_cbranch_vccnz .LBB45_10
; %bb.9:
	s_load_dword s21, s[20:21], 0x4
.LBB45_10:
	s_waitcnt lgkmcnt(0)
	s_mov_b32 s34, s21
.LBB45_11:
	s_load_dwordx4 s[40:43], s[4:5], 0x0
	v_and_b32_e32 v14, 15, v0
	v_lshrrev_b32_e32 v2, 4, v0
	v_mov_b32_e32 v0, 0x1000
	v_lshl_or_b32 v15, v2, 5, v0
	v_cmp_gt_u32_e64 s[0:1], 8, v14
	s_and_saveexec_b64 s[4:5], s[0:1]
	s_cbranch_execz .LBB45_13
; %bb.12:
	v_lshl_add_u32 v0, v14, 2, v15
	s_waitcnt lgkmcnt(0)
	v_mov_b32_e32 v1, s42
	ds_write_b32 v0, v1
.LBB45_13:
	s_or_b64 exec, exec, s[4:5]
	v_lshlrev_b32_e32 v0, 3, v14
	v_lshl_or_b32 v4, v2, 8, v0
	v_mov_b32_e32 v0, 0
	v_or_b32_e32 v3, -16, v14
	s_mov_b64 s[4:5], 0
	v_mov_b32_e32 v1, v0
.LBB45_14:                              ; =>This Inner Loop Header: Depth=1
	v_add_co_u32_e32 v3, vcc, 16, v3
	s_xor_b64 s[20:21], vcc, -1
	s_and_b64 s[20:21], exec, s[20:21]
	ds_write_b64 v4, v[0:1]
	s_or_b64 s[4:5], s[20:21], s[4:5]
	v_add_u32_e32 v4, 0x80, v4
	s_andn2_b64 exec, exec, s[4:5]
	s_cbranch_execnz .LBB45_14
; %bb.15:
	s_or_b64 exec, exec, s[4:5]
	v_lshl_or_b32 v0, s6, 4, v2
	s_waitcnt lgkmcnt(0)
	v_cmp_gt_i32_e32 vcc, s41, v0
	s_barrier
	s_and_saveexec_b64 s[4:5], vcc
	s_cbranch_execz .LBB45_21
; %bb.16:
	s_cmp_eq_u64 s[46:47], 0
	s_cbranch_scc1 .LBB45_18
; %bb.17:
	s_load_dword s4, s[44:45], 0x0
	v_mov_b32_e32 v3, s47
	s_waitcnt lgkmcnt(0)
	v_add_u32_e32 v0, s4, v0
	v_ashrrev_i32_e32 v1, 31, v0
	v_lshlrev_b64 v[0:1], 2, v[0:1]
	v_add_co_u32_e32 v0, vcc, s46, v0
	v_addc_co_u32_e32 v1, vcc, v3, v1, vcc
	global_load_dword v0, v[0:1], off
.LBB45_18:
	v_lshlrev_b32_e32 v16, 8, v2
	s_andn2_b64 vcc, exec, s[50:51]
	s_waitcnt vmcnt(0)
	v_ashrrev_i32_e32 v1, 31, v0
	s_cbranch_vccz .LBB45_22
; %bb.19:
	s_andn2_b64 vcc, exec, s[48:49]
	s_cbranch_vccz .LBB45_77
.LBB45_20:
	s_and_b64 exec, exec, s[0:1]
	s_cbranch_execnz .LBB45_129
.LBB45_21:
	s_endpgm
.LBB45_22:
	v_lshlrev_b64 v[2:3], 2, v[0:1]
	v_mov_b32_e32 v4, s25
	v_add_co_u32_e32 v2, vcc, s24, v2
	v_addc_co_u32_e32 v3, vcc, v4, v3, vcc
	global_load_dwordx2 v[2:3], v[2:3], off
	v_subrev_u32_e32 v4, s36, v14
	s_waitcnt vmcnt(0)
	v_subrev_u32_e32 v17, s36, v3
	v_add_u32_e32 v2, v2, v4
	v_cmp_lt_i32_e32 vcc, v2, v17
	s_and_saveexec_b64 s[4:5], vcc
	s_cbranch_execz .LBB45_76
; %bb.23:
	s_cmp_eq_u32 s40, 0
	s_cselect_b32 s41, 2, 1
	s_cselect_b32 s43, 1, 2
	v_add_u32_e32 v18, 8, v16
	v_add_u32_e32 v19, 16, v16
	;; [unrolled: 1-line block ×3, first 2 shown]
	s_mov_b64 s[6:7], 0
	v_mov_b32_e32 v21, s27
	v_mov_b32_e32 v22, s31
	s_branch .LBB45_25
.LBB45_24:                              ;   in Loop: Header=BB45_25 Depth=1
	s_or_b64 exec, exec, s[20:21]
	v_add_u32_e32 v2, 16, v2
	v_cmp_ge_i32_e32 vcc, v2, v17
	s_or_b64 s[6:7], vcc, s[6:7]
	s_andn2_b64 exec, exec, s[6:7]
	s_cbranch_execz .LBB45_76
.LBB45_25:                              ; =>This Loop Header: Depth=1
                                        ;     Child Loop BB45_28 Depth 2
                                        ;       Child Loop BB45_30 Depth 3
                                        ;       Child Loop BB45_42 Depth 3
                                        ;       Child Loop BB45_54 Depth 3
                                        ;       Child Loop BB45_66 Depth 3
	v_ashrrev_i32_e32 v3, 31, v2
	v_lshlrev_b64 v[4:5], 2, v[2:3]
	v_add_co_u32_e32 v4, vcc, s26, v4
	v_addc_co_u32_e32 v5, vcc, v21, v5, vcc
	global_load_dword v3, v[4:5], off
	s_waitcnt vmcnt(0)
	v_subrev_u32_e32 v4, s36, v3
	v_ashrrev_i32_e32 v5, 31, v4
	v_lshlrev_b64 v[4:5], 2, v[4:5]
	v_add_co_u32_e32 v4, vcc, s30, v4
	v_addc_co_u32_e32 v5, vcc, v22, v5, vcc
	global_load_dwordx2 v[4:5], v[4:5], off
	s_waitcnt vmcnt(0)
	v_cmp_lt_i32_e32 vcc, v4, v5
	s_and_saveexec_b64 s[20:21], vcc
	s_cbranch_execz .LBB45_24
; %bb.26:                               ;   in Loop: Header=BB45_25 Depth=1
	v_lshlrev_b32_e32 v6, 2, v2
	v_ashrrev_i32_e32 v7, 31, v6
	v_lshlrev_b64 v[8:9], 3, v[6:7]
	v_or_b32_e32 v12, s41, v6
	v_mov_b32_e32 v3, s29
	v_add_co_u32_e32 v8, vcc, s28, v8
	v_ashrrev_i32_e32 v13, 31, v12
	v_addc_co_u32_e32 v9, vcc, v3, v9, vcc
	v_lshlrev_b64 v[12:13], 3, v[12:13]
	v_or_b32_e32 v6, s43, v6
	v_add_co_u32_e32 v12, vcc, s28, v12
	v_ashrrev_i32_e32 v7, 31, v6
	v_addc_co_u32_e32 v13, vcc, v3, v13, vcc
	v_lshlrev_b64 v[6:7], 3, v[6:7]
	v_add_co_u32_e32 v6, vcc, s28, v6
	global_load_dwordx2 v[10:11], v[8:9], off
	v_addc_co_u32_e32 v7, vcc, v3, v7, vcc
	global_load_dwordx2 v[32:33], v[12:13], off
	global_load_dwordx2 v[34:35], v[6:7], off
	global_load_dwordx2 v[36:37], v[8:9], off offset:24
	v_subrev_u32_e32 v3, s37, v5
	v_subrev_u32_e32 v4, s37, v4
	s_mov_b64 s[24:25], 0
	s_waitcnt vmcnt(3)
	v_mul_f32_e64 v23, v11, -s35
	v_mul_f32_e32 v24, s58, v11
	s_waitcnt vmcnt(2)
	v_mul_f32_e64 v25, v33, -s35
	v_mul_f32_e32 v26, s58, v33
	s_waitcnt vmcnt(0)
	v_mul_f32_e32 v27, s58, v37
	v_mul_f32_e64 v28, v37, -s35
	v_mul_f32_e32 v29, s58, v35
	v_mul_f32_e64 v30, v35, -s35
	v_fmac_f32_e32 v23, s58, v10
	v_fmac_f32_e32 v24, s35, v10
	;; [unrolled: 1-line block ×8, first 2 shown]
	s_branch .LBB45_28
.LBB45_27:                              ;   in Loop: Header=BB45_28 Depth=2
	s_or_b64 exec, exec, s[44:45]
	v_add_u32_e32 v4, 1, v4
	v_cmp_ge_i32_e32 vcc, v4, v3
	s_or_b64 s[24:25], vcc, s[24:25]
	s_andn2_b64 exec, exec, s[24:25]
	s_cbranch_execz .LBB45_24
.LBB45_28:                              ;   Parent Loop BB45_25 Depth=1
                                        ; =>  This Loop Header: Depth=2
                                        ;       Child Loop BB45_30 Depth 3
                                        ;       Child Loop BB45_42 Depth 3
                                        ;       Child Loop BB45_54 Depth 3
                                        ;       Child Loop BB45_66 Depth 3
	v_ashrrev_i32_e32 v5, 31, v4
	v_lshlrev_b64 v[6:7], 2, v[4:5]
	v_mov_b32_e32 v5, s17
	v_add_co_u32_e32 v6, vcc, s16, v6
	v_addc_co_u32_e32 v7, vcc, v5, v7, vcc
	global_load_dword v5, v[6:7], off
	v_lshlrev_b32_e32 v6, 2, v4
	v_ashrrev_i32_e32 v7, 31, v6
	v_or_b32_e32 v8, s43, v6
	v_or_b32_e32 v10, s41, v6
	v_lshlrev_b64 v[6:7], 3, v[6:7]
	v_mov_b32_e32 v31, s19
	v_add_co_u32_e32 v32, vcc, s18, v6
	v_ashrrev_i32_e32 v11, 31, v10
	v_addc_co_u32_e32 v33, vcc, v31, v7, vcc
	v_lshlrev_b64 v[6:7], 3, v[10:11]
	v_add_co_u32_e32 v6, vcc, s18, v6
	v_addc_co_u32_e32 v7, vcc, v31, v7, vcc
	v_ashrrev_i32_e32 v9, 31, v8
	global_load_dwordx2 v[12:13], v[6:7], off
	global_load_dwordx2 v[10:11], v[32:33], off
	v_lshlrev_b64 v[6:7], 3, v[8:9]
	v_add_co_u32_e32 v6, vcc, s18, v6
	v_addc_co_u32_e32 v7, vcc, v31, v7, vcc
	global_load_dwordx2 v[6:7], v[6:7], off
	s_nop 0
	global_load_dwordx2 v[8:9], v[32:33], off offset:24
	s_mov_b64 s[44:45], 0
	s_waitcnt vmcnt(4)
	v_subrev_u32_e32 v5, s37, v5
	v_and_b32_e32 v31, 7, v5
	v_mov_b32_e32 v34, v31
	s_waitcnt vmcnt(3)
	v_mul_f32_e64 v33, v13, -v29
	v_mul_f32_e32 v32, v30, v13
	v_fmac_f32_e32 v33, v30, v12
	v_fmac_f32_e32 v32, v29, v12
	s_waitcnt vmcnt(2)
	v_fmac_f32_e32 v33, v23, v10
	v_fmac_f32_e32 v32, v24, v10
	v_fma_f32 v33, -v24, v11, v33
	v_fmac_f32_e32 v32, v23, v11
	s_branch .LBB45_30
.LBB45_29:                              ;   in Loop: Header=BB45_30 Depth=3
	s_or_b64 exec, exec, s[46:47]
	s_xor_b64 s[46:47], s[50:51], -1
	s_and_b64 s[46:47], exec, s[46:47]
	s_or_b64 s[44:45], s[46:47], s[44:45]
	s_andn2_b64 exec, exec, s[44:45]
	s_cbranch_execz .LBB45_40
.LBB45_30:                              ;   Parent Loop BB45_25 Depth=1
                                        ;     Parent Loop BB45_28 Depth=2
                                        ; =>    This Inner Loop Header: Depth=3
	v_lshl_add_u32 v35, v34, 2, v15
	ds_read_b32 v36, v35
                                        ; implicit-def: $sgpr50_sgpr51
	s_waitcnt lgkmcnt(0)
	v_cmp_ne_u32_e32 vcc, v36, v5
	s_and_saveexec_b64 s[46:47], vcc
	s_xor_b64 s[46:47], exec, s[46:47]
	s_cbranch_execz .LBB45_38
; %bb.31:                               ;   in Loop: Header=BB45_30 Depth=3
	v_cmp_ne_u32_e32 vcc, s42, v36
                                        ; implicit-def: $sgpr50_sgpr51
	s_and_saveexec_b64 s[52:53], vcc
	s_xor_b64 s[52:53], exec, s[52:53]
; %bb.32:                               ;   in Loop: Header=BB45_30 Depth=3
	v_add_u32_e32 v34, 1, v34
	v_and_b32_e32 v34, 7, v34
	s_mov_b64 s[50:51], -1
                                        ; implicit-def: $vgpr35
; %bb.33:                               ;   in Loop: Header=BB45_30 Depth=3
	s_andn2_saveexec_b64 s[52:53], s[52:53]
	s_cbranch_execz .LBB45_37
; %bb.34:                               ;   in Loop: Header=BB45_30 Depth=3
	v_mov_b32_e32 v36, s42
	ds_cmpst_rtn_b32 v35, v35, v36, v5
	s_mov_b64 s[54:55], -1
	s_waitcnt lgkmcnt(0)
	v_cmp_eq_u32_e32 vcc, s42, v35
	s_and_saveexec_b64 s[56:57], vcc
	s_cbranch_execz .LBB45_36
; %bb.35:                               ;   in Loop: Header=BB45_30 Depth=3
	v_lshl_add_u32 v35, v34, 5, v16
	ds_add_f32 v35, v33
	ds_add_f32 v35, v32 offset:4
	s_xor_b64 s[54:55], exec, -1
.LBB45_36:                              ;   in Loop: Header=BB45_30 Depth=3
	s_or_b64 exec, exec, s[56:57]
	s_andn2_b64 s[50:51], s[50:51], exec
	s_and_b64 s[54:55], s[54:55], exec
	s_or_b64 s[50:51], s[50:51], s[54:55]
.LBB45_37:                              ;   in Loop: Header=BB45_30 Depth=3
	s_or_b64 exec, exec, s[52:53]
	s_and_b64 s[50:51], s[50:51], exec
.LBB45_38:                              ;   in Loop: Header=BB45_30 Depth=3
	s_andn2_saveexec_b64 s[46:47], s[46:47]
	s_cbranch_execz .LBB45_29
; %bb.39:                               ;   in Loop: Header=BB45_30 Depth=3
	v_lshl_add_u32 v35, v34, 5, v16
	ds_add_f32 v35, v33
	ds_add_f32 v35, v32 offset:4
	s_andn2_b64 s[50:51], s[50:51], exec
	s_branch .LBB45_29
.LBB45_40:                              ;   in Loop: Header=BB45_28 Depth=2
	s_or_b64 exec, exec, s[44:45]
	s_waitcnt vmcnt(0)
	v_mul_f32_e64 v33, v9, -v29
	v_mul_f32_e32 v32, v30, v9
	v_fmac_f32_e32 v33, v30, v8
	v_fmac_f32_e32 v32, v29, v8
	;; [unrolled: 1-line block ×4, first 2 shown]
	v_fma_f32 v33, -v24, v7, v33
	v_fmac_f32_e32 v32, v23, v7
	s_mov_b64 s[44:45], 0
	v_mov_b32_e32 v34, v31
	s_branch .LBB45_42
.LBB45_41:                              ;   in Loop: Header=BB45_42 Depth=3
	s_or_b64 exec, exec, s[46:47]
	s_xor_b64 s[46:47], s[50:51], -1
	s_and_b64 s[46:47], exec, s[46:47]
	s_or_b64 s[44:45], s[46:47], s[44:45]
	s_andn2_b64 exec, exec, s[44:45]
	s_cbranch_execz .LBB45_52
.LBB45_42:                              ;   Parent Loop BB45_25 Depth=1
                                        ;     Parent Loop BB45_28 Depth=2
                                        ; =>    This Inner Loop Header: Depth=3
	v_lshl_add_u32 v35, v34, 2, v15
	ds_read_b32 v36, v35
                                        ; implicit-def: $sgpr50_sgpr51
	s_waitcnt lgkmcnt(0)
	v_cmp_ne_u32_e32 vcc, v36, v5
	s_and_saveexec_b64 s[46:47], vcc
	s_xor_b64 s[46:47], exec, s[46:47]
	s_cbranch_execz .LBB45_50
; %bb.43:                               ;   in Loop: Header=BB45_42 Depth=3
	v_cmp_ne_u32_e32 vcc, s42, v36
                                        ; implicit-def: $sgpr50_sgpr51
	s_and_saveexec_b64 s[52:53], vcc
	s_xor_b64 s[52:53], exec, s[52:53]
; %bb.44:                               ;   in Loop: Header=BB45_42 Depth=3
	v_add_u32_e32 v34, 1, v34
	v_and_b32_e32 v34, 7, v34
	s_mov_b64 s[50:51], -1
                                        ; implicit-def: $vgpr35
; %bb.45:                               ;   in Loop: Header=BB45_42 Depth=3
	s_andn2_saveexec_b64 s[52:53], s[52:53]
	s_cbranch_execz .LBB45_49
; %bb.46:                               ;   in Loop: Header=BB45_42 Depth=3
	v_mov_b32_e32 v36, s42
	ds_cmpst_rtn_b32 v35, v35, v36, v5
	s_mov_b64 s[54:55], -1
	s_waitcnt lgkmcnt(0)
	v_cmp_eq_u32_e32 vcc, s42, v35
	s_and_saveexec_b64 s[56:57], vcc
	s_cbranch_execz .LBB45_48
; %bb.47:                               ;   in Loop: Header=BB45_42 Depth=3
	v_lshl_add_u32 v35, v34, 5, v18
	ds_add_f32 v35, v33
	ds_add_f32 v35, v32 offset:4
	s_xor_b64 s[54:55], exec, -1
.LBB45_48:                              ;   in Loop: Header=BB45_42 Depth=3
	s_or_b64 exec, exec, s[56:57]
	s_andn2_b64 s[50:51], s[50:51], exec
	s_and_b64 s[54:55], s[54:55], exec
	s_or_b64 s[50:51], s[50:51], s[54:55]
.LBB45_49:                              ;   in Loop: Header=BB45_42 Depth=3
	s_or_b64 exec, exec, s[52:53]
	s_and_b64 s[50:51], s[50:51], exec
.LBB45_50:                              ;   in Loop: Header=BB45_42 Depth=3
	s_andn2_saveexec_b64 s[46:47], s[46:47]
	s_cbranch_execz .LBB45_41
; %bb.51:                               ;   in Loop: Header=BB45_42 Depth=3
	v_lshl_add_u32 v35, v34, 5, v18
	ds_add_f32 v35, v33
	ds_add_f32 v35, v32 offset:4
	s_andn2_b64 s[50:51], s[50:51], exec
	s_branch .LBB45_41
.LBB45_52:                              ;   in Loop: Header=BB45_28 Depth=2
	s_or_b64 exec, exec, s[44:45]
	v_mul_f32_e64 v32, v13, -v27
	v_mul_f32_e32 v13, v28, v13
	v_fmac_f32_e32 v32, v28, v12
	v_fmac_f32_e32 v13, v27, v12
	;; [unrolled: 1-line block ×4, first 2 shown]
	v_fma_f32 v12, -v26, v11, v32
	v_fmac_f32_e32 v13, v25, v11
	s_mov_b64 s[44:45], 0
	v_mov_b32_e32 v10, v31
	s_branch .LBB45_54
.LBB45_53:                              ;   in Loop: Header=BB45_54 Depth=3
	s_or_b64 exec, exec, s[46:47]
	s_xor_b64 s[46:47], s[50:51], -1
	s_and_b64 s[46:47], exec, s[46:47]
	s_or_b64 s[44:45], s[46:47], s[44:45]
	s_andn2_b64 exec, exec, s[44:45]
	s_cbranch_execz .LBB45_64
.LBB45_54:                              ;   Parent Loop BB45_25 Depth=1
                                        ;     Parent Loop BB45_28 Depth=2
                                        ; =>    This Inner Loop Header: Depth=3
	v_lshl_add_u32 v11, v10, 2, v15
	ds_read_b32 v32, v11
                                        ; implicit-def: $sgpr50_sgpr51
	s_waitcnt lgkmcnt(0)
	v_cmp_ne_u32_e32 vcc, v32, v5
	s_and_saveexec_b64 s[46:47], vcc
	s_xor_b64 s[46:47], exec, s[46:47]
	s_cbranch_execz .LBB45_62
; %bb.55:                               ;   in Loop: Header=BB45_54 Depth=3
	v_cmp_ne_u32_e32 vcc, s42, v32
                                        ; implicit-def: $sgpr50_sgpr51
	s_and_saveexec_b64 s[52:53], vcc
	s_xor_b64 s[52:53], exec, s[52:53]
; %bb.56:                               ;   in Loop: Header=BB45_54 Depth=3
	v_add_u32_e32 v10, 1, v10
	v_and_b32_e32 v10, 7, v10
	s_mov_b64 s[50:51], -1
                                        ; implicit-def: $vgpr11
; %bb.57:                               ;   in Loop: Header=BB45_54 Depth=3
	s_andn2_saveexec_b64 s[52:53], s[52:53]
	s_cbranch_execz .LBB45_61
; %bb.58:                               ;   in Loop: Header=BB45_54 Depth=3
	v_mov_b32_e32 v32, s42
	ds_cmpst_rtn_b32 v11, v11, v32, v5
	s_mov_b64 s[54:55], -1
	s_waitcnt lgkmcnt(0)
	v_cmp_eq_u32_e32 vcc, s42, v11
	s_and_saveexec_b64 s[56:57], vcc
	s_cbranch_execz .LBB45_60
; %bb.59:                               ;   in Loop: Header=BB45_54 Depth=3
	v_lshl_add_u32 v11, v10, 5, v19
	ds_add_f32 v11, v12
	ds_add_f32 v11, v13 offset:4
	s_xor_b64 s[54:55], exec, -1
.LBB45_60:                              ;   in Loop: Header=BB45_54 Depth=3
	s_or_b64 exec, exec, s[56:57]
	s_andn2_b64 s[50:51], s[50:51], exec
	s_and_b64 s[54:55], s[54:55], exec
	s_or_b64 s[50:51], s[50:51], s[54:55]
.LBB45_61:                              ;   in Loop: Header=BB45_54 Depth=3
	s_or_b64 exec, exec, s[52:53]
	s_and_b64 s[50:51], s[50:51], exec
.LBB45_62:                              ;   in Loop: Header=BB45_54 Depth=3
	s_andn2_saveexec_b64 s[46:47], s[46:47]
	s_cbranch_execz .LBB45_53
; %bb.63:                               ;   in Loop: Header=BB45_54 Depth=3
	v_lshl_add_u32 v11, v10, 5, v19
	ds_add_f32 v11, v12
	ds_add_f32 v11, v13 offset:4
	s_andn2_b64 s[50:51], s[50:51], exec
	s_branch .LBB45_53
.LBB45_64:                              ;   in Loop: Header=BB45_28 Depth=2
	s_or_b64 exec, exec, s[44:45]
	v_mul_f32_e64 v10, v9, -v27
	v_mul_f32_e32 v9, v28, v9
	v_fmac_f32_e32 v10, v28, v8
	v_fmac_f32_e32 v9, v27, v8
	;; [unrolled: 1-line block ×4, first 2 shown]
	v_fma_f32 v8, -v26, v7, v10
	v_fmac_f32_e32 v9, v25, v7
	s_mov_b64 s[44:45], 0
	s_branch .LBB45_66
.LBB45_65:                              ;   in Loop: Header=BB45_66 Depth=3
	s_or_b64 exec, exec, s[46:47]
	s_xor_b64 s[46:47], s[50:51], -1
	s_and_b64 s[46:47], exec, s[46:47]
	s_or_b64 s[44:45], s[46:47], s[44:45]
	s_andn2_b64 exec, exec, s[44:45]
	s_cbranch_execz .LBB45_27
.LBB45_66:                              ;   Parent Loop BB45_25 Depth=1
                                        ;     Parent Loop BB45_28 Depth=2
                                        ; =>    This Inner Loop Header: Depth=3
	v_lshl_add_u32 v6, v31, 2, v15
	ds_read_b32 v7, v6
                                        ; implicit-def: $sgpr50_sgpr51
	s_waitcnt lgkmcnt(0)
	v_cmp_ne_u32_e32 vcc, v7, v5
	s_and_saveexec_b64 s[46:47], vcc
	s_xor_b64 s[46:47], exec, s[46:47]
	s_cbranch_execz .LBB45_74
; %bb.67:                               ;   in Loop: Header=BB45_66 Depth=3
	v_cmp_ne_u32_e32 vcc, s42, v7
                                        ; implicit-def: $sgpr50_sgpr51
	s_and_saveexec_b64 s[52:53], vcc
	s_xor_b64 s[52:53], exec, s[52:53]
; %bb.68:                               ;   in Loop: Header=BB45_66 Depth=3
	v_add_u32_e32 v6, 1, v31
	v_and_b32_e32 v31, 7, v6
	s_mov_b64 s[50:51], -1
                                        ; implicit-def: $vgpr6
; %bb.69:                               ;   in Loop: Header=BB45_66 Depth=3
	s_andn2_saveexec_b64 s[52:53], s[52:53]
	s_cbranch_execz .LBB45_73
; %bb.70:                               ;   in Loop: Header=BB45_66 Depth=3
	v_mov_b32_e32 v7, s42
	ds_cmpst_rtn_b32 v6, v6, v7, v5
	s_mov_b64 s[54:55], -1
	s_waitcnt lgkmcnt(0)
	v_cmp_eq_u32_e32 vcc, s42, v6
	s_and_saveexec_b64 s[56:57], vcc
	s_cbranch_execz .LBB45_72
; %bb.71:                               ;   in Loop: Header=BB45_66 Depth=3
	v_lshl_add_u32 v6, v31, 5, v20
	ds_add_f32 v6, v8
	ds_add_f32 v6, v9 offset:4
	s_xor_b64 s[54:55], exec, -1
.LBB45_72:                              ;   in Loop: Header=BB45_66 Depth=3
	s_or_b64 exec, exec, s[56:57]
	s_andn2_b64 s[50:51], s[50:51], exec
	s_and_b64 s[54:55], s[54:55], exec
	s_or_b64 s[50:51], s[50:51], s[54:55]
.LBB45_73:                              ;   in Loop: Header=BB45_66 Depth=3
	s_or_b64 exec, exec, s[52:53]
	s_and_b64 s[50:51], s[50:51], exec
.LBB45_74:                              ;   in Loop: Header=BB45_66 Depth=3
	s_andn2_saveexec_b64 s[46:47], s[46:47]
	s_cbranch_execz .LBB45_65
; %bb.75:                               ;   in Loop: Header=BB45_66 Depth=3
	v_lshl_add_u32 v6, v31, 5, v20
	ds_add_f32 v6, v8
	ds_add_f32 v6, v9 offset:4
	s_andn2_b64 s[50:51], s[50:51], exec
	s_branch .LBB45_65
.LBB45_76:
	s_or_b64 exec, exec, s[4:5]
	s_andn2_b64 vcc, exec, s[48:49]
	s_waitcnt lgkmcnt(0)
	s_cbranch_vccnz .LBB45_20
.LBB45_77:
	v_lshlrev_b64 v[2:3], 2, v[0:1]
	v_mov_b32_e32 v4, s23
	v_add_co_u32_e32 v2, vcc, s22, v2
	v_addc_co_u32_e32 v3, vcc, v4, v3, vcc
	global_load_dwordx2 v[2:3], v[2:3], off
	v_subrev_u32_e32 v4, s39, v14
	s_waitcnt vmcnt(0)
	v_subrev_u32_e32 v10, s39, v3
	v_add_u32_e32 v2, v2, v4
	v_cmp_lt_i32_e32 vcc, v2, v10
	s_and_saveexec_b64 s[4:5], vcc
	s_cbranch_execz .LBB45_128
; %bb.78:
	s_cmp_eq_u32 s40, 0
	s_cselect_b32 s28, 1, 2
	s_cselect_b32 s29, 2, 1
	v_add_u32_e32 v11, 8, v16
	v_add_u32_e32 v12, 16, v16
	;; [unrolled: 1-line block ×3, first 2 shown]
	s_mov_b64 s[6:7], 0
	v_mov_b32_e32 v17, s11
	v_mov_b32_e32 v18, s9
	s_branch .LBB45_80
.LBB45_79:                              ;   in Loop: Header=BB45_80 Depth=1
	s_or_b64 exec, exec, s[16:17]
	v_add_u32_e32 v2, 16, v2
	v_cmp_ge_i32_e32 vcc, v2, v10
	s_or_b64 s[6:7], vcc, s[6:7]
	s_andn2_b64 exec, exec, s[6:7]
	s_cbranch_execz .LBB45_128
.LBB45_80:                              ; =>This Loop Header: Depth=1
                                        ;     Child Loop BB45_82 Depth 2
                                        ;     Child Loop BB45_94 Depth 2
	;; [unrolled: 1-line block ×4, first 2 shown]
	v_lshlrev_b32_e32 v4, 2, v2
	v_ashrrev_i32_e32 v5, 31, v4
	v_lshlrev_b64 v[6:7], 3, v[4:5]
	v_add_co_u32_e32 v20, vcc, s10, v6
	v_or_b32_e32 v6, s28, v4
	v_addc_co_u32_e32 v21, vcc, v17, v7, vcc
	v_ashrrev_i32_e32 v7, 31, v6
	v_lshlrev_b64 v[6:7], 3, v[6:7]
	v_ashrrev_i32_e32 v3, 31, v2
	v_add_co_u32_e32 v24, vcc, s10, v6
	v_addc_co_u32_e32 v25, vcc, v17, v7, vcc
	v_lshlrev_b64 v[6:7], 2, v[2:3]
	v_or_b32_e32 v4, s29, v4
	v_add_co_u32_e32 v6, vcc, s8, v6
	v_ashrrev_i32_e32 v5, 31, v4
	v_addc_co_u32_e32 v7, vcc, v18, v7, vcc
	v_lshlrev_b64 v[4:5], 3, v[4:5]
	global_load_dword v3, v[6:7], off
	global_load_dwordx2 v[22:23], v[20:21], off
	v_add_co_u32_e32 v26, vcc, s10, v4
	v_addc_co_u32_e32 v27, vcc, v17, v5, vcc
	global_load_dwordx2 v[4:5], v[20:21], off offset:24
	global_load_dwordx2 v[8:9], v[24:25], off
	global_load_dwordx2 v[6:7], v[26:27], off
	s_mov_b64 s[16:17], 0
	s_waitcnt vmcnt(4)
	v_subrev_u32_e32 v3, s39, v3
	s_waitcnt vmcnt(3)
	v_mul_f32_e64 v20, v23, -s34
	v_mul_f32_e32 v21, s33, v23
	v_and_b32_e32 v19, 7, v3
	v_fmac_f32_e32 v20, s33, v22
	v_fmac_f32_e32 v21, s34, v22
	v_mov_b32_e32 v22, v19
	s_branch .LBB45_82
.LBB45_81:                              ;   in Loop: Header=BB45_82 Depth=2
	s_or_b64 exec, exec, s[18:19]
	s_xor_b64 s[18:19], s[20:21], -1
	s_and_b64 s[18:19], exec, s[18:19]
	s_or_b64 s[16:17], s[18:19], s[16:17]
	s_andn2_b64 exec, exec, s[16:17]
	s_cbranch_execz .LBB45_92
.LBB45_82:                              ;   Parent Loop BB45_80 Depth=1
                                        ; =>  This Inner Loop Header: Depth=2
	v_lshl_add_u32 v23, v22, 2, v15
	ds_read_b32 v24, v23
                                        ; implicit-def: $sgpr20_sgpr21
	s_waitcnt lgkmcnt(0)
	v_cmp_ne_u32_e32 vcc, v24, v3
	s_and_saveexec_b64 s[18:19], vcc
	s_xor_b64 s[18:19], exec, s[18:19]
	s_cbranch_execz .LBB45_90
; %bb.83:                               ;   in Loop: Header=BB45_82 Depth=2
	v_cmp_ne_u32_e32 vcc, s42, v24
                                        ; implicit-def: $sgpr20_sgpr21
	s_and_saveexec_b64 s[22:23], vcc
	s_xor_b64 s[22:23], exec, s[22:23]
; %bb.84:                               ;   in Loop: Header=BB45_82 Depth=2
	v_add_u32_e32 v22, 1, v22
	v_and_b32_e32 v22, 7, v22
	s_mov_b64 s[20:21], -1
                                        ; implicit-def: $vgpr23
; %bb.85:                               ;   in Loop: Header=BB45_82 Depth=2
	s_andn2_saveexec_b64 s[22:23], s[22:23]
	s_cbranch_execz .LBB45_89
; %bb.86:                               ;   in Loop: Header=BB45_82 Depth=2
	v_mov_b32_e32 v24, s42
	ds_cmpst_rtn_b32 v23, v23, v24, v3
	s_mov_b64 s[24:25], -1
	s_waitcnt lgkmcnt(0)
	v_cmp_eq_u32_e32 vcc, s42, v23
	s_and_saveexec_b64 s[26:27], vcc
	s_cbranch_execz .LBB45_88
; %bb.87:                               ;   in Loop: Header=BB45_82 Depth=2
	v_lshl_add_u32 v23, v22, 5, v16
	ds_add_f32 v23, v20
	ds_add_f32 v23, v21 offset:4
	s_xor_b64 s[24:25], exec, -1
.LBB45_88:                              ;   in Loop: Header=BB45_82 Depth=2
	s_or_b64 exec, exec, s[26:27]
	s_andn2_b64 s[20:21], s[20:21], exec
	s_and_b64 s[24:25], s[24:25], exec
	s_or_b64 s[20:21], s[20:21], s[24:25]
.LBB45_89:                              ;   in Loop: Header=BB45_82 Depth=2
	s_or_b64 exec, exec, s[22:23]
	s_and_b64 s[20:21], s[20:21], exec
.LBB45_90:                              ;   in Loop: Header=BB45_82 Depth=2
	s_andn2_saveexec_b64 s[18:19], s[18:19]
	s_cbranch_execz .LBB45_81
; %bb.91:                               ;   in Loop: Header=BB45_82 Depth=2
	v_lshl_add_u32 v23, v22, 5, v16
	ds_add_f32 v23, v20
	ds_add_f32 v23, v21 offset:4
	s_andn2_b64 s[20:21], s[20:21], exec
	s_branch .LBB45_81
.LBB45_92:                              ;   in Loop: Header=BB45_80 Depth=1
	s_or_b64 exec, exec, s[16:17]
	s_waitcnt vmcnt(1)
	v_mul_f32_e64 v20, v9, -s34
	v_mul_f32_e32 v9, s33, v9
	v_fmac_f32_e32 v20, s33, v8
	v_fmac_f32_e32 v9, s34, v8
	s_mov_b64 s[16:17], 0
	v_mov_b32_e32 v8, v19
	s_branch .LBB45_94
.LBB45_93:                              ;   in Loop: Header=BB45_94 Depth=2
	s_or_b64 exec, exec, s[18:19]
	s_xor_b64 s[18:19], s[20:21], -1
	s_and_b64 s[18:19], exec, s[18:19]
	s_or_b64 s[16:17], s[18:19], s[16:17]
	s_andn2_b64 exec, exec, s[16:17]
	s_cbranch_execz .LBB45_104
.LBB45_94:                              ;   Parent Loop BB45_80 Depth=1
                                        ; =>  This Inner Loop Header: Depth=2
	v_lshl_add_u32 v21, v8, 2, v15
	ds_read_b32 v22, v21
                                        ; implicit-def: $sgpr20_sgpr21
	s_waitcnt lgkmcnt(0)
	v_cmp_ne_u32_e32 vcc, v22, v3
	s_and_saveexec_b64 s[18:19], vcc
	s_xor_b64 s[18:19], exec, s[18:19]
	s_cbranch_execz .LBB45_102
; %bb.95:                               ;   in Loop: Header=BB45_94 Depth=2
	v_cmp_ne_u32_e32 vcc, s42, v22
                                        ; implicit-def: $sgpr20_sgpr21
	s_and_saveexec_b64 s[22:23], vcc
	s_xor_b64 s[22:23], exec, s[22:23]
; %bb.96:                               ;   in Loop: Header=BB45_94 Depth=2
	v_add_u32_e32 v8, 1, v8
	v_and_b32_e32 v8, 7, v8
	s_mov_b64 s[20:21], -1
                                        ; implicit-def: $vgpr21
; %bb.97:                               ;   in Loop: Header=BB45_94 Depth=2
	s_andn2_saveexec_b64 s[22:23], s[22:23]
	s_cbranch_execz .LBB45_101
; %bb.98:                               ;   in Loop: Header=BB45_94 Depth=2
	v_mov_b32_e32 v22, s42
	ds_cmpst_rtn_b32 v21, v21, v22, v3
	s_mov_b64 s[24:25], -1
	s_waitcnt lgkmcnt(0)
	v_cmp_eq_u32_e32 vcc, s42, v21
	s_and_saveexec_b64 s[26:27], vcc
	s_cbranch_execz .LBB45_100
; %bb.99:                               ;   in Loop: Header=BB45_94 Depth=2
	v_lshl_add_u32 v21, v8, 5, v11
	ds_add_f32 v21, v20
	ds_add_f32 v21, v9 offset:4
	s_xor_b64 s[24:25], exec, -1
.LBB45_100:                             ;   in Loop: Header=BB45_94 Depth=2
	s_or_b64 exec, exec, s[26:27]
	s_andn2_b64 s[20:21], s[20:21], exec
	s_and_b64 s[24:25], s[24:25], exec
	s_or_b64 s[20:21], s[20:21], s[24:25]
.LBB45_101:                             ;   in Loop: Header=BB45_94 Depth=2
	s_or_b64 exec, exec, s[22:23]
	s_and_b64 s[20:21], s[20:21], exec
.LBB45_102:                             ;   in Loop: Header=BB45_94 Depth=2
	s_andn2_saveexec_b64 s[18:19], s[18:19]
	s_cbranch_execz .LBB45_93
; %bb.103:                              ;   in Loop: Header=BB45_94 Depth=2
	v_lshl_add_u32 v21, v8, 5, v11
	ds_add_f32 v21, v20
	ds_add_f32 v21, v9 offset:4
	s_andn2_b64 s[20:21], s[20:21], exec
	s_branch .LBB45_93
.LBB45_104:                             ;   in Loop: Header=BB45_80 Depth=1
	s_or_b64 exec, exec, s[16:17]
	s_waitcnt vmcnt(0)
	v_mul_f32_e64 v8, v7, -s34
	v_mul_f32_e32 v7, s33, v7
	v_fmac_f32_e32 v8, s33, v6
	v_fmac_f32_e32 v7, s34, v6
	s_mov_b64 s[16:17], 0
	v_mov_b32_e32 v6, v19
	s_branch .LBB45_106
.LBB45_105:                             ;   in Loop: Header=BB45_106 Depth=2
	s_or_b64 exec, exec, s[18:19]
	s_xor_b64 s[18:19], s[20:21], -1
	s_and_b64 s[18:19], exec, s[18:19]
	s_or_b64 s[16:17], s[18:19], s[16:17]
	s_andn2_b64 exec, exec, s[16:17]
	s_cbranch_execz .LBB45_116
.LBB45_106:                             ;   Parent Loop BB45_80 Depth=1
                                        ; =>  This Inner Loop Header: Depth=2
	v_lshl_add_u32 v9, v6, 2, v15
	ds_read_b32 v20, v9
                                        ; implicit-def: $sgpr20_sgpr21
	s_waitcnt lgkmcnt(0)
	v_cmp_ne_u32_e32 vcc, v20, v3
	s_and_saveexec_b64 s[18:19], vcc
	s_xor_b64 s[18:19], exec, s[18:19]
	s_cbranch_execz .LBB45_114
; %bb.107:                              ;   in Loop: Header=BB45_106 Depth=2
	v_cmp_ne_u32_e32 vcc, s42, v20
                                        ; implicit-def: $sgpr20_sgpr21
	s_and_saveexec_b64 s[22:23], vcc
	s_xor_b64 s[22:23], exec, s[22:23]
; %bb.108:                              ;   in Loop: Header=BB45_106 Depth=2
	v_add_u32_e32 v6, 1, v6
	v_and_b32_e32 v6, 7, v6
	s_mov_b64 s[20:21], -1
                                        ; implicit-def: $vgpr9
; %bb.109:                              ;   in Loop: Header=BB45_106 Depth=2
	s_andn2_saveexec_b64 s[22:23], s[22:23]
	s_cbranch_execz .LBB45_113
; %bb.110:                              ;   in Loop: Header=BB45_106 Depth=2
	v_mov_b32_e32 v20, s42
	ds_cmpst_rtn_b32 v9, v9, v20, v3
	s_mov_b64 s[24:25], -1
	s_waitcnt lgkmcnt(0)
	v_cmp_eq_u32_e32 vcc, s42, v9
	s_and_saveexec_b64 s[26:27], vcc
	s_cbranch_execz .LBB45_112
; %bb.111:                              ;   in Loop: Header=BB45_106 Depth=2
	v_lshl_add_u32 v9, v6, 5, v12
	ds_add_f32 v9, v8
	ds_add_f32 v9, v7 offset:4
	s_xor_b64 s[24:25], exec, -1
.LBB45_112:                             ;   in Loop: Header=BB45_106 Depth=2
	s_or_b64 exec, exec, s[26:27]
	s_andn2_b64 s[20:21], s[20:21], exec
	s_and_b64 s[24:25], s[24:25], exec
	s_or_b64 s[20:21], s[20:21], s[24:25]
.LBB45_113:                             ;   in Loop: Header=BB45_106 Depth=2
	s_or_b64 exec, exec, s[22:23]
	s_and_b64 s[20:21], s[20:21], exec
.LBB45_114:                             ;   in Loop: Header=BB45_106 Depth=2
	s_andn2_saveexec_b64 s[18:19], s[18:19]
	s_cbranch_execz .LBB45_105
; %bb.115:                              ;   in Loop: Header=BB45_106 Depth=2
	v_lshl_add_u32 v9, v6, 5, v12
	ds_add_f32 v9, v8
	ds_add_f32 v9, v7 offset:4
	s_andn2_b64 s[20:21], s[20:21], exec
	s_branch .LBB45_105
.LBB45_116:                             ;   in Loop: Header=BB45_80 Depth=1
	s_or_b64 exec, exec, s[16:17]
	v_mul_f32_e64 v6, v5, -s34
	v_mul_f32_e32 v5, s33, v5
	v_fmac_f32_e32 v6, s33, v4
	v_fmac_f32_e32 v5, s34, v4
	s_mov_b64 s[16:17], 0
	s_branch .LBB45_118
.LBB45_117:                             ;   in Loop: Header=BB45_118 Depth=2
	s_or_b64 exec, exec, s[18:19]
	s_xor_b64 s[18:19], s[20:21], -1
	s_and_b64 s[18:19], exec, s[18:19]
	s_or_b64 s[16:17], s[18:19], s[16:17]
	s_andn2_b64 exec, exec, s[16:17]
	s_cbranch_execz .LBB45_79
.LBB45_118:                             ;   Parent Loop BB45_80 Depth=1
                                        ; =>  This Inner Loop Header: Depth=2
	v_lshl_add_u32 v4, v19, 2, v15
	ds_read_b32 v7, v4
                                        ; implicit-def: $sgpr20_sgpr21
	s_waitcnt lgkmcnt(0)
	v_cmp_ne_u32_e32 vcc, v7, v3
	s_and_saveexec_b64 s[18:19], vcc
	s_xor_b64 s[18:19], exec, s[18:19]
	s_cbranch_execz .LBB45_126
; %bb.119:                              ;   in Loop: Header=BB45_118 Depth=2
	v_cmp_ne_u32_e32 vcc, s42, v7
                                        ; implicit-def: $sgpr20_sgpr21
	s_and_saveexec_b64 s[22:23], vcc
	s_xor_b64 s[22:23], exec, s[22:23]
; %bb.120:                              ;   in Loop: Header=BB45_118 Depth=2
	v_add_u32_e32 v4, 1, v19
	v_and_b32_e32 v19, 7, v4
	s_mov_b64 s[20:21], -1
                                        ; implicit-def: $vgpr4
; %bb.121:                              ;   in Loop: Header=BB45_118 Depth=2
	s_andn2_saveexec_b64 s[22:23], s[22:23]
	s_cbranch_execz .LBB45_125
; %bb.122:                              ;   in Loop: Header=BB45_118 Depth=2
	v_mov_b32_e32 v7, s42
	ds_cmpst_rtn_b32 v4, v4, v7, v3
	s_mov_b64 s[24:25], -1
	s_waitcnt lgkmcnt(0)
	v_cmp_eq_u32_e32 vcc, s42, v4
	s_and_saveexec_b64 s[26:27], vcc
	s_cbranch_execz .LBB45_124
; %bb.123:                              ;   in Loop: Header=BB45_118 Depth=2
	v_lshl_add_u32 v4, v19, 5, v13
	ds_add_f32 v4, v6
	ds_add_f32 v4, v5 offset:4
	s_xor_b64 s[24:25], exec, -1
.LBB45_124:                             ;   in Loop: Header=BB45_118 Depth=2
	s_or_b64 exec, exec, s[26:27]
	s_andn2_b64 s[20:21], s[20:21], exec
	s_and_b64 s[24:25], s[24:25], exec
	s_or_b64 s[20:21], s[20:21], s[24:25]
.LBB45_125:                             ;   in Loop: Header=BB45_118 Depth=2
	s_or_b64 exec, exec, s[22:23]
	s_and_b64 s[20:21], s[20:21], exec
.LBB45_126:                             ;   in Loop: Header=BB45_118 Depth=2
	s_andn2_saveexec_b64 s[18:19], s[18:19]
	s_cbranch_execz .LBB45_117
; %bb.127:                              ;   in Loop: Header=BB45_118 Depth=2
	v_lshl_add_u32 v4, v19, 5, v13
	ds_add_f32 v4, v6
	ds_add_f32 v4, v5 offset:4
	s_andn2_b64 s[20:21], s[20:21], exec
	s_branch .LBB45_117
.LBB45_128:
	s_or_b64 exec, exec, s[4:5]
	s_waitcnt lgkmcnt(0)
	s_and_b64 exec, exec, s[0:1]
	s_cbranch_execz .LBB45_21
.LBB45_129:
	v_lshl_add_u32 v2, v14, 2, v15
	ds_read_b32 v2, v2
	s_waitcnt lgkmcnt(0)
	v_cmp_gt_i32_e32 vcc, s42, v2
	s_and_b64 exec, exec, vcc
	s_cbranch_execz .LBB45_21
; %bb.130:
	v_lshlrev_b64 v[0:1], 2, v[0:1]
	v_mov_b32_e32 v3, s13
	v_add_co_u32_e32 v0, vcc, s12, v0
	v_addc_co_u32_e32 v1, vcc, v3, v1, vcc
	global_load_dword v0, v[0:1], off
	ds_read_b128 v[4:7], v15
	ds_read_b128 v[8:11], v15 offset:16
	v_lshl_add_u32 v3, v14, 5, v16
	v_lshlrev_b32_e32 v1, 2, v14
	ds_read2_b64 v[12:15], v3 offset1:3
	s_waitcnt lgkmcnt(2)
	v_cmp_gt_i32_e32 vcc, v2, v4
	v_cndmask_b32_e64 v4, 0, 1, vcc
	v_cmp_gt_i32_e32 vcc, v2, v6
	v_cndmask_b32_e64 v6, 0, 1, vcc
	s_waitcnt lgkmcnt(1)
	v_cmp_gt_i32_e32 vcc, v2, v8
	v_cndmask_b32_e64 v8, 0, 1, vcc
	v_cmp_gt_i32_e32 vcc, v2, v10
	v_cndmask_b32_e64 v10, 0, 1, vcc
	v_cmp_gt_i32_e32 vcc, v2, v5
	s_cmp_eq_u32 s40, 0
	s_cselect_b32 s0, 1, 2
	s_cselect_b32 s1, 2, 1
	v_or_b32_e32 v3, s0, v1
	v_or_b32_e32 v1, s1, v1
	v_lshl_add_u32 v3, v3, 3, v16
	v_lshl_add_u32 v1, v1, 3, v16
	s_waitcnt lgkmcnt(0)
	v_mov_b32_e32 v16, v12
	v_mov_b32_e32 v17, v13
	ds_read_b64 v[18:19], v3
	ds_read_b64 v[12:13], v1
	v_add_u32_e32 v20, s38, v2
	v_mov_b32_e32 v21, s15
	v_mov_b32_e32 v22, s3
	s_waitcnt vmcnt(0)
	v_subrev_u32_e32 v0, s38, v0
	v_addc_co_u32_e32 v0, vcc, v0, v4, vcc
	v_cmp_gt_i32_e32 vcc, v2, v7
	v_addc_co_u32_e32 v0, vcc, v0, v6, vcc
	v_cmp_gt_i32_e32 vcc, v2, v9
	;; [unrolled: 2-line block ×3, first 2 shown]
	v_addc_co_u32_e32 v0, vcc, v0, v10, vcc
	v_ashrrev_i32_e32 v1, 31, v0
	v_lshlrev_b32_e32 v2, 2, v0
	v_lshlrev_b64 v[0:1], 2, v[0:1]
	v_ashrrev_i32_e32 v3, 31, v2
	v_add_co_u32_e32 v0, vcc, s14, v0
	v_addc_co_u32_e32 v1, vcc, v21, v1, vcc
	v_lshlrev_b64 v[2:3], 3, v[2:3]
	global_store_dword v[0:1], v20, off
	v_add_co_u32_e32 v0, vcc, s2, v2
	v_addc_co_u32_e32 v1, vcc, v22, v3, vcc
	s_waitcnt lgkmcnt(1)
	global_store_dwordx4 v[0:1], v[16:19], off
	s_waitcnt lgkmcnt(0)
	global_store_dwordx4 v[0:1], v[12:15], off offset:16
	s_endpgm
	.section	.rodata,"a",@progbits
	.p2align	6, 0x0
	.amdhsa_kernel _ZN9rocsparseL27bsrgemm_fill_wf_per_row_2x2ILj256ELj16ELj8ELj137Eii21rocsparse_complex_numIfEEEv20rocsparse_direction_T4_S4_PKS4_S6_NS_24const_host_device_scalarIT5_EEPKT3_S6_PKS8_SC_S6_SE_S9_SC_S6_SE_SC_PS4_PS8_21rocsparse_index_base_SH_SH_SH_bbb
		.amdhsa_group_segment_fixed_size 4608
		.amdhsa_private_segment_fixed_size 0
		.amdhsa_kernarg_size 164
		.amdhsa_user_sgpr_count 6
		.amdhsa_user_sgpr_private_segment_buffer 1
		.amdhsa_user_sgpr_dispatch_ptr 0
		.amdhsa_user_sgpr_queue_ptr 0
		.amdhsa_user_sgpr_kernarg_segment_ptr 1
		.amdhsa_user_sgpr_dispatch_id 0
		.amdhsa_user_sgpr_flat_scratch_init 0
		.amdhsa_user_sgpr_kernarg_preload_length 0
		.amdhsa_user_sgpr_kernarg_preload_offset 0
		.amdhsa_user_sgpr_private_segment_size 0
		.amdhsa_uses_dynamic_stack 0
		.amdhsa_system_sgpr_private_segment_wavefront_offset 0
		.amdhsa_system_sgpr_workgroup_id_x 1
		.amdhsa_system_sgpr_workgroup_id_y 0
		.amdhsa_system_sgpr_workgroup_id_z 0
		.amdhsa_system_sgpr_workgroup_info 0
		.amdhsa_system_vgpr_workitem_id 0
		.amdhsa_next_free_vgpr 38
		.amdhsa_next_free_sgpr 59
		.amdhsa_accum_offset 40
		.amdhsa_reserve_vcc 1
		.amdhsa_reserve_flat_scratch 0
		.amdhsa_float_round_mode_32 0
		.amdhsa_float_round_mode_16_64 0
		.amdhsa_float_denorm_mode_32 3
		.amdhsa_float_denorm_mode_16_64 3
		.amdhsa_dx10_clamp 1
		.amdhsa_ieee_mode 1
		.amdhsa_fp16_overflow 0
		.amdhsa_tg_split 0
		.amdhsa_exception_fp_ieee_invalid_op 0
		.amdhsa_exception_fp_denorm_src 0
		.amdhsa_exception_fp_ieee_div_zero 0
		.amdhsa_exception_fp_ieee_overflow 0
		.amdhsa_exception_fp_ieee_underflow 0
		.amdhsa_exception_fp_ieee_inexact 0
		.amdhsa_exception_int_div_zero 0
	.end_amdhsa_kernel
	.section	.text._ZN9rocsparseL27bsrgemm_fill_wf_per_row_2x2ILj256ELj16ELj8ELj137Eii21rocsparse_complex_numIfEEEv20rocsparse_direction_T4_S4_PKS4_S6_NS_24const_host_device_scalarIT5_EEPKT3_S6_PKS8_SC_S6_SE_S9_SC_S6_SE_SC_PS4_PS8_21rocsparse_index_base_SH_SH_SH_bbb,"axG",@progbits,_ZN9rocsparseL27bsrgemm_fill_wf_per_row_2x2ILj256ELj16ELj8ELj137Eii21rocsparse_complex_numIfEEEv20rocsparse_direction_T4_S4_PKS4_S6_NS_24const_host_device_scalarIT5_EEPKT3_S6_PKS8_SC_S6_SE_S9_SC_S6_SE_SC_PS4_PS8_21rocsparse_index_base_SH_SH_SH_bbb,comdat
.Lfunc_end45:
	.size	_ZN9rocsparseL27bsrgemm_fill_wf_per_row_2x2ILj256ELj16ELj8ELj137Eii21rocsparse_complex_numIfEEEv20rocsparse_direction_T4_S4_PKS4_S6_NS_24const_host_device_scalarIT5_EEPKT3_S6_PKS8_SC_S6_SE_S9_SC_S6_SE_SC_PS4_PS8_21rocsparse_index_base_SH_SH_SH_bbb, .Lfunc_end45-_ZN9rocsparseL27bsrgemm_fill_wf_per_row_2x2ILj256ELj16ELj8ELj137Eii21rocsparse_complex_numIfEEEv20rocsparse_direction_T4_S4_PKS4_S6_NS_24const_host_device_scalarIT5_EEPKT3_S6_PKS8_SC_S6_SE_S9_SC_S6_SE_SC_PS4_PS8_21rocsparse_index_base_SH_SH_SH_bbb
                                        ; -- End function
	.section	.AMDGPU.csdata,"",@progbits
; Kernel info:
; codeLenInByte = 3852
; NumSgprs: 63
; NumVgprs: 38
; NumAgprs: 0
; TotalNumVgprs: 38
; ScratchSize: 0
; MemoryBound: 0
; FloatMode: 240
; IeeeMode: 1
; LDSByteSize: 4608 bytes/workgroup (compile time only)
; SGPRBlocks: 7
; VGPRBlocks: 4
; NumSGPRsForWavesPerEU: 63
; NumVGPRsForWavesPerEU: 38
; AccumOffset: 40
; Occupancy: 8
; WaveLimiterHint : 1
; COMPUTE_PGM_RSRC2:SCRATCH_EN: 0
; COMPUTE_PGM_RSRC2:USER_SGPR: 6
; COMPUTE_PGM_RSRC2:TRAP_HANDLER: 0
; COMPUTE_PGM_RSRC2:TGID_X_EN: 1
; COMPUTE_PGM_RSRC2:TGID_Y_EN: 0
; COMPUTE_PGM_RSRC2:TGID_Z_EN: 0
; COMPUTE_PGM_RSRC2:TIDIG_COMP_CNT: 0
; COMPUTE_PGM_RSRC3_GFX90A:ACCUM_OFFSET: 9
; COMPUTE_PGM_RSRC3_GFX90A:TG_SPLIT: 0
	.section	.text._ZN9rocsparseL27bsrgemm_fill_wf_per_row_2x2ILj256ELj16ELj16ELj137Eii21rocsparse_complex_numIfEEEv20rocsparse_direction_T4_S4_PKS4_S6_NS_24const_host_device_scalarIT5_EEPKT3_S6_PKS8_SC_S6_SE_S9_SC_S6_SE_SC_PS4_PS8_21rocsparse_index_base_SH_SH_SH_bbb,"axG",@progbits,_ZN9rocsparseL27bsrgemm_fill_wf_per_row_2x2ILj256ELj16ELj16ELj137Eii21rocsparse_complex_numIfEEEv20rocsparse_direction_T4_S4_PKS4_S6_NS_24const_host_device_scalarIT5_EEPKT3_S6_PKS8_SC_S6_SE_S9_SC_S6_SE_SC_PS4_PS8_21rocsparse_index_base_SH_SH_SH_bbb,comdat
	.globl	_ZN9rocsparseL27bsrgemm_fill_wf_per_row_2x2ILj256ELj16ELj16ELj137Eii21rocsparse_complex_numIfEEEv20rocsparse_direction_T4_S4_PKS4_S6_NS_24const_host_device_scalarIT5_EEPKT3_S6_PKS8_SC_S6_SE_S9_SC_S6_SE_SC_PS4_PS8_21rocsparse_index_base_SH_SH_SH_bbb ; -- Begin function _ZN9rocsparseL27bsrgemm_fill_wf_per_row_2x2ILj256ELj16ELj16ELj137Eii21rocsparse_complex_numIfEEEv20rocsparse_direction_T4_S4_PKS4_S6_NS_24const_host_device_scalarIT5_EEPKT3_S6_PKS8_SC_S6_SE_S9_SC_S6_SE_SC_PS4_PS8_21rocsparse_index_base_SH_SH_SH_bbb
	.p2align	8
	.type	_ZN9rocsparseL27bsrgemm_fill_wf_per_row_2x2ILj256ELj16ELj16ELj137Eii21rocsparse_complex_numIfEEEv20rocsparse_direction_T4_S4_PKS4_S6_NS_24const_host_device_scalarIT5_EEPKT3_S6_PKS8_SC_S6_SE_S9_SC_S6_SE_SC_PS4_PS8_21rocsparse_index_base_SH_SH_SH_bbb,@function
_ZN9rocsparseL27bsrgemm_fill_wf_per_row_2x2ILj256ELj16ELj16ELj137Eii21rocsparse_complex_numIfEEEv20rocsparse_direction_T4_S4_PKS4_S6_NS_24const_host_device_scalarIT5_EEPKT3_S6_PKS8_SC_S6_SE_S9_SC_S6_SE_SC_PS4_PS8_21rocsparse_index_base_SH_SH_SH_bbb: ; @_ZN9rocsparseL27bsrgemm_fill_wf_per_row_2x2ILj256ELj16ELj16ELj137Eii21rocsparse_complex_numIfEEEv20rocsparse_direction_T4_S4_PKS4_S6_NS_24const_host_device_scalarIT5_EEPKT3_S6_PKS8_SC_S6_SE_S9_SC_S6_SE_SC_PS4_PS8_21rocsparse_index_base_SH_SH_SH_bbb
; %bb.0:
	s_load_dwordx8 s[8:15], s[4:5], 0x68
	s_load_dwordx8 s[16:23], s[4:5], 0x48
	s_load_dword s2, s[4:5], 0xa0
	s_load_dwordx4 s[40:43], s[4:5], 0x10
	s_load_dwordx8 s[24:31], s[4:5], 0x28
	s_load_dwordx2 s[34:35], s[4:5], 0x88
	s_load_dwordx4 s[36:39], s[4:5], 0x90
	s_waitcnt lgkmcnt(0)
	s_bitcmp1_b32 s2, 0
	s_cselect_b64 s[48:49], -1, 0
	s_bitcmp1_b32 s2, 16
	s_cselect_b64 s[0:1], -1, 0
	s_xor_b64 s[0:1], s[0:1], -1
	v_cndmask_b32_e64 v1, 0, 1, s[0:1]
	s_mov_b32 s45, 0
	s_bitcmp0_b32 s2, 0
	v_cmp_ne_u32_e64 s[0:1], 1, v1
	s_mov_b32 s56, 0
	s_cbranch_scc1 .LBB46_5
; %bb.1:
	s_load_dwordx2 s[44:45], s[4:5], 0x20
	s_and_b64 vcc, exec, s[0:1]
	s_waitcnt lgkmcnt(0)
	s_mov_b32 s56, s44
	s_cbranch_vccnz .LBB46_3
; %bb.2:
	s_load_dword s56, s[44:45], 0x0
.LBB46_3:
	s_and_b64 vcc, exec, s[0:1]
	s_cbranch_vccnz .LBB46_5
; %bb.4:
	s_load_dword s45, s[44:45], 0x4
.LBB46_5:
	s_bitcmp1_b32 s2, 8
	s_cselect_b64 s[46:47], -1, 0
	s_bfe_u32 s2, s2, 0x10008
	s_mov_b32 s44, 0
	s_cmp_eq_u32 s2, 0
	s_mov_b32 s33, 0
	s_cbranch_scc1 .LBB46_11
; %bb.6:
	s_and_b64 vcc, exec, s[0:1]
	s_mov_b32 s33, s20
	s_cbranch_vccnz .LBB46_8
; %bb.7:
	s_load_dword s33, s[20:21], 0x0
.LBB46_8:
	s_and_b64 vcc, exec, s[0:1]
	s_cbranch_vccnz .LBB46_10
; %bb.9:
	s_load_dword s21, s[20:21], 0x4
.LBB46_10:
	s_waitcnt lgkmcnt(0)
	s_mov_b32 s44, s21
.LBB46_11:
	s_load_dwordx4 s[0:3], s[4:5], 0x0
	v_and_b32_e32 v14, 15, v0
	v_lshrrev_b32_e32 v2, 4, v0
	v_and_b32_e32 v0, 0xf0, v0
	v_mov_b32_e32 v1, 0x2000
	v_lshl_or_b32 v16, v0, 2, v1
	v_lshl_or_b32 v17, v14, 2, v16
	s_waitcnt lgkmcnt(0)
	v_mov_b32_e32 v0, s2
	ds_write_b32 v17, v0
	v_lshlrev_b32_e32 v0, 3, v14
	v_lshl_or_b32 v4, v2, 9, v0
	v_mov_b32_e32 v0, 0
	v_or_b32_e32 v3, -16, v14
	s_mov_b64 s[4:5], 0
	v_mov_b32_e32 v1, v0
.LBB46_12:                              ; =>This Inner Loop Header: Depth=1
	v_add_u32_e32 v3, 16, v3
	v_cmp_lt_u32_e32 vcc, 47, v3
	ds_write_b64 v4, v[0:1]
	s_or_b64 s[4:5], vcc, s[4:5]
	v_add_u32_e32 v4, 0x80, v4
	s_andn2_b64 exec, exec, s[4:5]
	s_cbranch_execnz .LBB46_12
; %bb.13:
	s_or_b64 exec, exec, s[4:5]
	v_lshl_or_b32 v0, s6, 4, v2
	v_cmp_gt_i32_e32 vcc, s1, v0
	s_waitcnt lgkmcnt(0)
	s_barrier
	s_and_saveexec_b64 s[4:5], vcc
	s_cbranch_execz .LBB46_127
; %bb.14:
	s_cmp_eq_u64 s[42:43], 0
	s_cbranch_scc1 .LBB46_16
; %bb.15:
	s_load_dword s1, s[40:41], 0x0
	v_mov_b32_e32 v3, s43
	s_waitcnt lgkmcnt(0)
	v_add_u32_e32 v0, s1, v0
	v_ashrrev_i32_e32 v1, 31, v0
	v_lshlrev_b64 v[0:1], 2, v[0:1]
	v_add_co_u32_e32 v0, vcc, s42, v0
	v_addc_co_u32_e32 v1, vcc, v3, v1, vcc
	global_load_dword v0, v[0:1], off
.LBB46_16:
	s_waitcnt vmcnt(0)
	v_ashrrev_i32_e32 v1, 31, v0
	v_lshlrev_b32_e32 v15, 9, v2
	s_andn2_b64 vcc, exec, s[48:49]
	v_lshlrev_b64 v[0:1], 2, v[0:1]
	s_cbranch_vccnz .LBB46_72
; %bb.17:
	v_mov_b32_e32 v3, s25
	v_add_co_u32_e32 v2, vcc, s24, v0
	v_addc_co_u32_e32 v3, vcc, v3, v1, vcc
	global_load_dwordx2 v[2:3], v[2:3], off
	v_subrev_u32_e32 v4, s36, v14
	s_waitcnt vmcnt(0)
	v_subrev_u32_e32 v18, s36, v3
	v_add_u32_e32 v2, v2, v4
	v_cmp_lt_i32_e32 vcc, v2, v18
	s_and_saveexec_b64 s[4:5], vcc
	s_cbranch_execz .LBB46_71
; %bb.18:
	s_cmp_eq_u32 s0, 0
	s_cselect_b32 s1, 2, 1
	s_cselect_b32 s3, 1, 2
	v_add_u32_e32 v19, 8, v15
	v_add_u32_e32 v20, 16, v15
	;; [unrolled: 1-line block ×3, first 2 shown]
	s_mov_b64 s[6:7], 0
	v_mov_b32_e32 v22, s27
	v_mov_b32_e32 v23, s31
	s_branch .LBB46_20
.LBB46_19:                              ;   in Loop: Header=BB46_20 Depth=1
	s_or_b64 exec, exec, s[20:21]
	v_add_u32_e32 v2, 16, v2
	v_cmp_ge_i32_e32 vcc, v2, v18
	s_or_b64 s[6:7], vcc, s[6:7]
	s_andn2_b64 exec, exec, s[6:7]
	s_cbranch_execz .LBB46_71
.LBB46_20:                              ; =>This Loop Header: Depth=1
                                        ;     Child Loop BB46_23 Depth 2
                                        ;       Child Loop BB46_25 Depth 3
                                        ;       Child Loop BB46_37 Depth 3
                                        ;       Child Loop BB46_49 Depth 3
                                        ;       Child Loop BB46_61 Depth 3
	v_ashrrev_i32_e32 v3, 31, v2
	v_lshlrev_b64 v[4:5], 2, v[2:3]
	v_add_co_u32_e32 v4, vcc, s26, v4
	v_addc_co_u32_e32 v5, vcc, v22, v5, vcc
	global_load_dword v3, v[4:5], off
	s_waitcnt vmcnt(0)
	v_subrev_u32_e32 v4, s36, v3
	v_ashrrev_i32_e32 v5, 31, v4
	v_lshlrev_b64 v[4:5], 2, v[4:5]
	v_add_co_u32_e32 v4, vcc, s30, v4
	v_addc_co_u32_e32 v5, vcc, v23, v5, vcc
	global_load_dwordx2 v[4:5], v[4:5], off
	s_waitcnt vmcnt(0)
	v_cmp_lt_i32_e32 vcc, v4, v5
	s_and_saveexec_b64 s[20:21], vcc
	s_cbranch_execz .LBB46_19
; %bb.21:                               ;   in Loop: Header=BB46_20 Depth=1
	v_lshlrev_b32_e32 v6, 2, v2
	v_ashrrev_i32_e32 v7, 31, v6
	v_lshlrev_b64 v[8:9], 3, v[6:7]
	v_or_b32_e32 v12, s1, v6
	v_mov_b32_e32 v3, s29
	v_add_co_u32_e32 v8, vcc, s28, v8
	v_ashrrev_i32_e32 v13, 31, v12
	v_addc_co_u32_e32 v9, vcc, v3, v9, vcc
	v_lshlrev_b64 v[12:13], 3, v[12:13]
	v_or_b32_e32 v6, s3, v6
	v_add_co_u32_e32 v12, vcc, s28, v12
	v_ashrrev_i32_e32 v7, 31, v6
	v_addc_co_u32_e32 v13, vcc, v3, v13, vcc
	v_lshlrev_b64 v[6:7], 3, v[6:7]
	v_add_co_u32_e32 v6, vcc, s28, v6
	global_load_dwordx2 v[10:11], v[8:9], off
	v_addc_co_u32_e32 v7, vcc, v3, v7, vcc
	global_load_dwordx2 v[32:33], v[12:13], off
	global_load_dwordx2 v[34:35], v[6:7], off
	global_load_dwordx2 v[36:37], v[8:9], off offset:24
	v_subrev_u32_e32 v3, s37, v5
	v_subrev_u32_e32 v4, s37, v4
	s_mov_b64 s[24:25], 0
	s_waitcnt vmcnt(3)
	v_mul_f32_e64 v24, v11, -s45
	v_mul_f32_e32 v25, s56, v11
	s_waitcnt vmcnt(2)
	v_mul_f32_e64 v26, v33, -s45
	v_mul_f32_e32 v27, s56, v33
	s_waitcnt vmcnt(0)
	v_mul_f32_e32 v28, s56, v37
	v_mul_f32_e64 v29, v37, -s45
	v_mul_f32_e32 v30, s56, v35
	v_mul_f32_e64 v31, v35, -s45
	v_fmac_f32_e32 v24, s56, v10
	v_fmac_f32_e32 v25, s45, v10
	;; [unrolled: 1-line block ×8, first 2 shown]
	s_branch .LBB46_23
.LBB46_22:                              ;   in Loop: Header=BB46_23 Depth=2
	s_or_b64 exec, exec, s[40:41]
	v_add_u32_e32 v4, 1, v4
	v_cmp_ge_i32_e32 vcc, v4, v3
	s_or_b64 s[24:25], vcc, s[24:25]
	s_andn2_b64 exec, exec, s[24:25]
	s_cbranch_execz .LBB46_19
.LBB46_23:                              ;   Parent Loop BB46_20 Depth=1
                                        ; =>  This Loop Header: Depth=2
                                        ;       Child Loop BB46_25 Depth 3
                                        ;       Child Loop BB46_37 Depth 3
	;; [unrolled: 1-line block ×4, first 2 shown]
	v_ashrrev_i32_e32 v5, 31, v4
	v_lshlrev_b64 v[6:7], 2, v[4:5]
	v_mov_b32_e32 v5, s17
	v_add_co_u32_e32 v6, vcc, s16, v6
	v_addc_co_u32_e32 v7, vcc, v5, v7, vcc
	global_load_dword v5, v[6:7], off
	v_lshlrev_b32_e32 v6, 2, v4
	v_or_b32_e32 v10, s1, v6
	v_ashrrev_i32_e32 v11, 31, v10
	v_lshlrev_b64 v[10:11], 3, v[10:11]
	v_ashrrev_i32_e32 v7, 31, v6
	v_mov_b32_e32 v35, s19
	v_add_co_u32_e32 v10, vcc, s18, v10
	v_or_b32_e32 v8, s3, v6
	v_lshlrev_b64 v[6:7], 3, v[6:7]
	v_addc_co_u32_e32 v11, vcc, v35, v11, vcc
	global_load_dwordx2 v[12:13], v[10:11], off
	v_add_co_u32_e32 v32, vcc, s18, v6
	v_ashrrev_i32_e32 v9, 31, v8
	v_addc_co_u32_e32 v33, vcc, v35, v7, vcc
	v_lshlrev_b64 v[6:7], 3, v[8:9]
	global_load_dwordx2 v[10:11], v[32:33], off
	v_add_co_u32_e32 v34, vcc, s18, v6
	v_addc_co_u32_e32 v35, vcc, v35, v7, vcc
	global_load_dwordx2 v[6:7], v[34:35], off
	global_load_dwordx2 v[8:9], v[32:33], off offset:24
	s_mov_b64 s[40:41], 0
	s_waitcnt vmcnt(4)
	v_subrev_u32_e32 v5, s37, v5
	v_lshl_add_u32 v32, v5, 3, v5
	v_and_b32_e32 v32, 15, v32
	v_mov_b32_e32 v35, v32
	s_waitcnt vmcnt(3)
	v_mul_f32_e64 v34, v13, -v30
	v_mul_f32_e32 v33, v31, v13
	v_fmac_f32_e32 v34, v31, v12
	v_fmac_f32_e32 v33, v30, v12
	s_waitcnt vmcnt(2)
	v_fmac_f32_e32 v34, v24, v10
	v_fmac_f32_e32 v33, v25, v10
	v_fma_f32 v34, -v25, v11, v34
	v_fmac_f32_e32 v33, v24, v11
	s_branch .LBB46_25
.LBB46_24:                              ;   in Loop: Header=BB46_25 Depth=3
	s_or_b64 exec, exec, s[42:43]
	s_xor_b64 s[42:43], s[48:49], -1
	s_and_b64 s[42:43], exec, s[42:43]
	s_or_b64 s[40:41], s[42:43], s[40:41]
	s_andn2_b64 exec, exec, s[40:41]
	s_cbranch_execz .LBB46_35
.LBB46_25:                              ;   Parent Loop BB46_20 Depth=1
                                        ;     Parent Loop BB46_23 Depth=2
                                        ; =>    This Inner Loop Header: Depth=3
	v_lshl_add_u32 v36, v35, 2, v16
	ds_read_b32 v37, v36
                                        ; implicit-def: $sgpr48_sgpr49
	s_waitcnt lgkmcnt(0)
	v_cmp_ne_u32_e32 vcc, v37, v5
	s_and_saveexec_b64 s[42:43], vcc
	s_xor_b64 s[42:43], exec, s[42:43]
	s_cbranch_execz .LBB46_33
; %bb.26:                               ;   in Loop: Header=BB46_25 Depth=3
	v_cmp_ne_u32_e32 vcc, s2, v37
                                        ; implicit-def: $sgpr48_sgpr49
	s_and_saveexec_b64 s[50:51], vcc
	s_xor_b64 s[50:51], exec, s[50:51]
; %bb.27:                               ;   in Loop: Header=BB46_25 Depth=3
	v_add_u32_e32 v35, 1, v35
	v_and_b32_e32 v35, 15, v35
	s_mov_b64 s[48:49], -1
                                        ; implicit-def: $vgpr36
; %bb.28:                               ;   in Loop: Header=BB46_25 Depth=3
	s_andn2_saveexec_b64 s[50:51], s[50:51]
	s_cbranch_execz .LBB46_32
; %bb.29:                               ;   in Loop: Header=BB46_25 Depth=3
	v_mov_b32_e32 v37, s2
	ds_cmpst_rtn_b32 v36, v36, v37, v5
	s_mov_b64 s[52:53], -1
	s_waitcnt lgkmcnt(0)
	v_cmp_eq_u32_e32 vcc, s2, v36
	s_and_saveexec_b64 s[54:55], vcc
	s_cbranch_execz .LBB46_31
; %bb.30:                               ;   in Loop: Header=BB46_25 Depth=3
	v_lshl_add_u32 v36, v35, 5, v15
	ds_add_f32 v36, v34
	ds_add_f32 v36, v33 offset:4
	s_xor_b64 s[52:53], exec, -1
.LBB46_31:                              ;   in Loop: Header=BB46_25 Depth=3
	s_or_b64 exec, exec, s[54:55]
	s_andn2_b64 s[48:49], s[48:49], exec
	s_and_b64 s[52:53], s[52:53], exec
	s_or_b64 s[48:49], s[48:49], s[52:53]
.LBB46_32:                              ;   in Loop: Header=BB46_25 Depth=3
	s_or_b64 exec, exec, s[50:51]
	s_and_b64 s[48:49], s[48:49], exec
.LBB46_33:                              ;   in Loop: Header=BB46_25 Depth=3
	s_andn2_saveexec_b64 s[42:43], s[42:43]
	s_cbranch_execz .LBB46_24
; %bb.34:                               ;   in Loop: Header=BB46_25 Depth=3
	v_lshl_add_u32 v36, v35, 5, v15
	ds_add_f32 v36, v34
	ds_add_f32 v36, v33 offset:4
	s_andn2_b64 s[48:49], s[48:49], exec
	s_branch .LBB46_24
.LBB46_35:                              ;   in Loop: Header=BB46_23 Depth=2
	s_or_b64 exec, exec, s[40:41]
	s_waitcnt vmcnt(0)
	v_mul_f32_e64 v34, v9, -v30
	v_mul_f32_e32 v33, v31, v9
	v_fmac_f32_e32 v34, v31, v8
	v_fmac_f32_e32 v33, v30, v8
	;; [unrolled: 1-line block ×4, first 2 shown]
	v_fma_f32 v34, -v25, v7, v34
	v_fmac_f32_e32 v33, v24, v7
	s_mov_b64 s[40:41], 0
	v_mov_b32_e32 v35, v32
	s_branch .LBB46_37
.LBB46_36:                              ;   in Loop: Header=BB46_37 Depth=3
	s_or_b64 exec, exec, s[42:43]
	s_xor_b64 s[42:43], s[48:49], -1
	s_and_b64 s[42:43], exec, s[42:43]
	s_or_b64 s[40:41], s[42:43], s[40:41]
	s_andn2_b64 exec, exec, s[40:41]
	s_cbranch_execz .LBB46_47
.LBB46_37:                              ;   Parent Loop BB46_20 Depth=1
                                        ;     Parent Loop BB46_23 Depth=2
                                        ; =>    This Inner Loop Header: Depth=3
	v_lshl_add_u32 v36, v35, 2, v16
	ds_read_b32 v37, v36
                                        ; implicit-def: $sgpr48_sgpr49
	s_waitcnt lgkmcnt(0)
	v_cmp_ne_u32_e32 vcc, v37, v5
	s_and_saveexec_b64 s[42:43], vcc
	s_xor_b64 s[42:43], exec, s[42:43]
	s_cbranch_execz .LBB46_45
; %bb.38:                               ;   in Loop: Header=BB46_37 Depth=3
	v_cmp_ne_u32_e32 vcc, s2, v37
                                        ; implicit-def: $sgpr48_sgpr49
	s_and_saveexec_b64 s[50:51], vcc
	s_xor_b64 s[50:51], exec, s[50:51]
; %bb.39:                               ;   in Loop: Header=BB46_37 Depth=3
	v_add_u32_e32 v35, 1, v35
	v_and_b32_e32 v35, 15, v35
	s_mov_b64 s[48:49], -1
                                        ; implicit-def: $vgpr36
; %bb.40:                               ;   in Loop: Header=BB46_37 Depth=3
	s_andn2_saveexec_b64 s[50:51], s[50:51]
	s_cbranch_execz .LBB46_44
; %bb.41:                               ;   in Loop: Header=BB46_37 Depth=3
	v_mov_b32_e32 v37, s2
	ds_cmpst_rtn_b32 v36, v36, v37, v5
	s_mov_b64 s[52:53], -1
	s_waitcnt lgkmcnt(0)
	v_cmp_eq_u32_e32 vcc, s2, v36
	s_and_saveexec_b64 s[54:55], vcc
	s_cbranch_execz .LBB46_43
; %bb.42:                               ;   in Loop: Header=BB46_37 Depth=3
	v_lshl_add_u32 v36, v35, 5, v19
	ds_add_f32 v36, v34
	ds_add_f32 v36, v33 offset:4
	s_xor_b64 s[52:53], exec, -1
.LBB46_43:                              ;   in Loop: Header=BB46_37 Depth=3
	s_or_b64 exec, exec, s[54:55]
	s_andn2_b64 s[48:49], s[48:49], exec
	s_and_b64 s[52:53], s[52:53], exec
	s_or_b64 s[48:49], s[48:49], s[52:53]
.LBB46_44:                              ;   in Loop: Header=BB46_37 Depth=3
	s_or_b64 exec, exec, s[50:51]
	s_and_b64 s[48:49], s[48:49], exec
.LBB46_45:                              ;   in Loop: Header=BB46_37 Depth=3
	s_andn2_saveexec_b64 s[42:43], s[42:43]
	s_cbranch_execz .LBB46_36
; %bb.46:                               ;   in Loop: Header=BB46_37 Depth=3
	v_lshl_add_u32 v36, v35, 5, v19
	ds_add_f32 v36, v34
	ds_add_f32 v36, v33 offset:4
	s_andn2_b64 s[48:49], s[48:49], exec
	s_branch .LBB46_36
.LBB46_47:                              ;   in Loop: Header=BB46_23 Depth=2
	s_or_b64 exec, exec, s[40:41]
	v_mul_f32_e64 v33, v13, -v28
	v_mul_f32_e32 v13, v29, v13
	v_fmac_f32_e32 v33, v29, v12
	v_fmac_f32_e32 v13, v28, v12
	v_fmac_f32_e32 v33, v26, v10
	v_fmac_f32_e32 v13, v27, v10
	v_fma_f32 v12, -v27, v11, v33
	v_fmac_f32_e32 v13, v26, v11
	s_mov_b64 s[40:41], 0
	v_mov_b32_e32 v10, v32
	s_branch .LBB46_49
.LBB46_48:                              ;   in Loop: Header=BB46_49 Depth=3
	s_or_b64 exec, exec, s[42:43]
	s_xor_b64 s[42:43], s[48:49], -1
	s_and_b64 s[42:43], exec, s[42:43]
	s_or_b64 s[40:41], s[42:43], s[40:41]
	s_andn2_b64 exec, exec, s[40:41]
	s_cbranch_execz .LBB46_59
.LBB46_49:                              ;   Parent Loop BB46_20 Depth=1
                                        ;     Parent Loop BB46_23 Depth=2
                                        ; =>    This Inner Loop Header: Depth=3
	v_lshl_add_u32 v11, v10, 2, v16
	ds_read_b32 v33, v11
                                        ; implicit-def: $sgpr48_sgpr49
	s_waitcnt lgkmcnt(0)
	v_cmp_ne_u32_e32 vcc, v33, v5
	s_and_saveexec_b64 s[42:43], vcc
	s_xor_b64 s[42:43], exec, s[42:43]
	s_cbranch_execz .LBB46_57
; %bb.50:                               ;   in Loop: Header=BB46_49 Depth=3
	v_cmp_ne_u32_e32 vcc, s2, v33
                                        ; implicit-def: $sgpr48_sgpr49
	s_and_saveexec_b64 s[50:51], vcc
	s_xor_b64 s[50:51], exec, s[50:51]
; %bb.51:                               ;   in Loop: Header=BB46_49 Depth=3
	v_add_u32_e32 v10, 1, v10
	v_and_b32_e32 v10, 15, v10
	s_mov_b64 s[48:49], -1
                                        ; implicit-def: $vgpr11
; %bb.52:                               ;   in Loop: Header=BB46_49 Depth=3
	s_andn2_saveexec_b64 s[50:51], s[50:51]
	s_cbranch_execz .LBB46_56
; %bb.53:                               ;   in Loop: Header=BB46_49 Depth=3
	v_mov_b32_e32 v33, s2
	ds_cmpst_rtn_b32 v11, v11, v33, v5
	s_mov_b64 s[52:53], -1
	s_waitcnt lgkmcnt(0)
	v_cmp_eq_u32_e32 vcc, s2, v11
	s_and_saveexec_b64 s[54:55], vcc
	s_cbranch_execz .LBB46_55
; %bb.54:                               ;   in Loop: Header=BB46_49 Depth=3
	v_lshl_add_u32 v11, v10, 5, v20
	ds_add_f32 v11, v12
	ds_add_f32 v11, v13 offset:4
	s_xor_b64 s[52:53], exec, -1
.LBB46_55:                              ;   in Loop: Header=BB46_49 Depth=3
	s_or_b64 exec, exec, s[54:55]
	s_andn2_b64 s[48:49], s[48:49], exec
	s_and_b64 s[52:53], s[52:53], exec
	s_or_b64 s[48:49], s[48:49], s[52:53]
.LBB46_56:                              ;   in Loop: Header=BB46_49 Depth=3
	s_or_b64 exec, exec, s[50:51]
	s_and_b64 s[48:49], s[48:49], exec
.LBB46_57:                              ;   in Loop: Header=BB46_49 Depth=3
	s_andn2_saveexec_b64 s[42:43], s[42:43]
	s_cbranch_execz .LBB46_48
; %bb.58:                               ;   in Loop: Header=BB46_49 Depth=3
	v_lshl_add_u32 v11, v10, 5, v20
	ds_add_f32 v11, v12
	ds_add_f32 v11, v13 offset:4
	s_andn2_b64 s[48:49], s[48:49], exec
	s_branch .LBB46_48
.LBB46_59:                              ;   in Loop: Header=BB46_23 Depth=2
	s_or_b64 exec, exec, s[40:41]
	v_mul_f32_e64 v10, v9, -v28
	v_mul_f32_e32 v9, v29, v9
	v_fmac_f32_e32 v10, v29, v8
	v_fmac_f32_e32 v9, v28, v8
	;; [unrolled: 1-line block ×4, first 2 shown]
	v_fma_f32 v8, -v27, v7, v10
	v_fmac_f32_e32 v9, v26, v7
	s_mov_b64 s[40:41], 0
	s_branch .LBB46_61
.LBB46_60:                              ;   in Loop: Header=BB46_61 Depth=3
	s_or_b64 exec, exec, s[42:43]
	s_xor_b64 s[42:43], s[48:49], -1
	s_and_b64 s[42:43], exec, s[42:43]
	s_or_b64 s[40:41], s[42:43], s[40:41]
	s_andn2_b64 exec, exec, s[40:41]
	s_cbranch_execz .LBB46_22
.LBB46_61:                              ;   Parent Loop BB46_20 Depth=1
                                        ;     Parent Loop BB46_23 Depth=2
                                        ; =>    This Inner Loop Header: Depth=3
	v_lshl_add_u32 v6, v32, 2, v16
	ds_read_b32 v7, v6
                                        ; implicit-def: $sgpr48_sgpr49
	s_waitcnt lgkmcnt(0)
	v_cmp_ne_u32_e32 vcc, v7, v5
	s_and_saveexec_b64 s[42:43], vcc
	s_xor_b64 s[42:43], exec, s[42:43]
	s_cbranch_execz .LBB46_69
; %bb.62:                               ;   in Loop: Header=BB46_61 Depth=3
	v_cmp_ne_u32_e32 vcc, s2, v7
                                        ; implicit-def: $sgpr48_sgpr49
	s_and_saveexec_b64 s[50:51], vcc
	s_xor_b64 s[50:51], exec, s[50:51]
; %bb.63:                               ;   in Loop: Header=BB46_61 Depth=3
	v_add_u32_e32 v6, 1, v32
	v_and_b32_e32 v32, 15, v6
	s_mov_b64 s[48:49], -1
                                        ; implicit-def: $vgpr6
; %bb.64:                               ;   in Loop: Header=BB46_61 Depth=3
	s_andn2_saveexec_b64 s[50:51], s[50:51]
	s_cbranch_execz .LBB46_68
; %bb.65:                               ;   in Loop: Header=BB46_61 Depth=3
	v_mov_b32_e32 v7, s2
	ds_cmpst_rtn_b32 v6, v6, v7, v5
	s_mov_b64 s[52:53], -1
	s_waitcnt lgkmcnt(0)
	v_cmp_eq_u32_e32 vcc, s2, v6
	s_and_saveexec_b64 s[54:55], vcc
	s_cbranch_execz .LBB46_67
; %bb.66:                               ;   in Loop: Header=BB46_61 Depth=3
	v_lshl_add_u32 v6, v32, 5, v21
	ds_add_f32 v6, v8
	ds_add_f32 v6, v9 offset:4
	s_xor_b64 s[52:53], exec, -1
.LBB46_67:                              ;   in Loop: Header=BB46_61 Depth=3
	s_or_b64 exec, exec, s[54:55]
	s_andn2_b64 s[48:49], s[48:49], exec
	s_and_b64 s[52:53], s[52:53], exec
	s_or_b64 s[48:49], s[48:49], s[52:53]
.LBB46_68:                              ;   in Loop: Header=BB46_61 Depth=3
	s_or_b64 exec, exec, s[50:51]
	s_and_b64 s[48:49], s[48:49], exec
.LBB46_69:                              ;   in Loop: Header=BB46_61 Depth=3
	s_andn2_saveexec_b64 s[42:43], s[42:43]
	s_cbranch_execz .LBB46_60
; %bb.70:                               ;   in Loop: Header=BB46_61 Depth=3
	v_lshl_add_u32 v6, v32, 5, v21
	ds_add_f32 v6, v8
	ds_add_f32 v6, v9 offset:4
	s_andn2_b64 s[48:49], s[48:49], exec
	s_branch .LBB46_60
.LBB46_71:
	s_or_b64 exec, exec, s[4:5]
.LBB46_72:
	s_andn2_b64 vcc, exec, s[46:47]
	s_waitcnt lgkmcnt(0)
	s_cbranch_vccnz .LBB46_125
; %bb.73:
	v_mov_b32_e32 v3, s23
	v_add_co_u32_e32 v2, vcc, s22, v0
	v_addc_co_u32_e32 v3, vcc, v3, v1, vcc
	global_load_dwordx2 v[2:3], v[2:3], off
	v_subrev_u32_e32 v4, s39, v14
	s_waitcnt vmcnt(0)
	v_subrev_u32_e32 v10, s39, v3
	v_add_u32_e32 v2, v2, v4
	v_cmp_lt_i32_e32 vcc, v2, v10
	s_and_saveexec_b64 s[4:5], vcc
	s_cbranch_execz .LBB46_124
; %bb.74:
	s_cmp_eq_u32 s0, 0
	s_cselect_b32 s1, 1, 2
	s_cselect_b32 s3, 2, 1
	v_add_u32_e32 v11, 8, v15
	v_add_u32_e32 v12, 16, v15
	;; [unrolled: 1-line block ×3, first 2 shown]
	s_mov_b64 s[6:7], 0
	v_mov_b32_e32 v18, s11
	v_mov_b32_e32 v19, s9
	s_branch .LBB46_76
.LBB46_75:                              ;   in Loop: Header=BB46_76 Depth=1
	s_or_b64 exec, exec, s[16:17]
	v_add_u32_e32 v2, 16, v2
	v_cmp_ge_i32_e32 vcc, v2, v10
	s_or_b64 s[6:7], vcc, s[6:7]
	s_andn2_b64 exec, exec, s[6:7]
	s_cbranch_execz .LBB46_124
.LBB46_76:                              ; =>This Loop Header: Depth=1
                                        ;     Child Loop BB46_78 Depth 2
                                        ;     Child Loop BB46_90 Depth 2
	;; [unrolled: 1-line block ×4, first 2 shown]
	v_lshlrev_b32_e32 v4, 2, v2
	v_ashrrev_i32_e32 v5, 31, v4
	v_lshlrev_b64 v[6:7], 3, v[4:5]
	v_add_co_u32_e32 v20, vcc, s10, v6
	v_or_b32_e32 v6, s1, v4
	v_addc_co_u32_e32 v21, vcc, v18, v7, vcc
	v_ashrrev_i32_e32 v7, 31, v6
	v_lshlrev_b64 v[6:7], 3, v[6:7]
	v_ashrrev_i32_e32 v3, 31, v2
	v_add_co_u32_e32 v22, vcc, s10, v6
	v_addc_co_u32_e32 v23, vcc, v18, v7, vcc
	v_lshlrev_b64 v[6:7], 2, v[2:3]
	v_add_co_u32_e32 v6, vcc, s8, v6
	v_or_b32_e32 v4, s3, v4
	v_addc_co_u32_e32 v7, vcc, v19, v7, vcc
	global_load_dword v3, v[6:7], off
	v_ashrrev_i32_e32 v5, 31, v4
	v_lshlrev_b64 v[4:5], 3, v[4:5]
	global_load_dwordx2 v[24:25], v[20:21], off
	v_add_co_u32_e32 v26, vcc, s10, v4
	v_addc_co_u32_e32 v27, vcc, v18, v5, vcc
	global_load_dwordx2 v[4:5], v[20:21], off offset:24
	global_load_dwordx2 v[8:9], v[22:23], off
	global_load_dwordx2 v[6:7], v[26:27], off
	s_mov_b64 s[16:17], 0
	s_waitcnt vmcnt(4)
	v_subrev_u32_e32 v3, s39, v3
	v_lshl_add_u32 v20, v3, 3, v3
	v_and_b32_e32 v20, 15, v20
	s_waitcnt vmcnt(3)
	v_mul_f32_e64 v21, v25, -s44
	v_mul_f32_e32 v22, s33, v25
	v_fmac_f32_e32 v21, s33, v24
	v_fmac_f32_e32 v22, s44, v24
	v_mov_b32_e32 v23, v20
	s_branch .LBB46_78
.LBB46_77:                              ;   in Loop: Header=BB46_78 Depth=2
	s_or_b64 exec, exec, s[18:19]
	s_xor_b64 s[18:19], s[20:21], -1
	s_and_b64 s[18:19], exec, s[18:19]
	s_or_b64 s[16:17], s[18:19], s[16:17]
	s_andn2_b64 exec, exec, s[16:17]
	s_cbranch_execz .LBB46_88
.LBB46_78:                              ;   Parent Loop BB46_76 Depth=1
                                        ; =>  This Inner Loop Header: Depth=2
	v_lshl_add_u32 v24, v23, 2, v16
	ds_read_b32 v25, v24
                                        ; implicit-def: $sgpr20_sgpr21
	s_waitcnt lgkmcnt(0)
	v_cmp_ne_u32_e32 vcc, v25, v3
	s_and_saveexec_b64 s[18:19], vcc
	s_xor_b64 s[18:19], exec, s[18:19]
	s_cbranch_execz .LBB46_86
; %bb.79:                               ;   in Loop: Header=BB46_78 Depth=2
	v_cmp_ne_u32_e32 vcc, s2, v25
                                        ; implicit-def: $sgpr20_sgpr21
	s_and_saveexec_b64 s[22:23], vcc
	s_xor_b64 s[22:23], exec, s[22:23]
; %bb.80:                               ;   in Loop: Header=BB46_78 Depth=2
	v_add_u32_e32 v23, 1, v23
	v_and_b32_e32 v23, 15, v23
	s_mov_b64 s[20:21], -1
                                        ; implicit-def: $vgpr24
; %bb.81:                               ;   in Loop: Header=BB46_78 Depth=2
	s_andn2_saveexec_b64 s[22:23], s[22:23]
	s_cbranch_execz .LBB46_85
; %bb.82:                               ;   in Loop: Header=BB46_78 Depth=2
	v_mov_b32_e32 v25, s2
	ds_cmpst_rtn_b32 v24, v24, v25, v3
	s_mov_b64 s[24:25], -1
	s_waitcnt lgkmcnt(0)
	v_cmp_eq_u32_e32 vcc, s2, v24
	s_and_saveexec_b64 s[26:27], vcc
	s_cbranch_execz .LBB46_84
; %bb.83:                               ;   in Loop: Header=BB46_78 Depth=2
	v_lshl_add_u32 v24, v23, 5, v15
	ds_add_f32 v24, v21
	ds_add_f32 v24, v22 offset:4
	s_xor_b64 s[24:25], exec, -1
.LBB46_84:                              ;   in Loop: Header=BB46_78 Depth=2
	s_or_b64 exec, exec, s[26:27]
	s_andn2_b64 s[20:21], s[20:21], exec
	s_and_b64 s[24:25], s[24:25], exec
	s_or_b64 s[20:21], s[20:21], s[24:25]
.LBB46_85:                              ;   in Loop: Header=BB46_78 Depth=2
	s_or_b64 exec, exec, s[22:23]
	s_and_b64 s[20:21], s[20:21], exec
.LBB46_86:                              ;   in Loop: Header=BB46_78 Depth=2
	s_andn2_saveexec_b64 s[18:19], s[18:19]
	s_cbranch_execz .LBB46_77
; %bb.87:                               ;   in Loop: Header=BB46_78 Depth=2
	v_lshl_add_u32 v24, v23, 5, v15
	ds_add_f32 v24, v21
	ds_add_f32 v24, v22 offset:4
	s_andn2_b64 s[20:21], s[20:21], exec
	s_branch .LBB46_77
.LBB46_88:                              ;   in Loop: Header=BB46_76 Depth=1
	s_or_b64 exec, exec, s[16:17]
	s_waitcnt vmcnt(1)
	v_mul_f32_e64 v21, v9, -s44
	v_mul_f32_e32 v9, s33, v9
	v_fmac_f32_e32 v21, s33, v8
	v_fmac_f32_e32 v9, s44, v8
	s_mov_b64 s[16:17], 0
	v_mov_b32_e32 v8, v20
	s_branch .LBB46_90
.LBB46_89:                              ;   in Loop: Header=BB46_90 Depth=2
	s_or_b64 exec, exec, s[18:19]
	s_xor_b64 s[18:19], s[20:21], -1
	s_and_b64 s[18:19], exec, s[18:19]
	s_or_b64 s[16:17], s[18:19], s[16:17]
	s_andn2_b64 exec, exec, s[16:17]
	s_cbranch_execz .LBB46_100
.LBB46_90:                              ;   Parent Loop BB46_76 Depth=1
                                        ; =>  This Inner Loop Header: Depth=2
	v_lshl_add_u32 v22, v8, 2, v16
	ds_read_b32 v23, v22
                                        ; implicit-def: $sgpr20_sgpr21
	s_waitcnt lgkmcnt(0)
	v_cmp_ne_u32_e32 vcc, v23, v3
	s_and_saveexec_b64 s[18:19], vcc
	s_xor_b64 s[18:19], exec, s[18:19]
	s_cbranch_execz .LBB46_98
; %bb.91:                               ;   in Loop: Header=BB46_90 Depth=2
	v_cmp_ne_u32_e32 vcc, s2, v23
                                        ; implicit-def: $sgpr20_sgpr21
	s_and_saveexec_b64 s[22:23], vcc
	s_xor_b64 s[22:23], exec, s[22:23]
; %bb.92:                               ;   in Loop: Header=BB46_90 Depth=2
	v_add_u32_e32 v8, 1, v8
	v_and_b32_e32 v8, 15, v8
	s_mov_b64 s[20:21], -1
                                        ; implicit-def: $vgpr22
; %bb.93:                               ;   in Loop: Header=BB46_90 Depth=2
	s_andn2_saveexec_b64 s[22:23], s[22:23]
	s_cbranch_execz .LBB46_97
; %bb.94:                               ;   in Loop: Header=BB46_90 Depth=2
	v_mov_b32_e32 v23, s2
	ds_cmpst_rtn_b32 v22, v22, v23, v3
	s_mov_b64 s[24:25], -1
	s_waitcnt lgkmcnt(0)
	v_cmp_eq_u32_e32 vcc, s2, v22
	s_and_saveexec_b64 s[26:27], vcc
	s_cbranch_execz .LBB46_96
; %bb.95:                               ;   in Loop: Header=BB46_90 Depth=2
	v_lshl_add_u32 v22, v8, 5, v11
	ds_add_f32 v22, v21
	ds_add_f32 v22, v9 offset:4
	s_xor_b64 s[24:25], exec, -1
.LBB46_96:                              ;   in Loop: Header=BB46_90 Depth=2
	s_or_b64 exec, exec, s[26:27]
	s_andn2_b64 s[20:21], s[20:21], exec
	s_and_b64 s[24:25], s[24:25], exec
	s_or_b64 s[20:21], s[20:21], s[24:25]
.LBB46_97:                              ;   in Loop: Header=BB46_90 Depth=2
	s_or_b64 exec, exec, s[22:23]
	s_and_b64 s[20:21], s[20:21], exec
.LBB46_98:                              ;   in Loop: Header=BB46_90 Depth=2
	s_andn2_saveexec_b64 s[18:19], s[18:19]
	s_cbranch_execz .LBB46_89
; %bb.99:                               ;   in Loop: Header=BB46_90 Depth=2
	v_lshl_add_u32 v22, v8, 5, v11
	ds_add_f32 v22, v21
	ds_add_f32 v22, v9 offset:4
	s_andn2_b64 s[20:21], s[20:21], exec
	s_branch .LBB46_89
.LBB46_100:                             ;   in Loop: Header=BB46_76 Depth=1
	s_or_b64 exec, exec, s[16:17]
	s_waitcnt vmcnt(0)
	v_mul_f32_e64 v8, v7, -s44
	v_mul_f32_e32 v7, s33, v7
	v_fmac_f32_e32 v8, s33, v6
	v_fmac_f32_e32 v7, s44, v6
	s_mov_b64 s[16:17], 0
	v_mov_b32_e32 v6, v20
	s_branch .LBB46_102
.LBB46_101:                             ;   in Loop: Header=BB46_102 Depth=2
	s_or_b64 exec, exec, s[18:19]
	s_xor_b64 s[18:19], s[20:21], -1
	s_and_b64 s[18:19], exec, s[18:19]
	s_or_b64 s[16:17], s[18:19], s[16:17]
	s_andn2_b64 exec, exec, s[16:17]
	s_cbranch_execz .LBB46_112
.LBB46_102:                             ;   Parent Loop BB46_76 Depth=1
                                        ; =>  This Inner Loop Header: Depth=2
	v_lshl_add_u32 v9, v6, 2, v16
	ds_read_b32 v21, v9
                                        ; implicit-def: $sgpr20_sgpr21
	s_waitcnt lgkmcnt(0)
	v_cmp_ne_u32_e32 vcc, v21, v3
	s_and_saveexec_b64 s[18:19], vcc
	s_xor_b64 s[18:19], exec, s[18:19]
	s_cbranch_execz .LBB46_110
; %bb.103:                              ;   in Loop: Header=BB46_102 Depth=2
	v_cmp_ne_u32_e32 vcc, s2, v21
                                        ; implicit-def: $sgpr20_sgpr21
	s_and_saveexec_b64 s[22:23], vcc
	s_xor_b64 s[22:23], exec, s[22:23]
; %bb.104:                              ;   in Loop: Header=BB46_102 Depth=2
	v_add_u32_e32 v6, 1, v6
	v_and_b32_e32 v6, 15, v6
	s_mov_b64 s[20:21], -1
                                        ; implicit-def: $vgpr9
; %bb.105:                              ;   in Loop: Header=BB46_102 Depth=2
	s_andn2_saveexec_b64 s[22:23], s[22:23]
	s_cbranch_execz .LBB46_109
; %bb.106:                              ;   in Loop: Header=BB46_102 Depth=2
	v_mov_b32_e32 v21, s2
	ds_cmpst_rtn_b32 v9, v9, v21, v3
	s_mov_b64 s[24:25], -1
	s_waitcnt lgkmcnt(0)
	v_cmp_eq_u32_e32 vcc, s2, v9
	s_and_saveexec_b64 s[26:27], vcc
	s_cbranch_execz .LBB46_108
; %bb.107:                              ;   in Loop: Header=BB46_102 Depth=2
	v_lshl_add_u32 v9, v6, 5, v12
	ds_add_f32 v9, v8
	ds_add_f32 v9, v7 offset:4
	s_xor_b64 s[24:25], exec, -1
.LBB46_108:                             ;   in Loop: Header=BB46_102 Depth=2
	s_or_b64 exec, exec, s[26:27]
	s_andn2_b64 s[20:21], s[20:21], exec
	s_and_b64 s[24:25], s[24:25], exec
	s_or_b64 s[20:21], s[20:21], s[24:25]
.LBB46_109:                             ;   in Loop: Header=BB46_102 Depth=2
	s_or_b64 exec, exec, s[22:23]
	s_and_b64 s[20:21], s[20:21], exec
.LBB46_110:                             ;   in Loop: Header=BB46_102 Depth=2
	s_andn2_saveexec_b64 s[18:19], s[18:19]
	s_cbranch_execz .LBB46_101
; %bb.111:                              ;   in Loop: Header=BB46_102 Depth=2
	v_lshl_add_u32 v9, v6, 5, v12
	ds_add_f32 v9, v8
	ds_add_f32 v9, v7 offset:4
	s_andn2_b64 s[20:21], s[20:21], exec
	s_branch .LBB46_101
.LBB46_112:                             ;   in Loop: Header=BB46_76 Depth=1
	s_or_b64 exec, exec, s[16:17]
	v_mul_f32_e64 v6, v5, -s44
	v_mul_f32_e32 v5, s33, v5
	v_fmac_f32_e32 v6, s33, v4
	v_fmac_f32_e32 v5, s44, v4
	s_mov_b64 s[16:17], 0
	s_branch .LBB46_114
.LBB46_113:                             ;   in Loop: Header=BB46_114 Depth=2
	s_or_b64 exec, exec, s[18:19]
	s_xor_b64 s[18:19], s[20:21], -1
	s_and_b64 s[18:19], exec, s[18:19]
	s_or_b64 s[16:17], s[18:19], s[16:17]
	s_andn2_b64 exec, exec, s[16:17]
	s_cbranch_execz .LBB46_75
.LBB46_114:                             ;   Parent Loop BB46_76 Depth=1
                                        ; =>  This Inner Loop Header: Depth=2
	v_lshl_add_u32 v4, v20, 2, v16
	ds_read_b32 v7, v4
                                        ; implicit-def: $sgpr20_sgpr21
	s_waitcnt lgkmcnt(0)
	v_cmp_ne_u32_e32 vcc, v7, v3
	s_and_saveexec_b64 s[18:19], vcc
	s_xor_b64 s[18:19], exec, s[18:19]
	s_cbranch_execz .LBB46_122
; %bb.115:                              ;   in Loop: Header=BB46_114 Depth=2
	v_cmp_ne_u32_e32 vcc, s2, v7
                                        ; implicit-def: $sgpr20_sgpr21
	s_and_saveexec_b64 s[22:23], vcc
	s_xor_b64 s[22:23], exec, s[22:23]
; %bb.116:                              ;   in Loop: Header=BB46_114 Depth=2
	v_add_u32_e32 v4, 1, v20
	v_and_b32_e32 v20, 15, v4
	s_mov_b64 s[20:21], -1
                                        ; implicit-def: $vgpr4
; %bb.117:                              ;   in Loop: Header=BB46_114 Depth=2
	s_andn2_saveexec_b64 s[22:23], s[22:23]
	s_cbranch_execz .LBB46_121
; %bb.118:                              ;   in Loop: Header=BB46_114 Depth=2
	v_mov_b32_e32 v7, s2
	ds_cmpst_rtn_b32 v4, v4, v7, v3
	s_mov_b64 s[24:25], -1
	s_waitcnt lgkmcnt(0)
	v_cmp_eq_u32_e32 vcc, s2, v4
	s_and_saveexec_b64 s[26:27], vcc
	s_cbranch_execz .LBB46_120
; %bb.119:                              ;   in Loop: Header=BB46_114 Depth=2
	v_lshl_add_u32 v4, v20, 5, v13
	ds_add_f32 v4, v6
	ds_add_f32 v4, v5 offset:4
	s_xor_b64 s[24:25], exec, -1
.LBB46_120:                             ;   in Loop: Header=BB46_114 Depth=2
	s_or_b64 exec, exec, s[26:27]
	s_andn2_b64 s[20:21], s[20:21], exec
	s_and_b64 s[24:25], s[24:25], exec
	s_or_b64 s[20:21], s[20:21], s[24:25]
.LBB46_121:                             ;   in Loop: Header=BB46_114 Depth=2
	s_or_b64 exec, exec, s[22:23]
	s_and_b64 s[20:21], s[20:21], exec
.LBB46_122:                             ;   in Loop: Header=BB46_114 Depth=2
	s_andn2_saveexec_b64 s[18:19], s[18:19]
	s_cbranch_execz .LBB46_113
; %bb.123:                              ;   in Loop: Header=BB46_114 Depth=2
	v_lshl_add_u32 v4, v20, 5, v13
	ds_add_f32 v4, v6
	ds_add_f32 v4, v5 offset:4
	s_andn2_b64 s[20:21], s[20:21], exec
	s_branch .LBB46_113
.LBB46_124:
	s_or_b64 exec, exec, s[4:5]
.LBB46_125:
	s_waitcnt lgkmcnt(0)
	ds_read_b32 v2, v17
	s_waitcnt lgkmcnt(0)
	v_cmp_gt_i32_e32 vcc, s2, v2
	s_and_b64 exec, exec, vcc
	s_cbranch_execz .LBB46_127
; %bb.126:
	v_mov_b32_e32 v3, s13
	v_add_co_u32_e32 v0, vcc, s12, v0
	v_addc_co_u32_e32 v1, vcc, v3, v1, vcc
	global_load_dword v0, v[0:1], off
	ds_read_b128 v[4:7], v16
	ds_read_b128 v[8:11], v16 offset:16
	ds_read_b128 v[18:21], v16 offset:32
	;; [unrolled: 1-line block ×3, first 2 shown]
	v_lshl_add_u32 v3, v14, 5, v15
	s_waitcnt lgkmcnt(3)
	v_cmp_gt_i32_e32 vcc, v2, v4
	v_cndmask_b32_e64 v4, 0, 1, vcc
	v_cmp_gt_i32_e32 vcc, v2, v6
	v_cndmask_b32_e64 v6, 0, 1, vcc
	s_waitcnt lgkmcnt(2)
	v_cmp_gt_i32_e32 vcc, v2, v8
	v_cndmask_b32_e64 v8, 0, 1, vcc
	v_cmp_gt_i32_e32 vcc, v2, v10
	v_cndmask_b32_e64 v10, 0, 1, vcc
	;; [unrolled: 5-line block ×4, first 2 shown]
	v_cmp_gt_i32_e32 vcc, v2, v5
	ds_read2_b64 v[26:29], v3 offset1:3
	s_cmp_eq_u32 s0, 0
	v_lshlrev_b32_e32 v1, 2, v14
	s_cselect_b32 s0, 1, 2
	s_cselect_b32 s1, 2, 1
	v_or_b32_e32 v3, s0, v1
	v_or_b32_e32 v1, s1, v1
	v_lshl_add_u32 v3, v3, 3, v15
	v_lshl_add_u32 v1, v1, 3, v15
	s_waitcnt lgkmcnt(0)
	v_mov_b32_e32 v12, v26
	v_mov_b32_e32 v13, v27
	ds_read_b64 v[14:15], v3
	ds_read_b64 v[26:27], v1
	v_add_u32_e32 v16, s38, v2
	v_mov_b32_e32 v17, s15
	v_mov_b32_e32 v30, s35
	s_waitcnt vmcnt(0)
	v_subrev_u32_e32 v0, s38, v0
	v_addc_co_u32_e32 v0, vcc, v0, v4, vcc
	v_cmp_gt_i32_e32 vcc, v2, v7
	v_addc_co_u32_e32 v0, vcc, v0, v6, vcc
	v_cmp_gt_i32_e32 vcc, v2, v9
	v_addc_co_u32_e32 v0, vcc, v0, v8, vcc
	v_cmp_gt_i32_e32 vcc, v2, v11
	v_addc_co_u32_e32 v0, vcc, v0, v10, vcc
	v_cmp_gt_i32_e32 vcc, v2, v19
	v_addc_co_u32_e32 v0, vcc, v0, v18, vcc
	v_cmp_gt_i32_e32 vcc, v2, v21
	v_addc_co_u32_e32 v0, vcc, v0, v20, vcc
	v_cmp_gt_i32_e32 vcc, v2, v23
	v_addc_co_u32_e32 v0, vcc, v0, v22, vcc
	v_cmp_gt_i32_e32 vcc, v2, v25
	v_addc_co_u32_e32 v0, vcc, v0, v24, vcc
	v_ashrrev_i32_e32 v1, 31, v0
	v_lshlrev_b32_e32 v2, 2, v0
	v_lshlrev_b64 v[0:1], 2, v[0:1]
	v_ashrrev_i32_e32 v3, 31, v2
	v_add_co_u32_e32 v0, vcc, s14, v0
	v_addc_co_u32_e32 v1, vcc, v17, v1, vcc
	v_lshlrev_b64 v[2:3], 3, v[2:3]
	global_store_dword v[0:1], v16, off
	v_add_co_u32_e32 v0, vcc, s34, v2
	v_addc_co_u32_e32 v1, vcc, v30, v3, vcc
	s_waitcnt lgkmcnt(1)
	global_store_dwordx4 v[0:1], v[12:15], off
	s_waitcnt lgkmcnt(0)
	global_store_dwordx4 v[0:1], v[26:29], off offset:16
.LBB46_127:
	s_endpgm
	.section	.rodata,"a",@progbits
	.p2align	6, 0x0
	.amdhsa_kernel _ZN9rocsparseL27bsrgemm_fill_wf_per_row_2x2ILj256ELj16ELj16ELj137Eii21rocsparse_complex_numIfEEEv20rocsparse_direction_T4_S4_PKS4_S6_NS_24const_host_device_scalarIT5_EEPKT3_S6_PKS8_SC_S6_SE_S9_SC_S6_SE_SC_PS4_PS8_21rocsparse_index_base_SH_SH_SH_bbb
		.amdhsa_group_segment_fixed_size 9216
		.amdhsa_private_segment_fixed_size 0
		.amdhsa_kernarg_size 164
		.amdhsa_user_sgpr_count 6
		.amdhsa_user_sgpr_private_segment_buffer 1
		.amdhsa_user_sgpr_dispatch_ptr 0
		.amdhsa_user_sgpr_queue_ptr 0
		.amdhsa_user_sgpr_kernarg_segment_ptr 1
		.amdhsa_user_sgpr_dispatch_id 0
		.amdhsa_user_sgpr_flat_scratch_init 0
		.amdhsa_user_sgpr_kernarg_preload_length 0
		.amdhsa_user_sgpr_kernarg_preload_offset 0
		.amdhsa_user_sgpr_private_segment_size 0
		.amdhsa_uses_dynamic_stack 0
		.amdhsa_system_sgpr_private_segment_wavefront_offset 0
		.amdhsa_system_sgpr_workgroup_id_x 1
		.amdhsa_system_sgpr_workgroup_id_y 0
		.amdhsa_system_sgpr_workgroup_id_z 0
		.amdhsa_system_sgpr_workgroup_info 0
		.amdhsa_system_vgpr_workitem_id 0
		.amdhsa_next_free_vgpr 38
		.amdhsa_next_free_sgpr 57
		.amdhsa_accum_offset 40
		.amdhsa_reserve_vcc 1
		.amdhsa_reserve_flat_scratch 0
		.amdhsa_float_round_mode_32 0
		.amdhsa_float_round_mode_16_64 0
		.amdhsa_float_denorm_mode_32 3
		.amdhsa_float_denorm_mode_16_64 3
		.amdhsa_dx10_clamp 1
		.amdhsa_ieee_mode 1
		.amdhsa_fp16_overflow 0
		.amdhsa_tg_split 0
		.amdhsa_exception_fp_ieee_invalid_op 0
		.amdhsa_exception_fp_denorm_src 0
		.amdhsa_exception_fp_ieee_div_zero 0
		.amdhsa_exception_fp_ieee_overflow 0
		.amdhsa_exception_fp_ieee_underflow 0
		.amdhsa_exception_fp_ieee_inexact 0
		.amdhsa_exception_int_div_zero 0
	.end_amdhsa_kernel
	.section	.text._ZN9rocsparseL27bsrgemm_fill_wf_per_row_2x2ILj256ELj16ELj16ELj137Eii21rocsparse_complex_numIfEEEv20rocsparse_direction_T4_S4_PKS4_S6_NS_24const_host_device_scalarIT5_EEPKT3_S6_PKS8_SC_S6_SE_S9_SC_S6_SE_SC_PS4_PS8_21rocsparse_index_base_SH_SH_SH_bbb,"axG",@progbits,_ZN9rocsparseL27bsrgemm_fill_wf_per_row_2x2ILj256ELj16ELj16ELj137Eii21rocsparse_complex_numIfEEEv20rocsparse_direction_T4_S4_PKS4_S6_NS_24const_host_device_scalarIT5_EEPKT3_S6_PKS8_SC_S6_SE_S9_SC_S6_SE_SC_PS4_PS8_21rocsparse_index_base_SH_SH_SH_bbb,comdat
.Lfunc_end46:
	.size	_ZN9rocsparseL27bsrgemm_fill_wf_per_row_2x2ILj256ELj16ELj16ELj137Eii21rocsparse_complex_numIfEEEv20rocsparse_direction_T4_S4_PKS4_S6_NS_24const_host_device_scalarIT5_EEPKT3_S6_PKS8_SC_S6_SE_S9_SC_S6_SE_SC_PS4_PS8_21rocsparse_index_base_SH_SH_SH_bbb, .Lfunc_end46-_ZN9rocsparseL27bsrgemm_fill_wf_per_row_2x2ILj256ELj16ELj16ELj137Eii21rocsparse_complex_numIfEEEv20rocsparse_direction_T4_S4_PKS4_S6_NS_24const_host_device_scalarIT5_EEPKT3_S6_PKS8_SC_S6_SE_S9_SC_S6_SE_SC_PS4_PS8_21rocsparse_index_base_SH_SH_SH_bbb
                                        ; -- End function
	.section	.AMDGPU.csdata,"",@progbits
; Kernel info:
; codeLenInByte = 3900
; NumSgprs: 61
; NumVgprs: 38
; NumAgprs: 0
; TotalNumVgprs: 38
; ScratchSize: 0
; MemoryBound: 0
; FloatMode: 240
; IeeeMode: 1
; LDSByteSize: 9216 bytes/workgroup (compile time only)
; SGPRBlocks: 7
; VGPRBlocks: 4
; NumSGPRsForWavesPerEU: 61
; NumVGPRsForWavesPerEU: 38
; AccumOffset: 40
; Occupancy: 7
; WaveLimiterHint : 1
; COMPUTE_PGM_RSRC2:SCRATCH_EN: 0
; COMPUTE_PGM_RSRC2:USER_SGPR: 6
; COMPUTE_PGM_RSRC2:TRAP_HANDLER: 0
; COMPUTE_PGM_RSRC2:TGID_X_EN: 1
; COMPUTE_PGM_RSRC2:TGID_Y_EN: 0
; COMPUTE_PGM_RSRC2:TGID_Z_EN: 0
; COMPUTE_PGM_RSRC2:TIDIG_COMP_CNT: 0
; COMPUTE_PGM_RSRC3_GFX90A:ACCUM_OFFSET: 9
; COMPUTE_PGM_RSRC3_GFX90A:TG_SPLIT: 0
	.section	.text._ZN9rocsparseL27bsrgemm_fill_wf_per_row_2x2ILj256ELj16ELj32ELj137Eii21rocsparse_complex_numIfEEEv20rocsparse_direction_T4_S4_PKS4_S6_NS_24const_host_device_scalarIT5_EEPKT3_S6_PKS8_SC_S6_SE_S9_SC_S6_SE_SC_PS4_PS8_21rocsparse_index_base_SH_SH_SH_bbb,"axG",@progbits,_ZN9rocsparseL27bsrgemm_fill_wf_per_row_2x2ILj256ELj16ELj32ELj137Eii21rocsparse_complex_numIfEEEv20rocsparse_direction_T4_S4_PKS4_S6_NS_24const_host_device_scalarIT5_EEPKT3_S6_PKS8_SC_S6_SE_S9_SC_S6_SE_SC_PS4_PS8_21rocsparse_index_base_SH_SH_SH_bbb,comdat
	.globl	_ZN9rocsparseL27bsrgemm_fill_wf_per_row_2x2ILj256ELj16ELj32ELj137Eii21rocsparse_complex_numIfEEEv20rocsparse_direction_T4_S4_PKS4_S6_NS_24const_host_device_scalarIT5_EEPKT3_S6_PKS8_SC_S6_SE_S9_SC_S6_SE_SC_PS4_PS8_21rocsparse_index_base_SH_SH_SH_bbb ; -- Begin function _ZN9rocsparseL27bsrgemm_fill_wf_per_row_2x2ILj256ELj16ELj32ELj137Eii21rocsparse_complex_numIfEEEv20rocsparse_direction_T4_S4_PKS4_S6_NS_24const_host_device_scalarIT5_EEPKT3_S6_PKS8_SC_S6_SE_S9_SC_S6_SE_SC_PS4_PS8_21rocsparse_index_base_SH_SH_SH_bbb
	.p2align	8
	.type	_ZN9rocsparseL27bsrgemm_fill_wf_per_row_2x2ILj256ELj16ELj32ELj137Eii21rocsparse_complex_numIfEEEv20rocsparse_direction_T4_S4_PKS4_S6_NS_24const_host_device_scalarIT5_EEPKT3_S6_PKS8_SC_S6_SE_S9_SC_S6_SE_SC_PS4_PS8_21rocsparse_index_base_SH_SH_SH_bbb,@function
_ZN9rocsparseL27bsrgemm_fill_wf_per_row_2x2ILj256ELj16ELj32ELj137Eii21rocsparse_complex_numIfEEEv20rocsparse_direction_T4_S4_PKS4_S6_NS_24const_host_device_scalarIT5_EEPKT3_S6_PKS8_SC_S6_SE_S9_SC_S6_SE_SC_PS4_PS8_21rocsparse_index_base_SH_SH_SH_bbb: ; @_ZN9rocsparseL27bsrgemm_fill_wf_per_row_2x2ILj256ELj16ELj32ELj137Eii21rocsparse_complex_numIfEEEv20rocsparse_direction_T4_S4_PKS4_S6_NS_24const_host_device_scalarIT5_EEPKT3_S6_PKS8_SC_S6_SE_S9_SC_S6_SE_SC_PS4_PS8_21rocsparse_index_base_SH_SH_SH_bbb
; %bb.0:
	s_load_dwordx8 s[8:15], s[4:5], 0x68
	s_load_dwordx8 s[16:23], s[4:5], 0x48
	s_load_dword s2, s[4:5], 0xa0
	s_load_dwordx4 s[40:43], s[4:5], 0x10
	s_load_dwordx8 s[24:31], s[4:5], 0x28
	s_load_dwordx2 s[34:35], s[4:5], 0x88
	s_load_dwordx4 s[36:39], s[4:5], 0x90
	s_waitcnt lgkmcnt(0)
	s_bitcmp1_b32 s2, 0
	s_cselect_b64 s[48:49], -1, 0
	s_bitcmp1_b32 s2, 16
	s_cselect_b64 s[0:1], -1, 0
	s_xor_b64 s[0:1], s[0:1], -1
	v_cndmask_b32_e64 v1, 0, 1, s[0:1]
	s_mov_b32 s45, 0
	s_bitcmp0_b32 s2, 0
	v_cmp_ne_u32_e64 s[0:1], 1, v1
	s_mov_b32 s56, 0
	s_cbranch_scc1 .LBB47_5
; %bb.1:
	s_load_dwordx2 s[44:45], s[4:5], 0x20
	s_and_b64 vcc, exec, s[0:1]
	s_waitcnt lgkmcnt(0)
	s_mov_b32 s56, s44
	s_cbranch_vccnz .LBB47_3
; %bb.2:
	s_load_dword s56, s[44:45], 0x0
.LBB47_3:
	s_and_b64 vcc, exec, s[0:1]
	s_cbranch_vccnz .LBB47_5
; %bb.4:
	s_load_dword s45, s[44:45], 0x4
.LBB47_5:
	s_bitcmp1_b32 s2, 8
	s_cselect_b64 s[46:47], -1, 0
	s_bfe_u32 s2, s2, 0x10008
	s_mov_b32 s44, 0
	s_cmp_eq_u32 s2, 0
	s_mov_b32 s33, 0
	s_cbranch_scc1 .LBB47_11
; %bb.6:
	s_and_b64 vcc, exec, s[0:1]
	s_mov_b32 s33, s20
	s_cbranch_vccnz .LBB47_8
; %bb.7:
	s_load_dword s33, s[20:21], 0x0
.LBB47_8:
	s_and_b64 vcc, exec, s[0:1]
	s_cbranch_vccnz .LBB47_10
; %bb.9:
	s_load_dword s21, s[20:21], 0x4
.LBB47_10:
	s_waitcnt lgkmcnt(0)
	s_mov_b32 s44, s21
.LBB47_11:
	s_load_dwordx4 s[0:3], s[4:5], 0x0
	v_and_b32_e32 v16, 15, v0
	v_lshrrev_b32_e32 v18, 4, v0
	v_mov_b32_e32 v0, 0x4000
	v_lshl_or_b32 v14, v18, 7, v0
	v_lshl_or_b32 v0, v16, 2, v14
	s_waitcnt lgkmcnt(0)
	v_mov_b32_e32 v1, s2
	ds_write2_b32 v0, v1, v1 offset1:16
	v_or_b32_e32 v15, -16, v16
	v_lshlrev_b32_e32 v17, 10, v18
	v_mov_b32_e32 v0, 0
	v_lshl_or_b32 v2, v16, 3, v17
	s_mov_b64 s[4:5], 0
	v_mov_b32_e32 v1, v0
	s_movk_i32 s3, 0x6f
	v_mov_b32_e32 v3, v15
.LBB47_12:                              ; =>This Inner Loop Header: Depth=1
	v_add_u32_e32 v3, 16, v3
	v_cmp_lt_u32_e32 vcc, s3, v3
	ds_write_b64 v2, v[0:1]
	s_or_b64 s[4:5], vcc, s[4:5]
	v_add_u32_e32 v2, 0x80, v2
	s_andn2_b64 exec, exec, s[4:5]
	s_cbranch_execnz .LBB47_12
; %bb.13:
	s_or_b64 exec, exec, s[4:5]
	v_lshl_or_b32 v0, s6, 4, v18
	v_cmp_gt_i32_e32 vcc, s1, v0
	s_waitcnt lgkmcnt(0)
	s_barrier
	s_and_saveexec_b64 s[4:5], vcc
	s_cbranch_execz .LBB47_129
; %bb.14:
	s_cmp_eq_u64 s[42:43], 0
	s_cbranch_scc1 .LBB47_16
; %bb.15:
	s_load_dword s1, s[40:41], 0x0
	v_mov_b32_e32 v2, s43
	s_waitcnt lgkmcnt(0)
	v_add_u32_e32 v0, s1, v0
	v_ashrrev_i32_e32 v1, 31, v0
	v_lshlrev_b64 v[0:1], 2, v[0:1]
	v_add_co_u32_e32 v0, vcc, s42, v0
	v_addc_co_u32_e32 v1, vcc, v2, v1, vcc
	global_load_dword v0, v[0:1], off
.LBB47_16:
	s_waitcnt vmcnt(0)
	v_ashrrev_i32_e32 v1, 31, v0
	s_andn2_b64 vcc, exec, s[48:49]
	v_lshlrev_b64 v[0:1], 2, v[0:1]
	s_cbranch_vccnz .LBB47_72
; %bb.17:
	v_mov_b32_e32 v3, s25
	v_add_co_u32_e32 v2, vcc, s24, v0
	v_addc_co_u32_e32 v3, vcc, v3, v1, vcc
	global_load_dwordx2 v[2:3], v[2:3], off
	v_subrev_u32_e32 v4, s36, v16
	s_waitcnt vmcnt(0)
	v_subrev_u32_e32 v19, s36, v3
	v_add_u32_e32 v2, v2, v4
	v_cmp_lt_i32_e32 vcc, v2, v19
	s_and_saveexec_b64 s[4:5], vcc
	s_cbranch_execz .LBB47_71
; %bb.18:
	s_cmp_eq_u32 s0, 0
	s_cselect_b32 s1, 2, 1
	s_cselect_b32 s3, 1, 2
	v_add_u32_e32 v20, 8, v17
	v_add_u32_e32 v21, 16, v17
	;; [unrolled: 1-line block ×3, first 2 shown]
	s_mov_b64 s[6:7], 0
	v_mov_b32_e32 v23, s27
	v_mov_b32_e32 v24, s31
	s_branch .LBB47_20
.LBB47_19:                              ;   in Loop: Header=BB47_20 Depth=1
	s_or_b64 exec, exec, s[20:21]
	v_add_u32_e32 v2, 16, v2
	v_cmp_ge_i32_e32 vcc, v2, v19
	s_or_b64 s[6:7], vcc, s[6:7]
	s_andn2_b64 exec, exec, s[6:7]
	s_cbranch_execz .LBB47_71
.LBB47_20:                              ; =>This Loop Header: Depth=1
                                        ;     Child Loop BB47_23 Depth 2
                                        ;       Child Loop BB47_25 Depth 3
                                        ;       Child Loop BB47_37 Depth 3
	;; [unrolled: 1-line block ×4, first 2 shown]
	v_ashrrev_i32_e32 v3, 31, v2
	v_lshlrev_b64 v[4:5], 2, v[2:3]
	v_add_co_u32_e32 v4, vcc, s26, v4
	v_addc_co_u32_e32 v5, vcc, v23, v5, vcc
	global_load_dword v3, v[4:5], off
	s_waitcnt vmcnt(0)
	v_subrev_u32_e32 v4, s36, v3
	v_ashrrev_i32_e32 v5, 31, v4
	v_lshlrev_b64 v[4:5], 2, v[4:5]
	v_add_co_u32_e32 v4, vcc, s30, v4
	v_addc_co_u32_e32 v5, vcc, v24, v5, vcc
	global_load_dwordx2 v[4:5], v[4:5], off
	s_waitcnt vmcnt(0)
	v_cmp_lt_i32_e32 vcc, v4, v5
	s_and_saveexec_b64 s[20:21], vcc
	s_cbranch_execz .LBB47_19
; %bb.21:                               ;   in Loop: Header=BB47_20 Depth=1
	v_lshlrev_b32_e32 v6, 2, v2
	v_ashrrev_i32_e32 v7, 31, v6
	v_lshlrev_b64 v[8:9], 3, v[6:7]
	v_or_b32_e32 v12, s1, v6
	v_mov_b32_e32 v3, s29
	v_add_co_u32_e32 v8, vcc, s28, v8
	v_ashrrev_i32_e32 v13, 31, v12
	v_addc_co_u32_e32 v9, vcc, v3, v9, vcc
	v_lshlrev_b64 v[12:13], 3, v[12:13]
	v_or_b32_e32 v6, s3, v6
	v_add_co_u32_e32 v12, vcc, s28, v12
	v_ashrrev_i32_e32 v7, 31, v6
	v_addc_co_u32_e32 v13, vcc, v3, v13, vcc
	v_lshlrev_b64 v[6:7], 3, v[6:7]
	v_add_co_u32_e32 v6, vcc, s28, v6
	global_load_dwordx2 v[10:11], v[8:9], off
	v_addc_co_u32_e32 v7, vcc, v3, v7, vcc
	global_load_dwordx2 v[34:35], v[12:13], off
	global_load_dwordx2 v[36:37], v[6:7], off
	global_load_dwordx2 v[38:39], v[8:9], off offset:24
	v_subrev_u32_e32 v3, s37, v5
	v_subrev_u32_e32 v4, s37, v4
	s_mov_b64 s[24:25], 0
	s_waitcnt vmcnt(3)
	v_mul_f32_e64 v25, v11, -s45
	v_mul_f32_e32 v26, s56, v11
	s_waitcnt vmcnt(2)
	v_mul_f32_e64 v27, v35, -s45
	v_mul_f32_e32 v28, s56, v35
	s_waitcnt vmcnt(0)
	v_mul_f32_e32 v29, s56, v39
	v_mul_f32_e64 v30, v39, -s45
	v_mul_f32_e32 v31, s56, v37
	v_mul_f32_e64 v32, v37, -s45
	v_fmac_f32_e32 v25, s56, v10
	v_fmac_f32_e32 v26, s45, v10
	;; [unrolled: 1-line block ×8, first 2 shown]
	s_branch .LBB47_23
.LBB47_22:                              ;   in Loop: Header=BB47_23 Depth=2
	s_or_b64 exec, exec, s[40:41]
	v_add_u32_e32 v4, 1, v4
	v_cmp_ge_i32_e32 vcc, v4, v3
	s_or_b64 s[24:25], vcc, s[24:25]
	s_andn2_b64 exec, exec, s[24:25]
	s_cbranch_execz .LBB47_19
.LBB47_23:                              ;   Parent Loop BB47_20 Depth=1
                                        ; =>  This Loop Header: Depth=2
                                        ;       Child Loop BB47_25 Depth 3
                                        ;       Child Loop BB47_37 Depth 3
	;; [unrolled: 1-line block ×4, first 2 shown]
	v_ashrrev_i32_e32 v5, 31, v4
	v_lshlrev_b64 v[6:7], 2, v[4:5]
	v_mov_b32_e32 v5, s17
	v_add_co_u32_e32 v6, vcc, s16, v6
	v_addc_co_u32_e32 v7, vcc, v5, v7, vcc
	global_load_dword v5, v[6:7], off
	v_lshlrev_b32_e32 v6, 2, v4
	v_or_b32_e32 v10, s1, v6
	v_ashrrev_i32_e32 v11, 31, v10
	v_lshlrev_b64 v[10:11], 3, v[10:11]
	v_ashrrev_i32_e32 v7, 31, v6
	v_mov_b32_e32 v33, s19
	v_add_co_u32_e32 v10, vcc, s18, v10
	v_or_b32_e32 v8, s3, v6
	v_lshlrev_b64 v[6:7], 3, v[6:7]
	v_addc_co_u32_e32 v11, vcc, v33, v11, vcc
	global_load_dwordx2 v[12:13], v[10:11], off
	v_add_co_u32_e32 v34, vcc, s18, v6
	v_ashrrev_i32_e32 v9, 31, v8
	v_addc_co_u32_e32 v35, vcc, v33, v7, vcc
	v_lshlrev_b64 v[6:7], 3, v[8:9]
	global_load_dwordx2 v[10:11], v[34:35], off
	v_add_co_u32_e32 v36, vcc, s18, v6
	v_addc_co_u32_e32 v37, vcc, v33, v7, vcc
	global_load_dwordx2 v[6:7], v[36:37], off
	global_load_dwordx2 v[8:9], v[34:35], off offset:24
	s_mov_b64 s[40:41], 0
	s_waitcnt vmcnt(4)
	v_subrev_u32_e32 v5, s37, v5
	v_lshl_add_u32 v33, v5, 3, v5
	v_and_b32_e32 v33, 31, v33
	v_mov_b32_e32 v36, v33
	s_waitcnt vmcnt(3)
	v_mul_f32_e64 v35, v13, -v31
	v_mul_f32_e32 v34, v32, v13
	v_fmac_f32_e32 v35, v32, v12
	v_fmac_f32_e32 v34, v31, v12
	s_waitcnt vmcnt(2)
	v_fmac_f32_e32 v35, v25, v10
	v_fmac_f32_e32 v34, v26, v10
	v_fma_f32 v35, -v26, v11, v35
	v_fmac_f32_e32 v34, v25, v11
	s_branch .LBB47_25
.LBB47_24:                              ;   in Loop: Header=BB47_25 Depth=3
	s_or_b64 exec, exec, s[42:43]
	s_xor_b64 s[42:43], s[48:49], -1
	s_and_b64 s[42:43], exec, s[42:43]
	s_or_b64 s[40:41], s[42:43], s[40:41]
	s_andn2_b64 exec, exec, s[40:41]
	s_cbranch_execz .LBB47_35
.LBB47_25:                              ;   Parent Loop BB47_20 Depth=1
                                        ;     Parent Loop BB47_23 Depth=2
                                        ; =>    This Inner Loop Header: Depth=3
	v_lshl_add_u32 v37, v36, 2, v14
	ds_read_b32 v38, v37
                                        ; implicit-def: $sgpr48_sgpr49
	s_waitcnt lgkmcnt(0)
	v_cmp_ne_u32_e32 vcc, v38, v5
	s_and_saveexec_b64 s[42:43], vcc
	s_xor_b64 s[42:43], exec, s[42:43]
	s_cbranch_execz .LBB47_33
; %bb.26:                               ;   in Loop: Header=BB47_25 Depth=3
	v_cmp_ne_u32_e32 vcc, s2, v38
                                        ; implicit-def: $sgpr48_sgpr49
	s_and_saveexec_b64 s[50:51], vcc
	s_xor_b64 s[50:51], exec, s[50:51]
; %bb.27:                               ;   in Loop: Header=BB47_25 Depth=3
	v_add_u32_e32 v36, 1, v36
	v_and_b32_e32 v36, 31, v36
	s_mov_b64 s[48:49], -1
                                        ; implicit-def: $vgpr37
; %bb.28:                               ;   in Loop: Header=BB47_25 Depth=3
	s_andn2_saveexec_b64 s[50:51], s[50:51]
	s_cbranch_execz .LBB47_32
; %bb.29:                               ;   in Loop: Header=BB47_25 Depth=3
	v_mov_b32_e32 v38, s2
	ds_cmpst_rtn_b32 v37, v37, v38, v5
	s_mov_b64 s[52:53], -1
	s_waitcnt lgkmcnt(0)
	v_cmp_eq_u32_e32 vcc, s2, v37
	s_and_saveexec_b64 s[54:55], vcc
	s_cbranch_execz .LBB47_31
; %bb.30:                               ;   in Loop: Header=BB47_25 Depth=3
	v_lshl_add_u32 v37, v36, 5, v17
	ds_add_f32 v37, v35
	ds_add_f32 v37, v34 offset:4
	s_xor_b64 s[52:53], exec, -1
.LBB47_31:                              ;   in Loop: Header=BB47_25 Depth=3
	s_or_b64 exec, exec, s[54:55]
	s_andn2_b64 s[48:49], s[48:49], exec
	s_and_b64 s[52:53], s[52:53], exec
	s_or_b64 s[48:49], s[48:49], s[52:53]
.LBB47_32:                              ;   in Loop: Header=BB47_25 Depth=3
	s_or_b64 exec, exec, s[50:51]
	s_and_b64 s[48:49], s[48:49], exec
.LBB47_33:                              ;   in Loop: Header=BB47_25 Depth=3
	s_andn2_saveexec_b64 s[42:43], s[42:43]
	s_cbranch_execz .LBB47_24
; %bb.34:                               ;   in Loop: Header=BB47_25 Depth=3
	v_lshl_add_u32 v37, v36, 5, v17
	ds_add_f32 v37, v35
	ds_add_f32 v37, v34 offset:4
	s_andn2_b64 s[48:49], s[48:49], exec
	s_branch .LBB47_24
.LBB47_35:                              ;   in Loop: Header=BB47_23 Depth=2
	s_or_b64 exec, exec, s[40:41]
	s_waitcnt vmcnt(0)
	v_mul_f32_e64 v35, v9, -v31
	v_mul_f32_e32 v34, v32, v9
	v_fmac_f32_e32 v35, v32, v8
	v_fmac_f32_e32 v34, v31, v8
	;; [unrolled: 1-line block ×4, first 2 shown]
	v_fma_f32 v35, -v26, v7, v35
	v_fmac_f32_e32 v34, v25, v7
	s_mov_b64 s[40:41], 0
	v_mov_b32_e32 v36, v33
	s_branch .LBB47_37
.LBB47_36:                              ;   in Loop: Header=BB47_37 Depth=3
	s_or_b64 exec, exec, s[42:43]
	s_xor_b64 s[42:43], s[48:49], -1
	s_and_b64 s[42:43], exec, s[42:43]
	s_or_b64 s[40:41], s[42:43], s[40:41]
	s_andn2_b64 exec, exec, s[40:41]
	s_cbranch_execz .LBB47_47
.LBB47_37:                              ;   Parent Loop BB47_20 Depth=1
                                        ;     Parent Loop BB47_23 Depth=2
                                        ; =>    This Inner Loop Header: Depth=3
	v_lshl_add_u32 v37, v36, 2, v14
	ds_read_b32 v38, v37
                                        ; implicit-def: $sgpr48_sgpr49
	s_waitcnt lgkmcnt(0)
	v_cmp_ne_u32_e32 vcc, v38, v5
	s_and_saveexec_b64 s[42:43], vcc
	s_xor_b64 s[42:43], exec, s[42:43]
	s_cbranch_execz .LBB47_45
; %bb.38:                               ;   in Loop: Header=BB47_37 Depth=3
	v_cmp_ne_u32_e32 vcc, s2, v38
                                        ; implicit-def: $sgpr48_sgpr49
	s_and_saveexec_b64 s[50:51], vcc
	s_xor_b64 s[50:51], exec, s[50:51]
; %bb.39:                               ;   in Loop: Header=BB47_37 Depth=3
	v_add_u32_e32 v36, 1, v36
	v_and_b32_e32 v36, 31, v36
	s_mov_b64 s[48:49], -1
                                        ; implicit-def: $vgpr37
; %bb.40:                               ;   in Loop: Header=BB47_37 Depth=3
	s_andn2_saveexec_b64 s[50:51], s[50:51]
	s_cbranch_execz .LBB47_44
; %bb.41:                               ;   in Loop: Header=BB47_37 Depth=3
	v_mov_b32_e32 v38, s2
	ds_cmpst_rtn_b32 v37, v37, v38, v5
	s_mov_b64 s[52:53], -1
	s_waitcnt lgkmcnt(0)
	v_cmp_eq_u32_e32 vcc, s2, v37
	s_and_saveexec_b64 s[54:55], vcc
	s_cbranch_execz .LBB47_43
; %bb.42:                               ;   in Loop: Header=BB47_37 Depth=3
	v_lshl_add_u32 v37, v36, 5, v20
	ds_add_f32 v37, v35
	ds_add_f32 v37, v34 offset:4
	s_xor_b64 s[52:53], exec, -1
.LBB47_43:                              ;   in Loop: Header=BB47_37 Depth=3
	s_or_b64 exec, exec, s[54:55]
	s_andn2_b64 s[48:49], s[48:49], exec
	s_and_b64 s[52:53], s[52:53], exec
	s_or_b64 s[48:49], s[48:49], s[52:53]
.LBB47_44:                              ;   in Loop: Header=BB47_37 Depth=3
	s_or_b64 exec, exec, s[50:51]
	s_and_b64 s[48:49], s[48:49], exec
.LBB47_45:                              ;   in Loop: Header=BB47_37 Depth=3
	s_andn2_saveexec_b64 s[42:43], s[42:43]
	s_cbranch_execz .LBB47_36
; %bb.46:                               ;   in Loop: Header=BB47_37 Depth=3
	v_lshl_add_u32 v37, v36, 5, v20
	ds_add_f32 v37, v35
	ds_add_f32 v37, v34 offset:4
	s_andn2_b64 s[48:49], s[48:49], exec
	s_branch .LBB47_36
.LBB47_47:                              ;   in Loop: Header=BB47_23 Depth=2
	s_or_b64 exec, exec, s[40:41]
	v_mul_f32_e64 v34, v13, -v29
	v_mul_f32_e32 v13, v30, v13
	v_fmac_f32_e32 v34, v30, v12
	v_fmac_f32_e32 v13, v29, v12
	;; [unrolled: 1-line block ×4, first 2 shown]
	v_fma_f32 v12, -v28, v11, v34
	v_fmac_f32_e32 v13, v27, v11
	s_mov_b64 s[40:41], 0
	v_mov_b32_e32 v10, v33
	s_branch .LBB47_49
.LBB47_48:                              ;   in Loop: Header=BB47_49 Depth=3
	s_or_b64 exec, exec, s[42:43]
	s_xor_b64 s[42:43], s[48:49], -1
	s_and_b64 s[42:43], exec, s[42:43]
	s_or_b64 s[40:41], s[42:43], s[40:41]
	s_andn2_b64 exec, exec, s[40:41]
	s_cbranch_execz .LBB47_59
.LBB47_49:                              ;   Parent Loop BB47_20 Depth=1
                                        ;     Parent Loop BB47_23 Depth=2
                                        ; =>    This Inner Loop Header: Depth=3
	v_lshl_add_u32 v11, v10, 2, v14
	ds_read_b32 v34, v11
                                        ; implicit-def: $sgpr48_sgpr49
	s_waitcnt lgkmcnt(0)
	v_cmp_ne_u32_e32 vcc, v34, v5
	s_and_saveexec_b64 s[42:43], vcc
	s_xor_b64 s[42:43], exec, s[42:43]
	s_cbranch_execz .LBB47_57
; %bb.50:                               ;   in Loop: Header=BB47_49 Depth=3
	v_cmp_ne_u32_e32 vcc, s2, v34
                                        ; implicit-def: $sgpr48_sgpr49
	s_and_saveexec_b64 s[50:51], vcc
	s_xor_b64 s[50:51], exec, s[50:51]
; %bb.51:                               ;   in Loop: Header=BB47_49 Depth=3
	v_add_u32_e32 v10, 1, v10
	v_and_b32_e32 v10, 31, v10
	s_mov_b64 s[48:49], -1
                                        ; implicit-def: $vgpr11
; %bb.52:                               ;   in Loop: Header=BB47_49 Depth=3
	s_andn2_saveexec_b64 s[50:51], s[50:51]
	s_cbranch_execz .LBB47_56
; %bb.53:                               ;   in Loop: Header=BB47_49 Depth=3
	v_mov_b32_e32 v34, s2
	ds_cmpst_rtn_b32 v11, v11, v34, v5
	s_mov_b64 s[52:53], -1
	s_waitcnt lgkmcnt(0)
	v_cmp_eq_u32_e32 vcc, s2, v11
	s_and_saveexec_b64 s[54:55], vcc
	s_cbranch_execz .LBB47_55
; %bb.54:                               ;   in Loop: Header=BB47_49 Depth=3
	v_lshl_add_u32 v11, v10, 5, v21
	ds_add_f32 v11, v12
	ds_add_f32 v11, v13 offset:4
	s_xor_b64 s[52:53], exec, -1
.LBB47_55:                              ;   in Loop: Header=BB47_49 Depth=3
	s_or_b64 exec, exec, s[54:55]
	s_andn2_b64 s[48:49], s[48:49], exec
	s_and_b64 s[52:53], s[52:53], exec
	s_or_b64 s[48:49], s[48:49], s[52:53]
.LBB47_56:                              ;   in Loop: Header=BB47_49 Depth=3
	s_or_b64 exec, exec, s[50:51]
	s_and_b64 s[48:49], s[48:49], exec
.LBB47_57:                              ;   in Loop: Header=BB47_49 Depth=3
	s_andn2_saveexec_b64 s[42:43], s[42:43]
	s_cbranch_execz .LBB47_48
; %bb.58:                               ;   in Loop: Header=BB47_49 Depth=3
	v_lshl_add_u32 v11, v10, 5, v21
	ds_add_f32 v11, v12
	ds_add_f32 v11, v13 offset:4
	s_andn2_b64 s[48:49], s[48:49], exec
	s_branch .LBB47_48
.LBB47_59:                              ;   in Loop: Header=BB47_23 Depth=2
	s_or_b64 exec, exec, s[40:41]
	v_mul_f32_e64 v10, v9, -v29
	v_mul_f32_e32 v9, v30, v9
	v_fmac_f32_e32 v10, v30, v8
	v_fmac_f32_e32 v9, v29, v8
	;; [unrolled: 1-line block ×4, first 2 shown]
	v_fma_f32 v8, -v28, v7, v10
	v_fmac_f32_e32 v9, v27, v7
	s_mov_b64 s[40:41], 0
	s_branch .LBB47_61
.LBB47_60:                              ;   in Loop: Header=BB47_61 Depth=3
	s_or_b64 exec, exec, s[42:43]
	s_xor_b64 s[42:43], s[48:49], -1
	s_and_b64 s[42:43], exec, s[42:43]
	s_or_b64 s[40:41], s[42:43], s[40:41]
	s_andn2_b64 exec, exec, s[40:41]
	s_cbranch_execz .LBB47_22
.LBB47_61:                              ;   Parent Loop BB47_20 Depth=1
                                        ;     Parent Loop BB47_23 Depth=2
                                        ; =>    This Inner Loop Header: Depth=3
	v_lshl_add_u32 v6, v33, 2, v14
	ds_read_b32 v7, v6
                                        ; implicit-def: $sgpr48_sgpr49
	s_waitcnt lgkmcnt(0)
	v_cmp_ne_u32_e32 vcc, v7, v5
	s_and_saveexec_b64 s[42:43], vcc
	s_xor_b64 s[42:43], exec, s[42:43]
	s_cbranch_execz .LBB47_69
; %bb.62:                               ;   in Loop: Header=BB47_61 Depth=3
	v_cmp_ne_u32_e32 vcc, s2, v7
                                        ; implicit-def: $sgpr48_sgpr49
	s_and_saveexec_b64 s[50:51], vcc
	s_xor_b64 s[50:51], exec, s[50:51]
; %bb.63:                               ;   in Loop: Header=BB47_61 Depth=3
	v_add_u32_e32 v6, 1, v33
	v_and_b32_e32 v33, 31, v6
	s_mov_b64 s[48:49], -1
                                        ; implicit-def: $vgpr6
; %bb.64:                               ;   in Loop: Header=BB47_61 Depth=3
	s_andn2_saveexec_b64 s[50:51], s[50:51]
	s_cbranch_execz .LBB47_68
; %bb.65:                               ;   in Loop: Header=BB47_61 Depth=3
	v_mov_b32_e32 v7, s2
	ds_cmpst_rtn_b32 v6, v6, v7, v5
	s_mov_b64 s[52:53], -1
	s_waitcnt lgkmcnt(0)
	v_cmp_eq_u32_e32 vcc, s2, v6
	s_and_saveexec_b64 s[54:55], vcc
	s_cbranch_execz .LBB47_67
; %bb.66:                               ;   in Loop: Header=BB47_61 Depth=3
	v_lshl_add_u32 v6, v33, 5, v22
	ds_add_f32 v6, v8
	ds_add_f32 v6, v9 offset:4
	s_xor_b64 s[52:53], exec, -1
.LBB47_67:                              ;   in Loop: Header=BB47_61 Depth=3
	s_or_b64 exec, exec, s[54:55]
	s_andn2_b64 s[48:49], s[48:49], exec
	s_and_b64 s[52:53], s[52:53], exec
	s_or_b64 s[48:49], s[48:49], s[52:53]
.LBB47_68:                              ;   in Loop: Header=BB47_61 Depth=3
	s_or_b64 exec, exec, s[50:51]
	s_and_b64 s[48:49], s[48:49], exec
.LBB47_69:                              ;   in Loop: Header=BB47_61 Depth=3
	s_andn2_saveexec_b64 s[42:43], s[42:43]
	s_cbranch_execz .LBB47_60
; %bb.70:                               ;   in Loop: Header=BB47_61 Depth=3
	v_lshl_add_u32 v6, v33, 5, v22
	ds_add_f32 v6, v8
	ds_add_f32 v6, v9 offset:4
	s_andn2_b64 s[48:49], s[48:49], exec
	s_branch .LBB47_60
.LBB47_71:
	s_or_b64 exec, exec, s[4:5]
.LBB47_72:
	v_lshlrev_b32_e32 v10, 7, v18
	s_andn2_b64 vcc, exec, s[46:47]
	s_waitcnt lgkmcnt(0)
	s_cbranch_vccnz .LBB47_125
; %bb.73:
	v_mov_b32_e32 v3, s23
	v_add_co_u32_e32 v2, vcc, s22, v0
	v_addc_co_u32_e32 v3, vcc, v3, v1, vcc
	global_load_dwordx2 v[2:3], v[2:3], off
	v_subrev_u32_e32 v4, s39, v16
	s_waitcnt vmcnt(0)
	v_subrev_u32_e32 v11, s39, v3
	v_add_u32_e32 v2, v2, v4
	v_cmp_lt_i32_e32 vcc, v2, v11
	s_and_saveexec_b64 s[4:5], vcc
	s_cbranch_execz .LBB47_124
; %bb.74:
	s_cmp_eq_u32 s0, 0
	s_cselect_b32 s1, 1, 2
	s_cselect_b32 s3, 2, 1
	v_add_u32_e32 v12, 8, v17
	v_add_u32_e32 v13, 16, v17
	;; [unrolled: 1-line block ×3, first 2 shown]
	s_mov_b64 s[6:7], 0
	v_mov_b32_e32 v19, s11
	v_mov_b32_e32 v20, s9
	s_branch .LBB47_76
.LBB47_75:                              ;   in Loop: Header=BB47_76 Depth=1
	s_or_b64 exec, exec, s[16:17]
	v_add_u32_e32 v2, 16, v2
	v_cmp_ge_i32_e32 vcc, v2, v11
	s_or_b64 s[6:7], vcc, s[6:7]
	s_andn2_b64 exec, exec, s[6:7]
	s_cbranch_execz .LBB47_124
.LBB47_76:                              ; =>This Loop Header: Depth=1
                                        ;     Child Loop BB47_78 Depth 2
                                        ;     Child Loop BB47_90 Depth 2
	;; [unrolled: 1-line block ×4, first 2 shown]
	v_lshlrev_b32_e32 v4, 2, v2
	v_ashrrev_i32_e32 v5, 31, v4
	v_lshlrev_b64 v[6:7], 3, v[4:5]
	v_add_co_u32_e32 v22, vcc, s10, v6
	v_or_b32_e32 v6, s1, v4
	v_addc_co_u32_e32 v23, vcc, v19, v7, vcc
	v_ashrrev_i32_e32 v7, 31, v6
	v_lshlrev_b64 v[6:7], 3, v[6:7]
	v_ashrrev_i32_e32 v3, 31, v2
	v_add_co_u32_e32 v26, vcc, s10, v6
	v_addc_co_u32_e32 v27, vcc, v19, v7, vcc
	v_lshlrev_b64 v[6:7], 2, v[2:3]
	v_add_co_u32_e32 v6, vcc, s8, v6
	v_or_b32_e32 v4, s3, v4
	v_addc_co_u32_e32 v7, vcc, v20, v7, vcc
	global_load_dword v3, v[6:7], off
	v_ashrrev_i32_e32 v5, 31, v4
	v_lshlrev_b64 v[4:5], 3, v[4:5]
	global_load_dwordx2 v[24:25], v[22:23], off
	v_add_co_u32_e32 v28, vcc, s10, v4
	v_addc_co_u32_e32 v29, vcc, v19, v5, vcc
	global_load_dwordx2 v[4:5], v[22:23], off offset:24
	global_load_dwordx2 v[8:9], v[26:27], off
	global_load_dwordx2 v[6:7], v[28:29], off
	s_mov_b64 s[16:17], 0
	s_waitcnt vmcnt(4)
	v_subrev_u32_e32 v3, s39, v3
	v_lshl_add_u32 v21, v3, 3, v3
	v_and_b32_e32 v21, 31, v21
	s_waitcnt vmcnt(3)
	v_mul_f32_e64 v22, v25, -s44
	v_mul_f32_e32 v23, s33, v25
	v_fmac_f32_e32 v22, s33, v24
	v_fmac_f32_e32 v23, s44, v24
	v_mov_b32_e32 v24, v21
	s_branch .LBB47_78
.LBB47_77:                              ;   in Loop: Header=BB47_78 Depth=2
	s_or_b64 exec, exec, s[18:19]
	s_xor_b64 s[18:19], s[20:21], -1
	s_and_b64 s[18:19], exec, s[18:19]
	s_or_b64 s[16:17], s[18:19], s[16:17]
	s_andn2_b64 exec, exec, s[16:17]
	s_cbranch_execz .LBB47_88
.LBB47_78:                              ;   Parent Loop BB47_76 Depth=1
                                        ; =>  This Inner Loop Header: Depth=2
	v_lshl_add_u32 v25, v24, 2, v14
	ds_read_b32 v26, v25
                                        ; implicit-def: $sgpr20_sgpr21
	s_waitcnt lgkmcnt(0)
	v_cmp_ne_u32_e32 vcc, v26, v3
	s_and_saveexec_b64 s[18:19], vcc
	s_xor_b64 s[18:19], exec, s[18:19]
	s_cbranch_execz .LBB47_86
; %bb.79:                               ;   in Loop: Header=BB47_78 Depth=2
	v_cmp_ne_u32_e32 vcc, s2, v26
                                        ; implicit-def: $sgpr20_sgpr21
	s_and_saveexec_b64 s[22:23], vcc
	s_xor_b64 s[22:23], exec, s[22:23]
; %bb.80:                               ;   in Loop: Header=BB47_78 Depth=2
	v_add_u32_e32 v24, 1, v24
	v_and_b32_e32 v24, 31, v24
	s_mov_b64 s[20:21], -1
                                        ; implicit-def: $vgpr25
; %bb.81:                               ;   in Loop: Header=BB47_78 Depth=2
	s_andn2_saveexec_b64 s[22:23], s[22:23]
	s_cbranch_execz .LBB47_85
; %bb.82:                               ;   in Loop: Header=BB47_78 Depth=2
	v_mov_b32_e32 v26, s2
	ds_cmpst_rtn_b32 v25, v25, v26, v3
	s_mov_b64 s[24:25], -1
	s_waitcnt lgkmcnt(0)
	v_cmp_eq_u32_e32 vcc, s2, v25
	s_and_saveexec_b64 s[26:27], vcc
	s_cbranch_execz .LBB47_84
; %bb.83:                               ;   in Loop: Header=BB47_78 Depth=2
	v_lshl_add_u32 v25, v24, 5, v17
	ds_add_f32 v25, v22
	ds_add_f32 v25, v23 offset:4
	s_xor_b64 s[24:25], exec, -1
.LBB47_84:                              ;   in Loop: Header=BB47_78 Depth=2
	s_or_b64 exec, exec, s[26:27]
	s_andn2_b64 s[20:21], s[20:21], exec
	s_and_b64 s[24:25], s[24:25], exec
	s_or_b64 s[20:21], s[20:21], s[24:25]
.LBB47_85:                              ;   in Loop: Header=BB47_78 Depth=2
	s_or_b64 exec, exec, s[22:23]
	s_and_b64 s[20:21], s[20:21], exec
.LBB47_86:                              ;   in Loop: Header=BB47_78 Depth=2
	s_andn2_saveexec_b64 s[18:19], s[18:19]
	s_cbranch_execz .LBB47_77
; %bb.87:                               ;   in Loop: Header=BB47_78 Depth=2
	v_lshl_add_u32 v25, v24, 5, v17
	ds_add_f32 v25, v22
	ds_add_f32 v25, v23 offset:4
	s_andn2_b64 s[20:21], s[20:21], exec
	s_branch .LBB47_77
.LBB47_88:                              ;   in Loop: Header=BB47_76 Depth=1
	s_or_b64 exec, exec, s[16:17]
	s_waitcnt vmcnt(1)
	v_mul_f32_e64 v22, v9, -s44
	v_mul_f32_e32 v9, s33, v9
	v_fmac_f32_e32 v22, s33, v8
	v_fmac_f32_e32 v9, s44, v8
	s_mov_b64 s[16:17], 0
	v_mov_b32_e32 v8, v21
	s_branch .LBB47_90
.LBB47_89:                              ;   in Loop: Header=BB47_90 Depth=2
	s_or_b64 exec, exec, s[18:19]
	s_xor_b64 s[18:19], s[20:21], -1
	s_and_b64 s[18:19], exec, s[18:19]
	s_or_b64 s[16:17], s[18:19], s[16:17]
	s_andn2_b64 exec, exec, s[16:17]
	s_cbranch_execz .LBB47_100
.LBB47_90:                              ;   Parent Loop BB47_76 Depth=1
                                        ; =>  This Inner Loop Header: Depth=2
	v_lshl_add_u32 v23, v8, 2, v14
	ds_read_b32 v24, v23
                                        ; implicit-def: $sgpr20_sgpr21
	s_waitcnt lgkmcnt(0)
	v_cmp_ne_u32_e32 vcc, v24, v3
	s_and_saveexec_b64 s[18:19], vcc
	s_xor_b64 s[18:19], exec, s[18:19]
	s_cbranch_execz .LBB47_98
; %bb.91:                               ;   in Loop: Header=BB47_90 Depth=2
	v_cmp_ne_u32_e32 vcc, s2, v24
                                        ; implicit-def: $sgpr20_sgpr21
	s_and_saveexec_b64 s[22:23], vcc
	s_xor_b64 s[22:23], exec, s[22:23]
; %bb.92:                               ;   in Loop: Header=BB47_90 Depth=2
	v_add_u32_e32 v8, 1, v8
	v_and_b32_e32 v8, 31, v8
	s_mov_b64 s[20:21], -1
                                        ; implicit-def: $vgpr23
; %bb.93:                               ;   in Loop: Header=BB47_90 Depth=2
	s_andn2_saveexec_b64 s[22:23], s[22:23]
	s_cbranch_execz .LBB47_97
; %bb.94:                               ;   in Loop: Header=BB47_90 Depth=2
	v_mov_b32_e32 v24, s2
	ds_cmpst_rtn_b32 v23, v23, v24, v3
	s_mov_b64 s[24:25], -1
	s_waitcnt lgkmcnt(0)
	v_cmp_eq_u32_e32 vcc, s2, v23
	s_and_saveexec_b64 s[26:27], vcc
	s_cbranch_execz .LBB47_96
; %bb.95:                               ;   in Loop: Header=BB47_90 Depth=2
	v_lshl_add_u32 v23, v8, 5, v12
	ds_add_f32 v23, v22
	ds_add_f32 v23, v9 offset:4
	s_xor_b64 s[24:25], exec, -1
.LBB47_96:                              ;   in Loop: Header=BB47_90 Depth=2
	s_or_b64 exec, exec, s[26:27]
	s_andn2_b64 s[20:21], s[20:21], exec
	s_and_b64 s[24:25], s[24:25], exec
	s_or_b64 s[20:21], s[20:21], s[24:25]
.LBB47_97:                              ;   in Loop: Header=BB47_90 Depth=2
	s_or_b64 exec, exec, s[22:23]
	s_and_b64 s[20:21], s[20:21], exec
.LBB47_98:                              ;   in Loop: Header=BB47_90 Depth=2
	s_andn2_saveexec_b64 s[18:19], s[18:19]
	s_cbranch_execz .LBB47_89
; %bb.99:                               ;   in Loop: Header=BB47_90 Depth=2
	v_lshl_add_u32 v23, v8, 5, v12
	ds_add_f32 v23, v22
	ds_add_f32 v23, v9 offset:4
	s_andn2_b64 s[20:21], s[20:21], exec
	s_branch .LBB47_89
.LBB47_100:                             ;   in Loop: Header=BB47_76 Depth=1
	s_or_b64 exec, exec, s[16:17]
	s_waitcnt vmcnt(0)
	v_mul_f32_e64 v8, v7, -s44
	v_mul_f32_e32 v7, s33, v7
	v_fmac_f32_e32 v8, s33, v6
	v_fmac_f32_e32 v7, s44, v6
	s_mov_b64 s[16:17], 0
	v_mov_b32_e32 v6, v21
	s_branch .LBB47_102
.LBB47_101:                             ;   in Loop: Header=BB47_102 Depth=2
	s_or_b64 exec, exec, s[18:19]
	s_xor_b64 s[18:19], s[20:21], -1
	s_and_b64 s[18:19], exec, s[18:19]
	s_or_b64 s[16:17], s[18:19], s[16:17]
	s_andn2_b64 exec, exec, s[16:17]
	s_cbranch_execz .LBB47_112
.LBB47_102:                             ;   Parent Loop BB47_76 Depth=1
                                        ; =>  This Inner Loop Header: Depth=2
	v_lshl_add_u32 v9, v6, 2, v14
	ds_read_b32 v22, v9
                                        ; implicit-def: $sgpr20_sgpr21
	s_waitcnt lgkmcnt(0)
	v_cmp_ne_u32_e32 vcc, v22, v3
	s_and_saveexec_b64 s[18:19], vcc
	s_xor_b64 s[18:19], exec, s[18:19]
	s_cbranch_execz .LBB47_110
; %bb.103:                              ;   in Loop: Header=BB47_102 Depth=2
	v_cmp_ne_u32_e32 vcc, s2, v22
                                        ; implicit-def: $sgpr20_sgpr21
	s_and_saveexec_b64 s[22:23], vcc
	s_xor_b64 s[22:23], exec, s[22:23]
; %bb.104:                              ;   in Loop: Header=BB47_102 Depth=2
	v_add_u32_e32 v6, 1, v6
	v_and_b32_e32 v6, 31, v6
	s_mov_b64 s[20:21], -1
                                        ; implicit-def: $vgpr9
; %bb.105:                              ;   in Loop: Header=BB47_102 Depth=2
	s_andn2_saveexec_b64 s[22:23], s[22:23]
	s_cbranch_execz .LBB47_109
; %bb.106:                              ;   in Loop: Header=BB47_102 Depth=2
	v_mov_b32_e32 v22, s2
	ds_cmpst_rtn_b32 v9, v9, v22, v3
	s_mov_b64 s[24:25], -1
	s_waitcnt lgkmcnt(0)
	v_cmp_eq_u32_e32 vcc, s2, v9
	s_and_saveexec_b64 s[26:27], vcc
	s_cbranch_execz .LBB47_108
; %bb.107:                              ;   in Loop: Header=BB47_102 Depth=2
	v_lshl_add_u32 v9, v6, 5, v13
	ds_add_f32 v9, v8
	ds_add_f32 v9, v7 offset:4
	s_xor_b64 s[24:25], exec, -1
.LBB47_108:                             ;   in Loop: Header=BB47_102 Depth=2
	s_or_b64 exec, exec, s[26:27]
	s_andn2_b64 s[20:21], s[20:21], exec
	s_and_b64 s[24:25], s[24:25], exec
	s_or_b64 s[20:21], s[20:21], s[24:25]
.LBB47_109:                             ;   in Loop: Header=BB47_102 Depth=2
	s_or_b64 exec, exec, s[22:23]
	s_and_b64 s[20:21], s[20:21], exec
.LBB47_110:                             ;   in Loop: Header=BB47_102 Depth=2
	s_andn2_saveexec_b64 s[18:19], s[18:19]
	s_cbranch_execz .LBB47_101
; %bb.111:                              ;   in Loop: Header=BB47_102 Depth=2
	v_lshl_add_u32 v9, v6, 5, v13
	ds_add_f32 v9, v8
	ds_add_f32 v9, v7 offset:4
	s_andn2_b64 s[20:21], s[20:21], exec
	s_branch .LBB47_101
.LBB47_112:                             ;   in Loop: Header=BB47_76 Depth=1
	s_or_b64 exec, exec, s[16:17]
	v_mul_f32_e64 v6, v5, -s44
	v_mul_f32_e32 v5, s33, v5
	v_fmac_f32_e32 v6, s33, v4
	v_fmac_f32_e32 v5, s44, v4
	s_mov_b64 s[16:17], 0
	s_branch .LBB47_114
.LBB47_113:                             ;   in Loop: Header=BB47_114 Depth=2
	s_or_b64 exec, exec, s[18:19]
	s_xor_b64 s[18:19], s[20:21], -1
	s_and_b64 s[18:19], exec, s[18:19]
	s_or_b64 s[16:17], s[18:19], s[16:17]
	s_andn2_b64 exec, exec, s[16:17]
	s_cbranch_execz .LBB47_75
.LBB47_114:                             ;   Parent Loop BB47_76 Depth=1
                                        ; =>  This Inner Loop Header: Depth=2
	v_lshl_add_u32 v4, v21, 2, v14
	ds_read_b32 v7, v4
                                        ; implicit-def: $sgpr20_sgpr21
	s_waitcnt lgkmcnt(0)
	v_cmp_ne_u32_e32 vcc, v7, v3
	s_and_saveexec_b64 s[18:19], vcc
	s_xor_b64 s[18:19], exec, s[18:19]
	s_cbranch_execz .LBB47_122
; %bb.115:                              ;   in Loop: Header=BB47_114 Depth=2
	v_cmp_ne_u32_e32 vcc, s2, v7
                                        ; implicit-def: $sgpr20_sgpr21
	s_and_saveexec_b64 s[22:23], vcc
	s_xor_b64 s[22:23], exec, s[22:23]
; %bb.116:                              ;   in Loop: Header=BB47_114 Depth=2
	v_add_u32_e32 v4, 1, v21
	v_and_b32_e32 v21, 31, v4
	s_mov_b64 s[20:21], -1
                                        ; implicit-def: $vgpr4
; %bb.117:                              ;   in Loop: Header=BB47_114 Depth=2
	s_andn2_saveexec_b64 s[22:23], s[22:23]
	s_cbranch_execz .LBB47_121
; %bb.118:                              ;   in Loop: Header=BB47_114 Depth=2
	v_mov_b32_e32 v7, s2
	ds_cmpst_rtn_b32 v4, v4, v7, v3
	s_mov_b64 s[24:25], -1
	s_waitcnt lgkmcnt(0)
	v_cmp_eq_u32_e32 vcc, s2, v4
	s_and_saveexec_b64 s[26:27], vcc
	s_cbranch_execz .LBB47_120
; %bb.119:                              ;   in Loop: Header=BB47_114 Depth=2
	v_lshl_add_u32 v4, v21, 5, v18
	ds_add_f32 v4, v6
	ds_add_f32 v4, v5 offset:4
	s_xor_b64 s[24:25], exec, -1
.LBB47_120:                             ;   in Loop: Header=BB47_114 Depth=2
	s_or_b64 exec, exec, s[26:27]
	s_andn2_b64 s[20:21], s[20:21], exec
	s_and_b64 s[24:25], s[24:25], exec
	s_or_b64 s[20:21], s[20:21], s[24:25]
.LBB47_121:                             ;   in Loop: Header=BB47_114 Depth=2
	s_or_b64 exec, exec, s[22:23]
	s_and_b64 s[20:21], s[20:21], exec
.LBB47_122:                             ;   in Loop: Header=BB47_114 Depth=2
	s_andn2_saveexec_b64 s[18:19], s[18:19]
	s_cbranch_execz .LBB47_113
; %bb.123:                              ;   in Loop: Header=BB47_114 Depth=2
	v_lshl_add_u32 v4, v21, 5, v18
	ds_add_f32 v4, v6
	ds_add_f32 v4, v5 offset:4
	s_andn2_b64 s[20:21], s[20:21], exec
	s_branch .LBB47_113
.LBB47_124:
	s_or_b64 exec, exec, s[4:5]
.LBB47_125:
	v_mov_b32_e32 v2, s13
	v_add_co_u32_e32 v0, vcc, s12, v0
	v_addc_co_u32_e32 v1, vcc, v2, v1, vcc
	s_waitcnt lgkmcnt(0)
	global_load_dword v2, v[0:1], off
	s_cmp_eq_u32 s0, 0
	v_lshl_add_u32 v1, v16, 2, v10
	v_lshl_add_u32 v0, v16, 5, v17
	s_cselect_b32 s3, 8, 16
	s_cselect_b32 s6, 16, 8
	v_or_b32_e32 v1, 0x4000, v1
	s_mov_b64 s[0:1], 0
	s_waitcnt vmcnt(0)
	v_subrev_u32_e32 v2, s38, v2
	s_branch .LBB47_127
.LBB47_126:                             ;   in Loop: Header=BB47_127 Depth=1
	s_or_b64 exec, exec, s[4:5]
	v_add_co_u32_e32 v15, vcc, 16, v15
	s_xor_b64 s[4:5], vcc, -1
	s_and_b64 s[4:5], exec, s[4:5]
	v_add_u32_e32 v0, 0x200, v0
	s_or_b64 s[0:1], s[4:5], s[0:1]
	v_add_u32_e32 v1, 64, v1
	s_andn2_b64 exec, exec, s[0:1]
	s_cbranch_execz .LBB47_129
.LBB47_127:                             ; =>This Inner Loop Header: Depth=1
	ds_read_b32 v3, v1
	s_waitcnt lgkmcnt(0)
	v_cmp_gt_i32_e32 vcc, s2, v3
	s_and_saveexec_b64 s[4:5], vcc
	s_cbranch_execz .LBB47_126
; %bb.128:                              ;   in Loop: Header=BB47_127 Depth=1
	ds_read_b128 v[4:7], v14
	ds_read_b128 v[8:11], v14 offset:16
	ds_read_b128 v[16:19], v14 offset:32
	;; [unrolled: 1-line block ×3, first 2 shown]
	s_waitcnt lgkmcnt(3)
	v_cmp_gt_i32_e32 vcc, v3, v4
	v_cndmask_b32_e64 v4, 0, 1, vcc
	v_cmp_gt_i32_e32 vcc, v3, v5
	v_addc_co_u32_e32 v4, vcc, v2, v4, vcc
	v_cmp_gt_i32_e32 vcc, v3, v6
	v_cndmask_b32_e64 v5, 0, 1, vcc
	v_cmp_gt_i32_e32 vcc, v3, v7
	v_addc_co_u32_e32 v4, vcc, v4, v5, vcc
	s_waitcnt lgkmcnt(2)
	v_cmp_gt_i32_e32 vcc, v3, v8
	v_cndmask_b32_e64 v5, 0, 1, vcc
	v_cmp_gt_i32_e32 vcc, v3, v9
	v_addc_co_u32_e32 v4, vcc, v4, v5, vcc
	v_cmp_gt_i32_e32 vcc, v3, v10
	v_cndmask_b32_e64 v5, 0, 1, vcc
	v_cmp_gt_i32_e32 vcc, v3, v11
	v_addc_co_u32_e32 v4, vcc, v4, v5, vcc
	;; [unrolled: 9-line block ×3, first 2 shown]
	s_waitcnt lgkmcnt(0)
	v_cmp_gt_i32_e32 vcc, v3, v20
	v_cndmask_b32_e64 v5, 0, 1, vcc
	v_cmp_gt_i32_e32 vcc, v3, v21
	v_addc_co_u32_e32 v8, vcc, v4, v5, vcc
	ds_read_b128 v[4:7], v14 offset:64
	v_cmp_gt_i32_e32 vcc, v3, v22
	v_cndmask_b32_e64 v9, 0, 1, vcc
	v_cmp_gt_i32_e32 vcc, v3, v23
	v_addc_co_u32_e32 v12, vcc, v8, v9, vcc
	ds_read_b128 v[8:11], v14 offset:80
	s_waitcnt lgkmcnt(1)
	v_cmp_gt_i32_e32 vcc, v3, v4
	v_cndmask_b32_e64 v4, 0, 1, vcc
	v_cmp_gt_i32_e32 vcc, v3, v5
	v_addc_co_u32_e32 v4, vcc, v12, v4, vcc
	v_cmp_gt_i32_e32 vcc, v3, v6
	v_cndmask_b32_e64 v5, 0, 1, vcc
	v_cmp_gt_i32_e32 vcc, v3, v7
	v_addc_co_u32_e32 v4, vcc, v4, v5, vcc
	s_waitcnt lgkmcnt(0)
	v_cmp_gt_i32_e32 vcc, v3, v8
	v_cndmask_b32_e64 v5, 0, 1, vcc
	v_cmp_gt_i32_e32 vcc, v3, v9
	v_addc_co_u32_e32 v8, vcc, v4, v5, vcc
	ds_read_b128 v[4:7], v14 offset:96
	v_cmp_gt_i32_e32 vcc, v3, v10
	v_cndmask_b32_e64 v9, 0, 1, vcc
	v_cmp_gt_i32_e32 vcc, v3, v11
	v_addc_co_u32_e32 v12, vcc, v8, v9, vcc
	ds_read_b128 v[8:11], v14 offset:112
	s_waitcnt lgkmcnt(1)
	v_cmp_gt_i32_e32 vcc, v3, v4
	v_cndmask_b32_e64 v4, 0, 1, vcc
	v_cmp_gt_i32_e32 vcc, v3, v5
	v_addc_co_u32_e32 v4, vcc, v12, v4, vcc
	v_cmp_gt_i32_e32 vcc, v3, v6
	v_cndmask_b32_e64 v5, 0, 1, vcc
	v_cmp_gt_i32_e32 vcc, v3, v7
	v_addc_co_u32_e32 v4, vcc, v4, v5, vcc
	s_waitcnt lgkmcnt(0)
	v_cmp_gt_i32_e32 vcc, v3, v8
	v_cndmask_b32_e64 v5, 0, 1, vcc
	v_cmp_gt_i32_e32 vcc, v3, v9
	v_addc_co_u32_e32 v4, vcc, v4, v5, vcc
	v_cmp_gt_i32_e32 vcc, v3, v10
	v_cndmask_b32_e64 v5, 0, 1, vcc
	v_cmp_gt_i32_e32 vcc, v3, v11
	v_addc_co_u32_e32 v4, vcc, v4, v5, vcc
	v_ashrrev_i32_e32 v5, 31, v4
	v_lshlrev_b64 v[6:7], 2, v[4:5]
	v_mov_b32_e32 v5, s15
	v_add_co_u32_e32 v6, vcc, s14, v6
	v_add_u32_e32 v3, s38, v3
	v_addc_co_u32_e32 v7, vcc, v5, v7, vcc
	global_store_dword v[6:7], v3, off
	v_lshlrev_b32_e32 v8, 2, v4
	ds_read2_b64 v[4:7], v0 offset1:3
	v_ashrrev_i32_e32 v9, 31, v8
	v_lshlrev_b64 v[12:13], 3, v[8:9]
	v_add_u32_e32 v10, s3, v0
	v_mov_b32_e32 v3, s35
	s_waitcnt lgkmcnt(0)
	v_mov_b32_e32 v8, v4
	v_add_u32_e32 v4, s6, v0
	v_mov_b32_e32 v9, v5
	ds_read_b64 v[10:11], v10
	ds_read_b64 v[4:5], v4
	v_add_co_u32_e32 v12, vcc, s34, v12
	v_addc_co_u32_e32 v13, vcc, v3, v13, vcc
	s_waitcnt lgkmcnt(1)
	global_store_dwordx4 v[12:13], v[8:11], off
	s_waitcnt lgkmcnt(0)
	global_store_dwordx4 v[12:13], v[4:7], off offset:16
	s_branch .LBB47_126
.LBB47_129:
	s_endpgm
	.section	.rodata,"a",@progbits
	.p2align	6, 0x0
	.amdhsa_kernel _ZN9rocsparseL27bsrgemm_fill_wf_per_row_2x2ILj256ELj16ELj32ELj137Eii21rocsparse_complex_numIfEEEv20rocsparse_direction_T4_S4_PKS4_S6_NS_24const_host_device_scalarIT5_EEPKT3_S6_PKS8_SC_S6_SE_S9_SC_S6_SE_SC_PS4_PS8_21rocsparse_index_base_SH_SH_SH_bbb
		.amdhsa_group_segment_fixed_size 18432
		.amdhsa_private_segment_fixed_size 0
		.amdhsa_kernarg_size 164
		.amdhsa_user_sgpr_count 6
		.amdhsa_user_sgpr_private_segment_buffer 1
		.amdhsa_user_sgpr_dispatch_ptr 0
		.amdhsa_user_sgpr_queue_ptr 0
		.amdhsa_user_sgpr_kernarg_segment_ptr 1
		.amdhsa_user_sgpr_dispatch_id 0
		.amdhsa_user_sgpr_flat_scratch_init 0
		.amdhsa_user_sgpr_kernarg_preload_length 0
		.amdhsa_user_sgpr_kernarg_preload_offset 0
		.amdhsa_user_sgpr_private_segment_size 0
		.amdhsa_uses_dynamic_stack 0
		.amdhsa_system_sgpr_private_segment_wavefront_offset 0
		.amdhsa_system_sgpr_workgroup_id_x 1
		.amdhsa_system_sgpr_workgroup_id_y 0
		.amdhsa_system_sgpr_workgroup_id_z 0
		.amdhsa_system_sgpr_workgroup_info 0
		.amdhsa_system_vgpr_workitem_id 0
		.amdhsa_next_free_vgpr 40
		.amdhsa_next_free_sgpr 57
		.amdhsa_accum_offset 40
		.amdhsa_reserve_vcc 1
		.amdhsa_reserve_flat_scratch 0
		.amdhsa_float_round_mode_32 0
		.amdhsa_float_round_mode_16_64 0
		.amdhsa_float_denorm_mode_32 3
		.amdhsa_float_denorm_mode_16_64 3
		.amdhsa_dx10_clamp 1
		.amdhsa_ieee_mode 1
		.amdhsa_fp16_overflow 0
		.amdhsa_tg_split 0
		.amdhsa_exception_fp_ieee_invalid_op 0
		.amdhsa_exception_fp_denorm_src 0
		.amdhsa_exception_fp_ieee_div_zero 0
		.amdhsa_exception_fp_ieee_overflow 0
		.amdhsa_exception_fp_ieee_underflow 0
		.amdhsa_exception_fp_ieee_inexact 0
		.amdhsa_exception_int_div_zero 0
	.end_amdhsa_kernel
	.section	.text._ZN9rocsparseL27bsrgemm_fill_wf_per_row_2x2ILj256ELj16ELj32ELj137Eii21rocsparse_complex_numIfEEEv20rocsparse_direction_T4_S4_PKS4_S6_NS_24const_host_device_scalarIT5_EEPKT3_S6_PKS8_SC_S6_SE_S9_SC_S6_SE_SC_PS4_PS8_21rocsparse_index_base_SH_SH_SH_bbb,"axG",@progbits,_ZN9rocsparseL27bsrgemm_fill_wf_per_row_2x2ILj256ELj16ELj32ELj137Eii21rocsparse_complex_numIfEEEv20rocsparse_direction_T4_S4_PKS4_S6_NS_24const_host_device_scalarIT5_EEPKT3_S6_PKS8_SC_S6_SE_S9_SC_S6_SE_SC_PS4_PS8_21rocsparse_index_base_SH_SH_SH_bbb,comdat
.Lfunc_end47:
	.size	_ZN9rocsparseL27bsrgemm_fill_wf_per_row_2x2ILj256ELj16ELj32ELj137Eii21rocsparse_complex_numIfEEEv20rocsparse_direction_T4_S4_PKS4_S6_NS_24const_host_device_scalarIT5_EEPKT3_S6_PKS8_SC_S6_SE_S9_SC_S6_SE_SC_PS4_PS8_21rocsparse_index_base_SH_SH_SH_bbb, .Lfunc_end47-_ZN9rocsparseL27bsrgemm_fill_wf_per_row_2x2ILj256ELj16ELj32ELj137Eii21rocsparse_complex_numIfEEEv20rocsparse_direction_T4_S4_PKS4_S6_NS_24const_host_device_scalarIT5_EEPKT3_S6_PKS8_SC_S6_SE_S9_SC_S6_SE_SC_PS4_PS8_21rocsparse_index_base_SH_SH_SH_bbb
                                        ; -- End function
	.section	.AMDGPU.csdata,"",@progbits
; Kernel info:
; codeLenInByte = 4156
; NumSgprs: 61
; NumVgprs: 40
; NumAgprs: 0
; TotalNumVgprs: 40
; ScratchSize: 0
; MemoryBound: 0
; FloatMode: 240
; IeeeMode: 1
; LDSByteSize: 18432 bytes/workgroup (compile time only)
; SGPRBlocks: 7
; VGPRBlocks: 4
; NumSGPRsForWavesPerEU: 61
; NumVGPRsForWavesPerEU: 40
; AccumOffset: 40
; Occupancy: 3
; WaveLimiterHint : 1
; COMPUTE_PGM_RSRC2:SCRATCH_EN: 0
; COMPUTE_PGM_RSRC2:USER_SGPR: 6
; COMPUTE_PGM_RSRC2:TRAP_HANDLER: 0
; COMPUTE_PGM_RSRC2:TGID_X_EN: 1
; COMPUTE_PGM_RSRC2:TGID_Y_EN: 0
; COMPUTE_PGM_RSRC2:TGID_Z_EN: 0
; COMPUTE_PGM_RSRC2:TIDIG_COMP_CNT: 0
; COMPUTE_PGM_RSRC3_GFX90A:ACCUM_OFFSET: 9
; COMPUTE_PGM_RSRC3_GFX90A:TG_SPLIT: 0
	.section	.text._ZN9rocsparseL30bsrgemm_fill_block_per_row_2x2ILj256ELj16ELj64ELj137Eii21rocsparse_complex_numIfEEEv20rocsparse_direction_T4_S4_PKS4_S6_NS_24const_host_device_scalarIT5_EEPKT3_S6_PKS8_SC_S6_SE_S9_SC_S6_SE_SC_PS4_PS8_21rocsparse_index_base_SH_SH_SH_bbb,"axG",@progbits,_ZN9rocsparseL30bsrgemm_fill_block_per_row_2x2ILj256ELj16ELj64ELj137Eii21rocsparse_complex_numIfEEEv20rocsparse_direction_T4_S4_PKS4_S6_NS_24const_host_device_scalarIT5_EEPKT3_S6_PKS8_SC_S6_SE_S9_SC_S6_SE_SC_PS4_PS8_21rocsparse_index_base_SH_SH_SH_bbb,comdat
	.globl	_ZN9rocsparseL30bsrgemm_fill_block_per_row_2x2ILj256ELj16ELj64ELj137Eii21rocsparse_complex_numIfEEEv20rocsparse_direction_T4_S4_PKS4_S6_NS_24const_host_device_scalarIT5_EEPKT3_S6_PKS8_SC_S6_SE_S9_SC_S6_SE_SC_PS4_PS8_21rocsparse_index_base_SH_SH_SH_bbb ; -- Begin function _ZN9rocsparseL30bsrgemm_fill_block_per_row_2x2ILj256ELj16ELj64ELj137Eii21rocsparse_complex_numIfEEEv20rocsparse_direction_T4_S4_PKS4_S6_NS_24const_host_device_scalarIT5_EEPKT3_S6_PKS8_SC_S6_SE_S9_SC_S6_SE_SC_PS4_PS8_21rocsparse_index_base_SH_SH_SH_bbb
	.p2align	8
	.type	_ZN9rocsparseL30bsrgemm_fill_block_per_row_2x2ILj256ELj16ELj64ELj137Eii21rocsparse_complex_numIfEEEv20rocsparse_direction_T4_S4_PKS4_S6_NS_24const_host_device_scalarIT5_EEPKT3_S6_PKS8_SC_S6_SE_S9_SC_S6_SE_SC_PS4_PS8_21rocsparse_index_base_SH_SH_SH_bbb,@function
_ZN9rocsparseL30bsrgemm_fill_block_per_row_2x2ILj256ELj16ELj64ELj137Eii21rocsparse_complex_numIfEEEv20rocsparse_direction_T4_S4_PKS4_S6_NS_24const_host_device_scalarIT5_EEPKT3_S6_PKS8_SC_S6_SE_S9_SC_S6_SE_SC_PS4_PS8_21rocsparse_index_base_SH_SH_SH_bbb: ; @_ZN9rocsparseL30bsrgemm_fill_block_per_row_2x2ILj256ELj16ELj64ELj137Eii21rocsparse_complex_numIfEEEv20rocsparse_direction_T4_S4_PKS4_S6_NS_24const_host_device_scalarIT5_EEPKT3_S6_PKS8_SC_S6_SE_S9_SC_S6_SE_SC_PS4_PS8_21rocsparse_index_base_SH_SH_SH_bbb
; %bb.0:
	s_load_dwordx8 s[8:15], s[4:5], 0x68
	s_load_dwordx8 s[16:23], s[4:5], 0x48
	s_load_dword s7, s[4:5], 0xa0
	s_load_dwordx4 s[40:43], s[4:5], 0x10
	s_load_dwordx8 s[24:31], s[4:5], 0x28
	s_load_dwordx2 s[2:3], s[4:5], 0x88
	s_load_dwordx4 s[36:39], s[4:5], 0x90
	s_waitcnt lgkmcnt(0)
	s_bitcmp1_b32 s7, 0
	s_cselect_b64 s[46:47], -1, 0
	s_bitcmp1_b32 s7, 16
	s_cselect_b64 s[0:1], -1, 0
	s_xor_b64 s[0:1], s[0:1], -1
	v_cndmask_b32_e64 v1, 0, 1, s[0:1]
	s_mov_b32 s35, 0
	s_bitcmp0_b32 s7, 0
	v_cmp_ne_u32_e64 s[0:1], 1, v1
	s_mov_b32 s58, 0
	s_cbranch_scc1 .LBB48_5
; %bb.1:
	s_load_dwordx2 s[34:35], s[4:5], 0x20
	s_and_b64 vcc, exec, s[0:1]
	s_waitcnt lgkmcnt(0)
	s_mov_b32 s58, s34
	s_cbranch_vccnz .LBB48_3
; %bb.2:
	s_load_dword s58, s[34:35], 0x0
.LBB48_3:
	s_and_b64 vcc, exec, s[0:1]
	s_cbranch_vccnz .LBB48_5
; %bb.4:
	s_load_dword s35, s[34:35], 0x4
.LBB48_5:
	s_bitcmp1_b32 s7, 8
	s_cselect_b64 s[44:45], -1, 0
	s_bfe_u32 s7, s7, 0x10008
	s_mov_b32 s34, 0
	s_cmp_eq_u32 s7, 0
	s_mov_b32 s33, 0
	s_cbranch_scc1 .LBB48_11
; %bb.6:
	s_and_b64 vcc, exec, s[0:1]
	s_mov_b32 s33, s20
	s_cbranch_vccnz .LBB48_8
; %bb.7:
	s_load_dword s33, s[20:21], 0x0
.LBB48_8:
	s_and_b64 vcc, exec, s[0:1]
	s_cbranch_vccnz .LBB48_10
; %bb.9:
	s_load_dword s21, s[20:21], 0x4
.LBB48_10:
	s_waitcnt lgkmcnt(0)
	s_mov_b32 s34, s21
.LBB48_11:
	s_load_dword s56, s[4:5], 0x8
	v_cmp_gt_u32_e64 s[0:1], 64, v0
	v_lshl_add_u32 v1, v0, 2, 0
	s_and_saveexec_b64 s[20:21], s[0:1]
	s_cbranch_execz .LBB48_13
; %bb.12:
	s_waitcnt lgkmcnt(0)
	v_mov_b32_e32 v2, s56
	ds_write_b32 v1, v2
.LBB48_13:
	s_or_b64 exec, exec, s[20:21]
	s_movk_i32 s7, 0x100
	v_cmp_gt_u32_e32 vcc, s7, v0
	s_and_saveexec_b64 s[20:21], vcc
	s_cbranch_execz .LBB48_15
; %bb.14:
	v_lshl_add_u32 v2, v0, 3, 0
	v_mov_b32_e32 v3, 0
	ds_write2_b32 v2, v3, v3 offset0:64 offset1:65
.LBB48_15:
	s_or_b64 exec, exec, s[20:21]
	s_cmp_eq_u64 s[42:43], 0
	s_waitcnt lgkmcnt(0)
	s_barrier
	s_cbranch_scc1 .LBB48_17
; %bb.16:
	s_load_dword s7, s[40:41], 0x0
	s_waitcnt lgkmcnt(0)
	s_add_i32 s6, s7, s6
	s_mov_b32 s7, 0
	s_lshl_b64 s[6:7], s[6:7], 2
	s_add_u32 s6, s42, s6
	s_addc_u32 s7, s43, s7
	s_load_dword s6, s[6:7], 0x0
.LBB48_17:
	s_nop 0
	s_load_dword s57, s[4:5], 0x0
	s_andn2_b64 vcc, exec, s[46:47]
	s_waitcnt lgkmcnt(0)
	s_ashr_i32 s7, s6, 31
	s_cbranch_vccnz .LBB48_73
; %bb.18:
	s_lshl_b64 s[4:5], s[6:7], 2
	s_add_u32 s4, s24, s4
	s_addc_u32 s5, s25, s5
	s_load_dwordx2 s[4:5], s[4:5], 0x0
	v_lshrrev_b32_e32 v2, 4, v0
	v_subrev_u32_e32 v2, s36, v2
	s_waitcnt lgkmcnt(0)
	s_sub_i32 s59, s5, s36
	v_add_u32_e32 v2, s4, v2
	v_cmp_gt_i32_e32 vcc, s59, v2
	s_and_saveexec_b64 s[4:5], vcc
	s_cbranch_execz .LBB48_72
; %bb.19:
	v_and_b32_e32 v3, 15, v0
	s_cmp_eq_u32 s57, 0
	v_subrev_u32_e32 v15, s37, v3
	s_cselect_b32 s60, 2, 1
	s_cselect_b32 s61, 1, 2
	s_mov_b64 s[20:21], 0
	v_mov_b32_e32 v16, s27
	v_mov_b32_e32 v17, s31
	s_branch .LBB48_21
.LBB48_20:                              ;   in Loop: Header=BB48_21 Depth=1
	s_or_b64 exec, exec, s[24:25]
	v_add_u32_e32 v2, 16, v2
	v_cmp_le_i32_e32 vcc, s59, v2
	s_or_b64 s[20:21], vcc, s[20:21]
	s_andn2_b64 exec, exec, s[20:21]
	s_cbranch_execz .LBB48_72
.LBB48_21:                              ; =>This Loop Header: Depth=1
                                        ;     Child Loop BB48_24 Depth 2
                                        ;       Child Loop BB48_26 Depth 3
                                        ;       Child Loop BB48_38 Depth 3
	;; [unrolled: 1-line block ×4, first 2 shown]
	v_ashrrev_i32_e32 v3, 31, v2
	v_lshlrev_b64 v[4:5], 2, v[2:3]
	v_add_co_u32_e32 v4, vcc, s26, v4
	v_addc_co_u32_e32 v5, vcc, v16, v5, vcc
	global_load_dword v3, v[4:5], off
	s_waitcnt vmcnt(0)
	v_subrev_u32_e32 v4, s36, v3
	v_ashrrev_i32_e32 v5, 31, v4
	v_lshlrev_b64 v[4:5], 2, v[4:5]
	v_add_co_u32_e32 v4, vcc, s30, v4
	v_addc_co_u32_e32 v5, vcc, v17, v5, vcc
	global_load_dwordx2 v[4:5], v[4:5], off
	s_waitcnt vmcnt(0)
	v_subrev_u32_e32 v3, s37, v5
	v_add_u32_e32 v4, v4, v15
	v_cmp_lt_i32_e32 vcc, v4, v3
	s_and_saveexec_b64 s[24:25], vcc
	s_cbranch_execz .LBB48_20
; %bb.22:                               ;   in Loop: Header=BB48_21 Depth=1
	v_lshlrev_b32_e32 v6, 2, v2
	v_ashrrev_i32_e32 v7, 31, v6
	v_lshlrev_b64 v[8:9], 3, v[6:7]
	v_or_b32_e32 v12, s60, v6
	v_mov_b32_e32 v5, s29
	v_add_co_u32_e32 v8, vcc, s28, v8
	v_ashrrev_i32_e32 v13, 31, v12
	v_addc_co_u32_e32 v9, vcc, v5, v9, vcc
	v_lshlrev_b64 v[12:13], 3, v[12:13]
	v_or_b32_e32 v6, s61, v6
	v_add_co_u32_e32 v12, vcc, s28, v12
	v_ashrrev_i32_e32 v7, 31, v6
	v_addc_co_u32_e32 v13, vcc, v5, v13, vcc
	v_lshlrev_b64 v[6:7], 3, v[6:7]
	v_add_co_u32_e32 v6, vcc, s28, v6
	global_load_dwordx2 v[10:11], v[8:9], off
	v_addc_co_u32_e32 v7, vcc, v5, v7, vcc
	global_load_dwordx2 v[12:13], v[12:13], off
	s_nop 0
	global_load_dwordx2 v[26:27], v[6:7], off
	global_load_dwordx2 v[28:29], v[8:9], off offset:24
	s_mov_b64 s[40:41], 0
	s_waitcnt vmcnt(3)
	v_mul_f32_e64 v18, v11, -s35
	v_mul_f32_e32 v19, s58, v11
	s_waitcnt vmcnt(2)
	v_mul_f32_e64 v20, v13, -s35
	v_mul_f32_e32 v21, s58, v13
	s_waitcnt vmcnt(0)
	v_mul_f32_e32 v22, s58, v29
	v_mul_f32_e64 v23, v29, -s35
	v_mul_f32_e32 v24, s58, v27
	v_mul_f32_e64 v25, v27, -s35
	v_fmac_f32_e32 v18, s58, v10
	v_fmac_f32_e32 v19, s35, v10
	;; [unrolled: 1-line block ×8, first 2 shown]
	s_branch .LBB48_24
.LBB48_23:                              ;   in Loop: Header=BB48_24 Depth=2
	s_or_b64 exec, exec, s[42:43]
	v_add_u32_e32 v4, 16, v4
	v_cmp_ge_i32_e32 vcc, v4, v3
	s_or_b64 s[40:41], vcc, s[40:41]
	s_andn2_b64 exec, exec, s[40:41]
	s_cbranch_execz .LBB48_20
.LBB48_24:                              ;   Parent Loop BB48_21 Depth=1
                                        ; =>  This Loop Header: Depth=2
                                        ;       Child Loop BB48_26 Depth 3
                                        ;       Child Loop BB48_38 Depth 3
	;; [unrolled: 1-line block ×4, first 2 shown]
	v_ashrrev_i32_e32 v5, 31, v4
	v_lshlrev_b64 v[6:7], 2, v[4:5]
	v_mov_b32_e32 v5, s17
	v_add_co_u32_e32 v6, vcc, s16, v6
	v_addc_co_u32_e32 v7, vcc, v5, v7, vcc
	global_load_dword v5, v[6:7], off
	v_lshlrev_b32_e32 v6, 2, v4
	v_or_b32_e32 v10, s60, v6
	v_ashrrev_i32_e32 v11, 31, v10
	v_lshlrev_b64 v[10:11], 3, v[10:11]
	v_ashrrev_i32_e32 v7, 31, v6
	v_mov_b32_e32 v14, s19
	v_add_co_u32_e32 v10, vcc, s18, v10
	v_or_b32_e32 v8, s61, v6
	v_lshlrev_b64 v[6:7], 3, v[6:7]
	v_addc_co_u32_e32 v11, vcc, v14, v11, vcc
	global_load_dwordx2 v[12:13], v[10:11], off
	v_add_co_u32_e32 v26, vcc, s18, v6
	v_ashrrev_i32_e32 v9, 31, v8
	v_addc_co_u32_e32 v27, vcc, v14, v7, vcc
	v_lshlrev_b64 v[6:7], 3, v[8:9]
	global_load_dwordx2 v[10:11], v[26:27], off
	v_add_co_u32_e32 v6, vcc, s18, v6
	v_addc_co_u32_e32 v7, vcc, v14, v7, vcc
	global_load_dwordx2 v[6:7], v[6:7], off
	s_nop 0
	global_load_dwordx2 v[8:9], v[26:27], off offset:24
	s_mov_b64 s[42:43], 0
	s_waitcnt vmcnt(4)
	v_subrev_u32_e32 v5, s37, v5
	v_lshl_add_u32 v14, v5, 3, v5
	v_and_b32_e32 v26, 63, v14
	v_mov_b32_e32 v29, v26
	s_waitcnt vmcnt(3)
	v_mul_f32_e64 v28, v13, -v24
	v_mul_f32_e32 v27, v25, v13
	v_fmac_f32_e32 v28, v25, v12
	v_fmac_f32_e32 v27, v24, v12
	s_waitcnt vmcnt(2)
	v_fmac_f32_e32 v28, v18, v10
	v_fmac_f32_e32 v27, v19, v10
	v_fma_f32 v28, -v19, v11, v28
	v_fmac_f32_e32 v27, v18, v11
	s_branch .LBB48_26
.LBB48_25:                              ;   in Loop: Header=BB48_26 Depth=3
	s_or_b64 exec, exec, s[46:47]
	s_xor_b64 s[46:47], s[48:49], -1
	s_and_b64 s[46:47], exec, s[46:47]
	s_or_b64 s[42:43], s[46:47], s[42:43]
	s_andn2_b64 exec, exec, s[42:43]
	s_cbranch_execz .LBB48_36
.LBB48_26:                              ;   Parent Loop BB48_21 Depth=1
                                        ;     Parent Loop BB48_24 Depth=2
                                        ; =>    This Inner Loop Header: Depth=3
	v_lshl_add_u32 v14, v29, 2, 0
	ds_read_b32 v30, v14
                                        ; implicit-def: $sgpr48_sgpr49
	s_waitcnt lgkmcnt(0)
	v_cmp_ne_u32_e32 vcc, v30, v5
	s_and_saveexec_b64 s[46:47], vcc
	s_xor_b64 s[46:47], exec, s[46:47]
	s_cbranch_execz .LBB48_34
; %bb.27:                               ;   in Loop: Header=BB48_26 Depth=3
	v_cmp_ne_u32_e32 vcc, s56, v30
                                        ; implicit-def: $sgpr48_sgpr49
	s_and_saveexec_b64 s[50:51], vcc
	s_xor_b64 s[50:51], exec, s[50:51]
; %bb.28:                               ;   in Loop: Header=BB48_26 Depth=3
	v_add_u32_e32 v14, 1, v29
	v_and_b32_e32 v29, 63, v14
	s_mov_b64 s[48:49], -1
                                        ; implicit-def: $vgpr14
; %bb.29:                               ;   in Loop: Header=BB48_26 Depth=3
	s_andn2_saveexec_b64 s[50:51], s[50:51]
	s_cbranch_execz .LBB48_33
; %bb.30:                               ;   in Loop: Header=BB48_26 Depth=3
	v_mov_b32_e32 v30, s56
	ds_cmpst_rtn_b32 v30, v14, v30, v5
	s_mov_b64 s[54:55], -1
	s_waitcnt lgkmcnt(0)
	v_cmp_eq_u32_e32 vcc, s56, v30
	s_and_saveexec_b64 s[52:53], vcc
	s_cbranch_execz .LBB48_32
; %bb.31:                               ;   in Loop: Header=BB48_26 Depth=3
	v_mad_u64_u32 v[30:31], s[54:55], v29, 28, v[14:15]
	ds_add_f32 v30, v28 offset:256
	ds_add_f32 v30, v27 offset:260
	s_xor_b64 s[54:55], exec, -1
.LBB48_32:                              ;   in Loop: Header=BB48_26 Depth=3
	s_or_b64 exec, exec, s[52:53]
	s_andn2_b64 s[48:49], s[48:49], exec
	s_and_b64 s[52:53], s[54:55], exec
	s_or_b64 s[48:49], s[48:49], s[52:53]
.LBB48_33:                              ;   in Loop: Header=BB48_26 Depth=3
	s_or_b64 exec, exec, s[50:51]
	s_and_b64 s[48:49], s[48:49], exec
                                        ; implicit-def: $vgpr14
.LBB48_34:                              ;   in Loop: Header=BB48_26 Depth=3
	s_andn2_saveexec_b64 s[46:47], s[46:47]
	s_cbranch_execz .LBB48_25
; %bb.35:                               ;   in Loop: Header=BB48_26 Depth=3
	v_mad_u64_u32 v[30:31], s[50:51], v29, 28, v[14:15]
	ds_add_f32 v30, v28 offset:256
	ds_add_f32 v30, v27 offset:260
	s_andn2_b64 s[48:49], s[48:49], exec
	s_branch .LBB48_25
.LBB48_36:                              ;   in Loop: Header=BB48_24 Depth=2
	s_or_b64 exec, exec, s[42:43]
	s_waitcnt vmcnt(0)
	v_mul_f32_e64 v14, v9, -v24
	v_mul_f32_e32 v27, v25, v9
	v_fmac_f32_e32 v14, v25, v8
	v_fmac_f32_e32 v27, v24, v8
	;; [unrolled: 1-line block ×4, first 2 shown]
	v_fma_f32 v28, -v19, v7, v14
	v_fmac_f32_e32 v27, v18, v7
	s_mov_b64 s[42:43], 0
	v_mov_b32_e32 v29, v26
	s_branch .LBB48_38
.LBB48_37:                              ;   in Loop: Header=BB48_38 Depth=3
	s_or_b64 exec, exec, s[46:47]
	s_xor_b64 s[46:47], s[48:49], -1
	s_and_b64 s[46:47], exec, s[46:47]
	s_or_b64 s[42:43], s[46:47], s[42:43]
	s_andn2_b64 exec, exec, s[42:43]
	s_cbranch_execz .LBB48_48
.LBB48_38:                              ;   Parent Loop BB48_21 Depth=1
                                        ;     Parent Loop BB48_24 Depth=2
                                        ; =>    This Inner Loop Header: Depth=3
	v_lshl_add_u32 v14, v29, 2, 0
	ds_read_b32 v30, v14
                                        ; implicit-def: $sgpr48_sgpr49
	s_waitcnt lgkmcnt(0)
	v_cmp_ne_u32_e32 vcc, v30, v5
	s_and_saveexec_b64 s[46:47], vcc
	s_xor_b64 s[46:47], exec, s[46:47]
	s_cbranch_execz .LBB48_46
; %bb.39:                               ;   in Loop: Header=BB48_38 Depth=3
	v_cmp_ne_u32_e32 vcc, s56, v30
                                        ; implicit-def: $sgpr48_sgpr49
	s_and_saveexec_b64 s[50:51], vcc
	s_xor_b64 s[50:51], exec, s[50:51]
; %bb.40:                               ;   in Loop: Header=BB48_38 Depth=3
	v_add_u32_e32 v14, 1, v29
	v_and_b32_e32 v29, 63, v14
	s_mov_b64 s[48:49], -1
                                        ; implicit-def: $vgpr14
; %bb.41:                               ;   in Loop: Header=BB48_38 Depth=3
	s_andn2_saveexec_b64 s[50:51], s[50:51]
	s_cbranch_execz .LBB48_45
; %bb.42:                               ;   in Loop: Header=BB48_38 Depth=3
	v_mov_b32_e32 v30, s56
	ds_cmpst_rtn_b32 v30, v14, v30, v5
	s_mov_b64 s[54:55], -1
	s_waitcnt lgkmcnt(0)
	v_cmp_eq_u32_e32 vcc, s56, v30
	s_and_saveexec_b64 s[52:53], vcc
	s_cbranch_execz .LBB48_44
; %bb.43:                               ;   in Loop: Header=BB48_38 Depth=3
	v_mad_u64_u32 v[30:31], s[54:55], v29, 28, v[14:15]
	ds_add_f32 v30, v28 offset:264
	ds_add_f32 v30, v27 offset:268
	s_xor_b64 s[54:55], exec, -1
.LBB48_44:                              ;   in Loop: Header=BB48_38 Depth=3
	s_or_b64 exec, exec, s[52:53]
	s_andn2_b64 s[48:49], s[48:49], exec
	s_and_b64 s[52:53], s[54:55], exec
	s_or_b64 s[48:49], s[48:49], s[52:53]
.LBB48_45:                              ;   in Loop: Header=BB48_38 Depth=3
	s_or_b64 exec, exec, s[50:51]
	s_and_b64 s[48:49], s[48:49], exec
                                        ; implicit-def: $vgpr14
.LBB48_46:                              ;   in Loop: Header=BB48_38 Depth=3
	s_andn2_saveexec_b64 s[46:47], s[46:47]
	s_cbranch_execz .LBB48_37
; %bb.47:                               ;   in Loop: Header=BB48_38 Depth=3
	v_mad_u64_u32 v[30:31], s[50:51], v29, 28, v[14:15]
	ds_add_f32 v30, v28 offset:264
	ds_add_f32 v30, v27 offset:268
	s_andn2_b64 s[48:49], s[48:49], exec
	s_branch .LBB48_37
.LBB48_48:                              ;   in Loop: Header=BB48_24 Depth=2
	s_or_b64 exec, exec, s[42:43]
	v_mul_f32_e64 v14, v13, -v22
	v_mul_f32_e32 v13, v23, v13
	v_fmac_f32_e32 v14, v23, v12
	v_fmac_f32_e32 v13, v22, v12
	;; [unrolled: 1-line block ×4, first 2 shown]
	v_fma_f32 v12, -v21, v11, v14
	v_fmac_f32_e32 v13, v20, v11
	s_mov_b64 s[42:43], 0
	v_mov_b32_e32 v11, v26
	s_branch .LBB48_50
.LBB48_49:                              ;   in Loop: Header=BB48_50 Depth=3
	s_or_b64 exec, exec, s[46:47]
	s_xor_b64 s[46:47], s[48:49], -1
	s_and_b64 s[46:47], exec, s[46:47]
	s_or_b64 s[42:43], s[46:47], s[42:43]
	s_andn2_b64 exec, exec, s[42:43]
	s_cbranch_execz .LBB48_60
.LBB48_50:                              ;   Parent Loop BB48_21 Depth=1
                                        ;     Parent Loop BB48_24 Depth=2
                                        ; =>    This Inner Loop Header: Depth=3
	v_lshl_add_u32 v10, v11, 2, 0
	ds_read_b32 v14, v10
                                        ; implicit-def: $sgpr48_sgpr49
	s_waitcnt lgkmcnt(0)
	v_cmp_ne_u32_e32 vcc, v14, v5
	s_and_saveexec_b64 s[46:47], vcc
	s_xor_b64 s[46:47], exec, s[46:47]
	s_cbranch_execz .LBB48_58
; %bb.51:                               ;   in Loop: Header=BB48_50 Depth=3
	v_cmp_ne_u32_e32 vcc, s56, v14
                                        ; implicit-def: $sgpr48_sgpr49
	s_and_saveexec_b64 s[50:51], vcc
	s_xor_b64 s[50:51], exec, s[50:51]
; %bb.52:                               ;   in Loop: Header=BB48_50 Depth=3
	v_add_u32_e32 v10, 1, v11
	v_and_b32_e32 v11, 63, v10
	s_mov_b64 s[48:49], -1
                                        ; implicit-def: $vgpr10
; %bb.53:                               ;   in Loop: Header=BB48_50 Depth=3
	s_andn2_saveexec_b64 s[50:51], s[50:51]
	s_cbranch_execz .LBB48_57
; %bb.54:                               ;   in Loop: Header=BB48_50 Depth=3
	v_mov_b32_e32 v14, s56
	ds_cmpst_rtn_b32 v14, v10, v14, v5
	s_mov_b64 s[54:55], -1
	s_waitcnt lgkmcnt(0)
	v_cmp_eq_u32_e32 vcc, s56, v14
	s_and_saveexec_b64 s[52:53], vcc
	s_cbranch_execz .LBB48_56
; %bb.55:                               ;   in Loop: Header=BB48_50 Depth=3
	v_mad_u64_u32 v[28:29], s[54:55], v11, 28, v[10:11]
	ds_add_f32 v28, v12 offset:272
	ds_add_f32 v28, v13 offset:276
	s_xor_b64 s[54:55], exec, -1
.LBB48_56:                              ;   in Loop: Header=BB48_50 Depth=3
	s_or_b64 exec, exec, s[52:53]
	s_andn2_b64 s[48:49], s[48:49], exec
	s_and_b64 s[52:53], s[54:55], exec
	s_or_b64 s[48:49], s[48:49], s[52:53]
.LBB48_57:                              ;   in Loop: Header=BB48_50 Depth=3
	s_or_b64 exec, exec, s[50:51]
	s_and_b64 s[48:49], s[48:49], exec
                                        ; implicit-def: $vgpr10
.LBB48_58:                              ;   in Loop: Header=BB48_50 Depth=3
	s_andn2_saveexec_b64 s[46:47], s[46:47]
	s_cbranch_execz .LBB48_49
; %bb.59:                               ;   in Loop: Header=BB48_50 Depth=3
	v_mad_u64_u32 v[28:29], s[50:51], v11, 28, v[10:11]
	ds_add_f32 v28, v12 offset:272
	ds_add_f32 v28, v13 offset:276
	s_andn2_b64 s[48:49], s[48:49], exec
	s_branch .LBB48_49
.LBB48_60:                              ;   in Loop: Header=BB48_24 Depth=2
	s_or_b64 exec, exec, s[42:43]
	v_mul_f32_e64 v10, v9, -v22
	v_mul_f32_e32 v9, v23, v9
	v_fmac_f32_e32 v10, v23, v8
	v_fmac_f32_e32 v9, v22, v8
	;; [unrolled: 1-line block ×4, first 2 shown]
	v_fma_f32 v8, -v21, v7, v10
	v_fmac_f32_e32 v9, v20, v7
	s_mov_b64 s[42:43], 0
	s_branch .LBB48_62
.LBB48_61:                              ;   in Loop: Header=BB48_62 Depth=3
	s_or_b64 exec, exec, s[46:47]
	s_xor_b64 s[46:47], s[48:49], -1
	s_and_b64 s[46:47], exec, s[46:47]
	s_or_b64 s[42:43], s[46:47], s[42:43]
	s_andn2_b64 exec, exec, s[42:43]
	s_cbranch_execz .LBB48_23
.LBB48_62:                              ;   Parent Loop BB48_21 Depth=1
                                        ;     Parent Loop BB48_24 Depth=2
                                        ; =>    This Inner Loop Header: Depth=3
	v_lshl_add_u32 v6, v26, 2, 0
	ds_read_b32 v7, v6
                                        ; implicit-def: $sgpr48_sgpr49
	s_waitcnt lgkmcnt(0)
	v_cmp_ne_u32_e32 vcc, v7, v5
	s_and_saveexec_b64 s[46:47], vcc
	s_xor_b64 s[46:47], exec, s[46:47]
	s_cbranch_execz .LBB48_70
; %bb.63:                               ;   in Loop: Header=BB48_62 Depth=3
	v_cmp_ne_u32_e32 vcc, s56, v7
                                        ; implicit-def: $sgpr48_sgpr49
	s_and_saveexec_b64 s[50:51], vcc
	s_xor_b64 s[50:51], exec, s[50:51]
; %bb.64:                               ;   in Loop: Header=BB48_62 Depth=3
	v_add_u32_e32 v6, 1, v26
	v_and_b32_e32 v26, 63, v6
	s_mov_b64 s[48:49], -1
                                        ; implicit-def: $vgpr6
; %bb.65:                               ;   in Loop: Header=BB48_62 Depth=3
	s_andn2_saveexec_b64 s[50:51], s[50:51]
	s_cbranch_execz .LBB48_69
; %bb.66:                               ;   in Loop: Header=BB48_62 Depth=3
	v_mov_b32_e32 v7, s56
	ds_cmpst_rtn_b32 v7, v6, v7, v5
	s_mov_b64 s[54:55], -1
	s_waitcnt lgkmcnt(0)
	v_cmp_eq_u32_e32 vcc, s56, v7
	s_and_saveexec_b64 s[52:53], vcc
	s_cbranch_execz .LBB48_68
; %bb.67:                               ;   in Loop: Header=BB48_62 Depth=3
	v_mad_u64_u32 v[6:7], s[54:55], v26, 28, v[6:7]
	ds_add_f32 v6, v8 offset:280
	ds_add_f32 v6, v9 offset:284
	s_xor_b64 s[54:55], exec, -1
.LBB48_68:                              ;   in Loop: Header=BB48_62 Depth=3
	s_or_b64 exec, exec, s[52:53]
	s_andn2_b64 s[48:49], s[48:49], exec
	s_and_b64 s[52:53], s[54:55], exec
	s_or_b64 s[48:49], s[48:49], s[52:53]
.LBB48_69:                              ;   in Loop: Header=BB48_62 Depth=3
	s_or_b64 exec, exec, s[50:51]
	s_and_b64 s[48:49], s[48:49], exec
                                        ; implicit-def: $vgpr6
.LBB48_70:                              ;   in Loop: Header=BB48_62 Depth=3
	s_andn2_saveexec_b64 s[46:47], s[46:47]
	s_cbranch_execz .LBB48_61
; %bb.71:                               ;   in Loop: Header=BB48_62 Depth=3
	v_mad_u64_u32 v[6:7], s[50:51], v26, 28, v[6:7]
	ds_add_f32 v6, v8 offset:280
	ds_add_f32 v6, v9 offset:284
	s_andn2_b64 s[48:49], s[48:49], exec
	s_branch .LBB48_61
.LBB48_72:
	s_or_b64 exec, exec, s[4:5]
.LBB48_73:
	s_andn2_b64 vcc, exec, s[44:45]
	s_waitcnt lgkmcnt(0)
	s_barrier
	s_cbranch_vccnz .LBB48_126
; %bb.74:
	s_lshl_b64 s[4:5], s[6:7], 2
	s_add_u32 s4, s22, s4
	s_addc_u32 s5, s23, s5
	s_load_dwordx2 s[4:5], s[4:5], 0x0
	v_subrev_u32_e32 v2, s39, v0
	s_waitcnt lgkmcnt(0)
	s_sub_i32 s30, s5, s39
	v_add_u32_e32 v2, s4, v2
	v_cmp_gt_i32_e32 vcc, s30, v2
	s_and_saveexec_b64 s[4:5], vcc
	s_cbranch_execz .LBB48_125
; %bb.75:
	s_cmp_eq_u32 s57, 0
	s_cselect_b32 s31, 1, 2
	s_cselect_b32 s35, 2, 1
	s_mov_b64 s[16:17], 0
	v_mov_b32_e32 v11, s11
	v_mov_b32_e32 v12, s9
	s_branch .LBB48_77
.LBB48_76:                              ;   in Loop: Header=BB48_77 Depth=1
	s_or_b64 exec, exec, s[18:19]
	v_add_u32_e32 v2, 0x100, v2
	v_cmp_le_i32_e32 vcc, s30, v2
	s_or_b64 s[16:17], vcc, s[16:17]
	s_andn2_b64 exec, exec, s[16:17]
	s_cbranch_execz .LBB48_125
.LBB48_77:                              ; =>This Loop Header: Depth=1
                                        ;     Child Loop BB48_79 Depth 2
                                        ;     Child Loop BB48_91 Depth 2
	;; [unrolled: 1-line block ×4, first 2 shown]
	v_lshlrev_b32_e32 v4, 2, v2
	v_ashrrev_i32_e32 v5, 31, v4
	v_lshlrev_b64 v[6:7], 3, v[4:5]
	v_add_co_u32_e32 v14, vcc, s10, v6
	v_or_b32_e32 v6, s31, v4
	v_addc_co_u32_e32 v15, vcc, v11, v7, vcc
	v_ashrrev_i32_e32 v7, 31, v6
	v_lshlrev_b64 v[6:7], 3, v[6:7]
	v_ashrrev_i32_e32 v3, 31, v2
	v_add_co_u32_e32 v18, vcc, s10, v6
	v_addc_co_u32_e32 v19, vcc, v11, v7, vcc
	v_lshlrev_b64 v[6:7], 2, v[2:3]
	v_add_co_u32_e32 v6, vcc, s8, v6
	v_or_b32_e32 v4, s35, v4
	v_addc_co_u32_e32 v7, vcc, v12, v7, vcc
	global_load_dword v3, v[6:7], off
	v_ashrrev_i32_e32 v5, 31, v4
	v_lshlrev_b64 v[4:5], 3, v[4:5]
	global_load_dwordx2 v[16:17], v[14:15], off
	v_add_co_u32_e32 v20, vcc, s10, v4
	v_addc_co_u32_e32 v21, vcc, v11, v5, vcc
	global_load_dwordx2 v[4:5], v[14:15], off offset:24
	global_load_dwordx2 v[8:9], v[18:19], off
	global_load_dwordx2 v[6:7], v[20:21], off
	s_mov_b64 s[18:19], 0
	s_waitcnt vmcnt(4)
	v_subrev_u32_e32 v3, s39, v3
	v_lshl_add_u32 v10, v3, 3, v3
	v_and_b32_e32 v13, 63, v10
	s_waitcnt vmcnt(3)
	v_mul_f32_e64 v14, v17, -s34
	v_mul_f32_e32 v15, s33, v17
	v_fmac_f32_e32 v14, s33, v16
	v_fmac_f32_e32 v15, s34, v16
	v_mov_b32_e32 v16, v13
	s_branch .LBB48_79
.LBB48_78:                              ;   in Loop: Header=BB48_79 Depth=2
	s_or_b64 exec, exec, s[20:21]
	s_xor_b64 s[20:21], s[22:23], -1
	s_and_b64 s[20:21], exec, s[20:21]
	s_or_b64 s[18:19], s[20:21], s[18:19]
	s_andn2_b64 exec, exec, s[18:19]
	s_cbranch_execz .LBB48_89
.LBB48_79:                              ;   Parent Loop BB48_77 Depth=1
                                        ; =>  This Inner Loop Header: Depth=2
	v_lshl_add_u32 v10, v16, 2, 0
	ds_read_b32 v17, v10
                                        ; implicit-def: $sgpr22_sgpr23
	s_waitcnt lgkmcnt(0)
	v_cmp_ne_u32_e32 vcc, v17, v3
	s_and_saveexec_b64 s[20:21], vcc
	s_xor_b64 s[20:21], exec, s[20:21]
	s_cbranch_execz .LBB48_87
; %bb.80:                               ;   in Loop: Header=BB48_79 Depth=2
	v_cmp_ne_u32_e32 vcc, s56, v17
                                        ; implicit-def: $sgpr22_sgpr23
	s_and_saveexec_b64 s[24:25], vcc
	s_xor_b64 s[24:25], exec, s[24:25]
; %bb.81:                               ;   in Loop: Header=BB48_79 Depth=2
	v_add_u32_e32 v10, 1, v16
	v_and_b32_e32 v16, 63, v10
	s_mov_b64 s[22:23], -1
                                        ; implicit-def: $vgpr10
; %bb.82:                               ;   in Loop: Header=BB48_79 Depth=2
	s_andn2_saveexec_b64 s[24:25], s[24:25]
	s_cbranch_execz .LBB48_86
; %bb.83:                               ;   in Loop: Header=BB48_79 Depth=2
	v_mov_b32_e32 v17, s56
	ds_cmpst_rtn_b32 v17, v10, v17, v3
	s_mov_b64 s[28:29], -1
	s_waitcnt lgkmcnt(0)
	v_cmp_eq_u32_e32 vcc, s56, v17
	s_and_saveexec_b64 s[26:27], vcc
	s_cbranch_execz .LBB48_85
; %bb.84:                               ;   in Loop: Header=BB48_79 Depth=2
	v_mad_u64_u32 v[18:19], s[28:29], v16, 28, v[10:11]
	ds_add_f32 v18, v14 offset:256
	ds_add_f32 v18, v15 offset:260
	s_xor_b64 s[28:29], exec, -1
.LBB48_85:                              ;   in Loop: Header=BB48_79 Depth=2
	s_or_b64 exec, exec, s[26:27]
	s_andn2_b64 s[22:23], s[22:23], exec
	s_and_b64 s[26:27], s[28:29], exec
	s_or_b64 s[22:23], s[22:23], s[26:27]
.LBB48_86:                              ;   in Loop: Header=BB48_79 Depth=2
	s_or_b64 exec, exec, s[24:25]
	s_and_b64 s[22:23], s[22:23], exec
                                        ; implicit-def: $vgpr10
.LBB48_87:                              ;   in Loop: Header=BB48_79 Depth=2
	s_andn2_saveexec_b64 s[20:21], s[20:21]
	s_cbranch_execz .LBB48_78
; %bb.88:                               ;   in Loop: Header=BB48_79 Depth=2
	v_mad_u64_u32 v[18:19], s[24:25], v16, 28, v[10:11]
	ds_add_f32 v18, v14 offset:256
	ds_add_f32 v18, v15 offset:260
	s_andn2_b64 s[22:23], s[22:23], exec
	s_branch .LBB48_78
.LBB48_89:                              ;   in Loop: Header=BB48_77 Depth=1
	s_or_b64 exec, exec, s[18:19]
	s_waitcnt vmcnt(1)
	v_mul_f32_e64 v10, v9, -s34
	v_mul_f32_e32 v9, s33, v9
	v_fmac_f32_e32 v10, s33, v8
	v_fmac_f32_e32 v9, s34, v8
	s_mov_b64 s[18:19], 0
	v_mov_b32_e32 v14, v13
	s_branch .LBB48_91
.LBB48_90:                              ;   in Loop: Header=BB48_91 Depth=2
	s_or_b64 exec, exec, s[20:21]
	s_xor_b64 s[20:21], s[22:23], -1
	s_and_b64 s[20:21], exec, s[20:21]
	s_or_b64 s[18:19], s[20:21], s[18:19]
	s_andn2_b64 exec, exec, s[18:19]
	s_cbranch_execz .LBB48_101
.LBB48_91:                              ;   Parent Loop BB48_77 Depth=1
                                        ; =>  This Inner Loop Header: Depth=2
	v_lshl_add_u32 v8, v14, 2, 0
	ds_read_b32 v15, v8
                                        ; implicit-def: $sgpr22_sgpr23
	s_waitcnt lgkmcnt(0)
	v_cmp_ne_u32_e32 vcc, v15, v3
	s_and_saveexec_b64 s[20:21], vcc
	s_xor_b64 s[20:21], exec, s[20:21]
	s_cbranch_execz .LBB48_99
; %bb.92:                               ;   in Loop: Header=BB48_91 Depth=2
	v_cmp_ne_u32_e32 vcc, s56, v15
                                        ; implicit-def: $sgpr22_sgpr23
	s_and_saveexec_b64 s[24:25], vcc
	s_xor_b64 s[24:25], exec, s[24:25]
; %bb.93:                               ;   in Loop: Header=BB48_91 Depth=2
	v_add_u32_e32 v8, 1, v14
	v_and_b32_e32 v14, 63, v8
	s_mov_b64 s[22:23], -1
                                        ; implicit-def: $vgpr8
; %bb.94:                               ;   in Loop: Header=BB48_91 Depth=2
	s_andn2_saveexec_b64 s[24:25], s[24:25]
	s_cbranch_execz .LBB48_98
; %bb.95:                               ;   in Loop: Header=BB48_91 Depth=2
	v_mov_b32_e32 v15, s56
	ds_cmpst_rtn_b32 v15, v8, v15, v3
	s_mov_b64 s[28:29], -1
	s_waitcnt lgkmcnt(0)
	v_cmp_eq_u32_e32 vcc, s56, v15
	s_and_saveexec_b64 s[26:27], vcc
	s_cbranch_execz .LBB48_97
; %bb.96:                               ;   in Loop: Header=BB48_91 Depth=2
	v_mad_u64_u32 v[16:17], s[28:29], v14, 28, v[8:9]
	ds_add_f32 v16, v10 offset:264
	ds_add_f32 v16, v9 offset:268
	s_xor_b64 s[28:29], exec, -1
.LBB48_97:                              ;   in Loop: Header=BB48_91 Depth=2
	s_or_b64 exec, exec, s[26:27]
	s_andn2_b64 s[22:23], s[22:23], exec
	s_and_b64 s[26:27], s[28:29], exec
	s_or_b64 s[22:23], s[22:23], s[26:27]
.LBB48_98:                              ;   in Loop: Header=BB48_91 Depth=2
	s_or_b64 exec, exec, s[24:25]
	s_and_b64 s[22:23], s[22:23], exec
                                        ; implicit-def: $vgpr8
.LBB48_99:                              ;   in Loop: Header=BB48_91 Depth=2
	s_andn2_saveexec_b64 s[20:21], s[20:21]
	s_cbranch_execz .LBB48_90
; %bb.100:                              ;   in Loop: Header=BB48_91 Depth=2
	v_mad_u64_u32 v[16:17], s[24:25], v14, 28, v[8:9]
	ds_add_f32 v16, v10 offset:264
	ds_add_f32 v16, v9 offset:268
	s_andn2_b64 s[22:23], s[22:23], exec
	s_branch .LBB48_90
.LBB48_101:                             ;   in Loop: Header=BB48_77 Depth=1
	s_or_b64 exec, exec, s[18:19]
	s_waitcnt vmcnt(0)
	v_mul_f32_e64 v8, v7, -s34
	v_mul_f32_e32 v7, s33, v7
	v_fmac_f32_e32 v8, s33, v6
	v_fmac_f32_e32 v7, s34, v6
	s_mov_b64 s[18:19], 0
	v_mov_b32_e32 v9, v13
	s_branch .LBB48_103
.LBB48_102:                             ;   in Loop: Header=BB48_103 Depth=2
	s_or_b64 exec, exec, s[20:21]
	s_xor_b64 s[20:21], s[22:23], -1
	s_and_b64 s[20:21], exec, s[20:21]
	s_or_b64 s[18:19], s[20:21], s[18:19]
	s_andn2_b64 exec, exec, s[18:19]
	s_cbranch_execz .LBB48_113
.LBB48_103:                             ;   Parent Loop BB48_77 Depth=1
                                        ; =>  This Inner Loop Header: Depth=2
	v_lshl_add_u32 v6, v9, 2, 0
	ds_read_b32 v10, v6
                                        ; implicit-def: $sgpr22_sgpr23
	s_waitcnt lgkmcnt(0)
	v_cmp_ne_u32_e32 vcc, v10, v3
	s_and_saveexec_b64 s[20:21], vcc
	s_xor_b64 s[20:21], exec, s[20:21]
	s_cbranch_execz .LBB48_111
; %bb.104:                              ;   in Loop: Header=BB48_103 Depth=2
	v_cmp_ne_u32_e32 vcc, s56, v10
                                        ; implicit-def: $sgpr22_sgpr23
	s_and_saveexec_b64 s[24:25], vcc
	s_xor_b64 s[24:25], exec, s[24:25]
; %bb.105:                              ;   in Loop: Header=BB48_103 Depth=2
	v_add_u32_e32 v6, 1, v9
	v_and_b32_e32 v9, 63, v6
	s_mov_b64 s[22:23], -1
                                        ; implicit-def: $vgpr6
; %bb.106:                              ;   in Loop: Header=BB48_103 Depth=2
	s_andn2_saveexec_b64 s[24:25], s[24:25]
	s_cbranch_execz .LBB48_110
; %bb.107:                              ;   in Loop: Header=BB48_103 Depth=2
	v_mov_b32_e32 v10, s56
	ds_cmpst_rtn_b32 v10, v6, v10, v3
	s_mov_b64 s[28:29], -1
	s_waitcnt lgkmcnt(0)
	v_cmp_eq_u32_e32 vcc, s56, v10
	s_and_saveexec_b64 s[26:27], vcc
	s_cbranch_execz .LBB48_109
; %bb.108:                              ;   in Loop: Header=BB48_103 Depth=2
	v_mad_u64_u32 v[14:15], s[28:29], v9, 28, v[6:7]
	ds_add_f32 v14, v8 offset:272
	ds_add_f32 v14, v7 offset:276
	s_xor_b64 s[28:29], exec, -1
.LBB48_109:                             ;   in Loop: Header=BB48_103 Depth=2
	s_or_b64 exec, exec, s[26:27]
	s_andn2_b64 s[22:23], s[22:23], exec
	s_and_b64 s[26:27], s[28:29], exec
	s_or_b64 s[22:23], s[22:23], s[26:27]
.LBB48_110:                             ;   in Loop: Header=BB48_103 Depth=2
	s_or_b64 exec, exec, s[24:25]
	s_and_b64 s[22:23], s[22:23], exec
                                        ; implicit-def: $vgpr6
.LBB48_111:                             ;   in Loop: Header=BB48_103 Depth=2
	s_andn2_saveexec_b64 s[20:21], s[20:21]
	s_cbranch_execz .LBB48_102
; %bb.112:                              ;   in Loop: Header=BB48_103 Depth=2
	v_mad_u64_u32 v[14:15], s[24:25], v9, 28, v[6:7]
	ds_add_f32 v14, v8 offset:272
	ds_add_f32 v14, v7 offset:276
	s_andn2_b64 s[22:23], s[22:23], exec
	s_branch .LBB48_102
.LBB48_113:                             ;   in Loop: Header=BB48_77 Depth=1
	s_or_b64 exec, exec, s[18:19]
	v_mul_f32_e64 v6, v5, -s34
	v_mul_f32_e32 v5, s33, v5
	v_fmac_f32_e32 v6, s33, v4
	v_fmac_f32_e32 v5, s34, v4
	s_mov_b64 s[18:19], 0
	s_branch .LBB48_115
.LBB48_114:                             ;   in Loop: Header=BB48_115 Depth=2
	s_or_b64 exec, exec, s[20:21]
	s_xor_b64 s[20:21], s[22:23], -1
	s_and_b64 s[20:21], exec, s[20:21]
	s_or_b64 s[18:19], s[20:21], s[18:19]
	s_andn2_b64 exec, exec, s[18:19]
	s_cbranch_execz .LBB48_76
.LBB48_115:                             ;   Parent Loop BB48_77 Depth=1
                                        ; =>  This Inner Loop Header: Depth=2
	v_lshl_add_u32 v4, v13, 2, 0
	ds_read_b32 v7, v4
                                        ; implicit-def: $sgpr22_sgpr23
	s_waitcnt lgkmcnt(0)
	v_cmp_ne_u32_e32 vcc, v7, v3
	s_and_saveexec_b64 s[20:21], vcc
	s_xor_b64 s[20:21], exec, s[20:21]
	s_cbranch_execz .LBB48_123
; %bb.116:                              ;   in Loop: Header=BB48_115 Depth=2
	v_cmp_ne_u32_e32 vcc, s56, v7
                                        ; implicit-def: $sgpr22_sgpr23
	s_and_saveexec_b64 s[24:25], vcc
	s_xor_b64 s[24:25], exec, s[24:25]
; %bb.117:                              ;   in Loop: Header=BB48_115 Depth=2
	v_add_u32_e32 v4, 1, v13
	v_and_b32_e32 v13, 63, v4
	s_mov_b64 s[22:23], -1
                                        ; implicit-def: $vgpr4
; %bb.118:                              ;   in Loop: Header=BB48_115 Depth=2
	s_andn2_saveexec_b64 s[24:25], s[24:25]
	s_cbranch_execz .LBB48_122
; %bb.119:                              ;   in Loop: Header=BB48_115 Depth=2
	v_mov_b32_e32 v7, s56
	ds_cmpst_rtn_b32 v7, v4, v7, v3
	s_mov_b64 s[28:29], -1
	s_waitcnt lgkmcnt(0)
	v_cmp_eq_u32_e32 vcc, s56, v7
	s_and_saveexec_b64 s[26:27], vcc
	s_cbranch_execz .LBB48_121
; %bb.120:                              ;   in Loop: Header=BB48_115 Depth=2
	v_mad_u64_u32 v[8:9], s[28:29], v13, 28, v[4:5]
	ds_add_f32 v8, v6 offset:280
	ds_add_f32 v8, v5 offset:284
	s_xor_b64 s[28:29], exec, -1
.LBB48_121:                             ;   in Loop: Header=BB48_115 Depth=2
	s_or_b64 exec, exec, s[26:27]
	s_andn2_b64 s[22:23], s[22:23], exec
	s_and_b64 s[26:27], s[28:29], exec
	s_or_b64 s[22:23], s[22:23], s[26:27]
.LBB48_122:                             ;   in Loop: Header=BB48_115 Depth=2
	s_or_b64 exec, exec, s[24:25]
	s_and_b64 s[22:23], s[22:23], exec
                                        ; implicit-def: $vgpr4
.LBB48_123:                             ;   in Loop: Header=BB48_115 Depth=2
	s_andn2_saveexec_b64 s[20:21], s[20:21]
	s_cbranch_execz .LBB48_114
; %bb.124:                              ;   in Loop: Header=BB48_115 Depth=2
	v_mad_u64_u32 v[8:9], s[24:25], v13, 28, v[4:5]
	ds_add_f32 v8, v6 offset:280
	ds_add_f32 v8, v5 offset:284
	s_andn2_b64 s[22:23], s[22:23], exec
	s_branch .LBB48_114
.LBB48_125:
	s_or_b64 exec, exec, s[4:5]
.LBB48_126:
	s_waitcnt lgkmcnt(0)
	s_barrier
	s_and_saveexec_b64 s[4:5], s[0:1]
	s_cbranch_execz .LBB48_129
; %bb.127:
	ds_read_b32 v1, v1
	s_waitcnt lgkmcnt(0)
	v_cmp_gt_i32_e32 vcc, s56, v1
	s_and_b64 exec, exec, vcc
	s_cbranch_execz .LBB48_129
; %bb.128:
	s_lshl_b64 s[0:1], s[6:7], 2
	s_add_u32 s0, s12, s0
	s_addc_u32 s1, s13, s1
	v_mov_b32_e32 v10, 0
	s_load_dword s1, s[0:1], 0x0
	ds_read2_b32 v[2:3], v10 offset1:1
	ds_read2_b32 v[4:5], v10 offset0:2 offset1:3
	ds_read2_b32 v[6:7], v10 offset0:4 offset1:5
	;; [unrolled: 1-line block ×3, first 2 shown]
	s_add_i32 s0, 0, 0x100
	s_waitcnt lgkmcnt(0)
	s_sub_i32 s1, s1, s38
	v_cmp_gt_i32_e32 vcc, v1, v2
	v_cndmask_b32_e64 v2, 0, 1, vcc
	v_mov_b32_e32 v11, s1
	v_cmp_gt_i32_e32 vcc, v1, v3
	v_addc_co_u32_e32 v2, vcc, v11, v2, vcc
	v_cmp_gt_i32_e32 vcc, v1, v4
	v_cndmask_b32_e64 v3, 0, 1, vcc
	v_cmp_gt_i32_e32 vcc, v1, v5
	v_addc_co_u32_e32 v2, vcc, v2, v3, vcc
	v_cmp_gt_i32_e32 vcc, v1, v6
	v_cndmask_b32_e64 v3, 0, 1, vcc
	v_cmp_gt_i32_e32 vcc, v1, v7
	v_addc_co_u32_e32 v4, vcc, v2, v3, vcc
	ds_read2_b32 v[2:3], v10 offset0:8 offset1:9
	v_cmp_gt_i32_e32 vcc, v1, v8
	v_cndmask_b32_e64 v5, 0, 1, vcc
	v_cmp_gt_i32_e32 vcc, v1, v9
	v_addc_co_u32_e32 v11, vcc, v4, v5, vcc
	ds_read2_b32 v[4:5], v10 offset0:10 offset1:11
	ds_read2_b32 v[6:7], v10 offset0:12 offset1:13
	ds_read2_b32 v[8:9], v10 offset0:14 offset1:15
	s_waitcnt lgkmcnt(3)
	v_cmp_gt_i32_e32 vcc, v1, v2
	v_cndmask_b32_e64 v2, 0, 1, vcc
	v_cmp_gt_i32_e32 vcc, v1, v3
	v_addc_co_u32_e32 v2, vcc, v11, v2, vcc
	s_waitcnt lgkmcnt(2)
	v_cmp_gt_i32_e32 vcc, v1, v4
	v_cndmask_b32_e64 v3, 0, 1, vcc
	v_cmp_gt_i32_e32 vcc, v1, v5
	v_addc_co_u32_e32 v2, vcc, v2, v3, vcc
	s_waitcnt lgkmcnt(1)
	v_cmp_gt_i32_e32 vcc, v1, v6
	v_cndmask_b32_e64 v3, 0, 1, vcc
	v_cmp_gt_i32_e32 vcc, v1, v7
	v_addc_co_u32_e32 v4, vcc, v2, v3, vcc
	ds_read2_b32 v[2:3], v10 offset0:16 offset1:17
	s_waitcnt lgkmcnt(1)
	v_cmp_gt_i32_e32 vcc, v1, v8
	v_cndmask_b32_e64 v5, 0, 1, vcc
	v_cmp_gt_i32_e32 vcc, v1, v9
	v_addc_co_u32_e32 v11, vcc, v4, v5, vcc
	ds_read2_b32 v[4:5], v10 offset0:18 offset1:19
	ds_read2_b32 v[6:7], v10 offset0:20 offset1:21
	ds_read2_b32 v[8:9], v10 offset0:22 offset1:23
	s_waitcnt lgkmcnt(3)
	v_cmp_gt_i32_e32 vcc, v1, v2
	v_cndmask_b32_e64 v2, 0, 1, vcc
	v_cmp_gt_i32_e32 vcc, v1, v3
	v_addc_co_u32_e32 v2, vcc, v11, v2, vcc
	s_waitcnt lgkmcnt(2)
	v_cmp_gt_i32_e32 vcc, v1, v4
	v_cndmask_b32_e64 v3, 0, 1, vcc
	v_cmp_gt_i32_e32 vcc, v1, v5
	v_addc_co_u32_e32 v2, vcc, v2, v3, vcc
	s_waitcnt lgkmcnt(1)
	v_cmp_gt_i32_e32 vcc, v1, v6
	v_cndmask_b32_e64 v3, 0, 1, vcc
	v_cmp_gt_i32_e32 vcc, v1, v7
	v_addc_co_u32_e32 v4, vcc, v2, v3, vcc
	ds_read2_b32 v[2:3], v10 offset0:24 offset1:25
	s_waitcnt lgkmcnt(1)
	;; [unrolled: 24-line block ×6, first 2 shown]
	v_cmp_gt_i32_e32 vcc, v1, v8
	v_cndmask_b32_e64 v5, 0, 1, vcc
	v_cmp_gt_i32_e32 vcc, v1, v9
	v_addc_co_u32_e32 v11, vcc, v4, v5, vcc
	ds_read2_b32 v[4:5], v10 offset0:58 offset1:59
	ds_read2_b32 v[6:7], v10 offset0:60 offset1:61
	;; [unrolled: 1-line block ×3, first 2 shown]
	s_waitcnt lgkmcnt(3)
	v_cmp_gt_i32_e32 vcc, v1, v2
	v_cndmask_b32_e64 v2, 0, 1, vcc
	v_cmp_gt_i32_e32 vcc, v1, v3
	v_addc_co_u32_e32 v2, vcc, v11, v2, vcc
	s_waitcnt lgkmcnt(2)
	v_cmp_gt_i32_e32 vcc, v1, v4
	v_cndmask_b32_e64 v3, 0, 1, vcc
	v_cmp_gt_i32_e32 vcc, v1, v5
	v_addc_co_u32_e32 v2, vcc, v2, v3, vcc
	;; [unrolled: 5-line block ×4, first 2 shown]
	v_ashrrev_i32_e32 v3, 31, v2
	v_lshlrev_b64 v[4:5], 2, v[2:3]
	v_mov_b32_e32 v3, s15
	v_add_co_u32_e32 v4, vcc, s14, v4
	v_add_u32_e32 v1, s38, v1
	v_addc_co_u32_e32 v5, vcc, v3, v5, vcc
	s_cmp_eq_u32 s57, 0
	global_store_dword v[4:5], v1, off
	v_lshlrev_b32_e32 v4, 5, v0
	v_lshlrev_b32_e32 v3, 2, v0
	v_add_u32_e32 v6, s0, v4
	s_cselect_b32 s0, 1, 2
	s_cselect_b32 s1, 2, 1
	v_lshlrev_b32_e32 v0, 2, v2
	v_or_b32_e32 v2, s0, v3
	v_or_b32_e32 v3, s1, v3
	v_add_u32_e32 v5, 0, v4
	v_ashrrev_i32_e32 v1, 31, v0
	v_lshl_add_u32 v2, v2, 3, 0
	v_lshl_add_u32 v3, v3, 3, 0
	v_lshlrev_b64 v[8:9], 3, v[0:1]
	ds_read2_b32 v[0:1], v5 offset0:64 offset1:65
	ds_read2_b32 v[4:5], v3 offset0:64 offset1:65
	;; [unrolled: 1-line block ×4, first 2 shown]
	v_mov_b32_e32 v10, s3
	v_add_co_u32_e32 v8, vcc, s2, v8
	v_addc_co_u32_e32 v9, vcc, v10, v9, vcc
	s_waitcnt lgkmcnt(1)
	global_store_dwordx4 v[8:9], v[0:3], off
	s_waitcnt lgkmcnt(0)
	global_store_dwordx4 v[8:9], v[4:7], off offset:16
.LBB48_129:
	s_endpgm
	.section	.rodata,"a",@progbits
	.p2align	6, 0x0
	.amdhsa_kernel _ZN9rocsparseL30bsrgemm_fill_block_per_row_2x2ILj256ELj16ELj64ELj137Eii21rocsparse_complex_numIfEEEv20rocsparse_direction_T4_S4_PKS4_S6_NS_24const_host_device_scalarIT5_EEPKT3_S6_PKS8_SC_S6_SE_S9_SC_S6_SE_SC_PS4_PS8_21rocsparse_index_base_SH_SH_SH_bbb
		.amdhsa_group_segment_fixed_size 0
		.amdhsa_private_segment_fixed_size 0
		.amdhsa_kernarg_size 164
		.amdhsa_user_sgpr_count 6
		.amdhsa_user_sgpr_private_segment_buffer 1
		.amdhsa_user_sgpr_dispatch_ptr 0
		.amdhsa_user_sgpr_queue_ptr 0
		.amdhsa_user_sgpr_kernarg_segment_ptr 1
		.amdhsa_user_sgpr_dispatch_id 0
		.amdhsa_user_sgpr_flat_scratch_init 0
		.amdhsa_user_sgpr_kernarg_preload_length 0
		.amdhsa_user_sgpr_kernarg_preload_offset 0
		.amdhsa_user_sgpr_private_segment_size 0
		.amdhsa_uses_dynamic_stack 0
		.amdhsa_system_sgpr_private_segment_wavefront_offset 0
		.amdhsa_system_sgpr_workgroup_id_x 1
		.amdhsa_system_sgpr_workgroup_id_y 0
		.amdhsa_system_sgpr_workgroup_id_z 0
		.amdhsa_system_sgpr_workgroup_info 0
		.amdhsa_system_vgpr_workitem_id 0
		.amdhsa_next_free_vgpr 32
		.amdhsa_next_free_sgpr 62
		.amdhsa_accum_offset 32
		.amdhsa_reserve_vcc 1
		.amdhsa_reserve_flat_scratch 0
		.amdhsa_float_round_mode_32 0
		.amdhsa_float_round_mode_16_64 0
		.amdhsa_float_denorm_mode_32 3
		.amdhsa_float_denorm_mode_16_64 3
		.amdhsa_dx10_clamp 1
		.amdhsa_ieee_mode 1
		.amdhsa_fp16_overflow 0
		.amdhsa_tg_split 0
		.amdhsa_exception_fp_ieee_invalid_op 0
		.amdhsa_exception_fp_denorm_src 0
		.amdhsa_exception_fp_ieee_div_zero 0
		.amdhsa_exception_fp_ieee_overflow 0
		.amdhsa_exception_fp_ieee_underflow 0
		.amdhsa_exception_fp_ieee_inexact 0
		.amdhsa_exception_int_div_zero 0
	.end_amdhsa_kernel
	.section	.text._ZN9rocsparseL30bsrgemm_fill_block_per_row_2x2ILj256ELj16ELj64ELj137Eii21rocsparse_complex_numIfEEEv20rocsparse_direction_T4_S4_PKS4_S6_NS_24const_host_device_scalarIT5_EEPKT3_S6_PKS8_SC_S6_SE_S9_SC_S6_SE_SC_PS4_PS8_21rocsparse_index_base_SH_SH_SH_bbb,"axG",@progbits,_ZN9rocsparseL30bsrgemm_fill_block_per_row_2x2ILj256ELj16ELj64ELj137Eii21rocsparse_complex_numIfEEEv20rocsparse_direction_T4_S4_PKS4_S6_NS_24const_host_device_scalarIT5_EEPKT3_S6_PKS8_SC_S6_SE_S9_SC_S6_SE_SC_PS4_PS8_21rocsparse_index_base_SH_SH_SH_bbb,comdat
.Lfunc_end48:
	.size	_ZN9rocsparseL30bsrgemm_fill_block_per_row_2x2ILj256ELj16ELj64ELj137Eii21rocsparse_complex_numIfEEEv20rocsparse_direction_T4_S4_PKS4_S6_NS_24const_host_device_scalarIT5_EEPKT3_S6_PKS8_SC_S6_SE_S9_SC_S6_SE_SC_PS4_PS8_21rocsparse_index_base_SH_SH_SH_bbb, .Lfunc_end48-_ZN9rocsparseL30bsrgemm_fill_block_per_row_2x2ILj256ELj16ELj64ELj137Eii21rocsparse_complex_numIfEEEv20rocsparse_direction_T4_S4_PKS4_S6_NS_24const_host_device_scalarIT5_EEPKT3_S6_PKS8_SC_S6_SE_S9_SC_S6_SE_SC_PS4_PS8_21rocsparse_index_base_SH_SH_SH_bbb
                                        ; -- End function
	.section	.AMDGPU.csdata,"",@progbits
; Kernel info:
; codeLenInByte = 4664
; NumSgprs: 66
; NumVgprs: 32
; NumAgprs: 0
; TotalNumVgprs: 32
; ScratchSize: 0
; MemoryBound: 0
; FloatMode: 240
; IeeeMode: 1
; LDSByteSize: 0 bytes/workgroup (compile time only)
; SGPRBlocks: 8
; VGPRBlocks: 3
; NumSGPRsForWavesPerEU: 66
; NumVGPRsForWavesPerEU: 32
; AccumOffset: 32
; Occupancy: 8
; WaveLimiterHint : 1
; COMPUTE_PGM_RSRC2:SCRATCH_EN: 0
; COMPUTE_PGM_RSRC2:USER_SGPR: 6
; COMPUTE_PGM_RSRC2:TRAP_HANDLER: 0
; COMPUTE_PGM_RSRC2:TGID_X_EN: 1
; COMPUTE_PGM_RSRC2:TGID_Y_EN: 0
; COMPUTE_PGM_RSRC2:TGID_Z_EN: 0
; COMPUTE_PGM_RSRC2:TIDIG_COMP_CNT: 0
; COMPUTE_PGM_RSRC3_GFX90A:ACCUM_OFFSET: 7
; COMPUTE_PGM_RSRC3_GFX90A:TG_SPLIT: 0
	.section	.text._ZN9rocsparseL30bsrgemm_fill_block_per_row_2x2ILj256ELj16ELj128ELj137Eii21rocsparse_complex_numIfEEEv20rocsparse_direction_T4_S4_PKS4_S6_NS_24const_host_device_scalarIT5_EEPKT3_S6_PKS8_SC_S6_SE_S9_SC_S6_SE_SC_PS4_PS8_21rocsparse_index_base_SH_SH_SH_bbb,"axG",@progbits,_ZN9rocsparseL30bsrgemm_fill_block_per_row_2x2ILj256ELj16ELj128ELj137Eii21rocsparse_complex_numIfEEEv20rocsparse_direction_T4_S4_PKS4_S6_NS_24const_host_device_scalarIT5_EEPKT3_S6_PKS8_SC_S6_SE_S9_SC_S6_SE_SC_PS4_PS8_21rocsparse_index_base_SH_SH_SH_bbb,comdat
	.globl	_ZN9rocsparseL30bsrgemm_fill_block_per_row_2x2ILj256ELj16ELj128ELj137Eii21rocsparse_complex_numIfEEEv20rocsparse_direction_T4_S4_PKS4_S6_NS_24const_host_device_scalarIT5_EEPKT3_S6_PKS8_SC_S6_SE_S9_SC_S6_SE_SC_PS4_PS8_21rocsparse_index_base_SH_SH_SH_bbb ; -- Begin function _ZN9rocsparseL30bsrgemm_fill_block_per_row_2x2ILj256ELj16ELj128ELj137Eii21rocsparse_complex_numIfEEEv20rocsparse_direction_T4_S4_PKS4_S6_NS_24const_host_device_scalarIT5_EEPKT3_S6_PKS8_SC_S6_SE_S9_SC_S6_SE_SC_PS4_PS8_21rocsparse_index_base_SH_SH_SH_bbb
	.p2align	8
	.type	_ZN9rocsparseL30bsrgemm_fill_block_per_row_2x2ILj256ELj16ELj128ELj137Eii21rocsparse_complex_numIfEEEv20rocsparse_direction_T4_S4_PKS4_S6_NS_24const_host_device_scalarIT5_EEPKT3_S6_PKS8_SC_S6_SE_S9_SC_S6_SE_SC_PS4_PS8_21rocsparse_index_base_SH_SH_SH_bbb,@function
_ZN9rocsparseL30bsrgemm_fill_block_per_row_2x2ILj256ELj16ELj128ELj137Eii21rocsparse_complex_numIfEEEv20rocsparse_direction_T4_S4_PKS4_S6_NS_24const_host_device_scalarIT5_EEPKT3_S6_PKS8_SC_S6_SE_S9_SC_S6_SE_SC_PS4_PS8_21rocsparse_index_base_SH_SH_SH_bbb: ; @_ZN9rocsparseL30bsrgemm_fill_block_per_row_2x2ILj256ELj16ELj128ELj137Eii21rocsparse_complex_numIfEEEv20rocsparse_direction_T4_S4_PKS4_S6_NS_24const_host_device_scalarIT5_EEPKT3_S6_PKS8_SC_S6_SE_S9_SC_S6_SE_SC_PS4_PS8_21rocsparse_index_base_SH_SH_SH_bbb
; %bb.0:
	s_load_dwordx8 s[8:15], s[4:5], 0x68
	s_load_dwordx8 s[16:23], s[4:5], 0x48
	s_load_dword s7, s[4:5], 0xa0
	s_load_dwordx4 s[40:43], s[4:5], 0x10
	s_load_dwordx8 s[24:31], s[4:5], 0x28
	s_load_dwordx2 s[2:3], s[4:5], 0x88
	s_load_dwordx4 s[36:39], s[4:5], 0x90
	s_waitcnt lgkmcnt(0)
	s_bitcmp1_b32 s7, 0
	s_cselect_b64 s[46:47], -1, 0
	s_bitcmp1_b32 s7, 16
	s_cselect_b64 s[0:1], -1, 0
	s_xor_b64 s[0:1], s[0:1], -1
	v_cndmask_b32_e64 v1, 0, 1, s[0:1]
	s_mov_b32 s35, 0
	s_bitcmp0_b32 s7, 0
	v_cmp_ne_u32_e64 s[0:1], 1, v1
	s_mov_b32 s58, 0
	s_cbranch_scc1 .LBB49_5
; %bb.1:
	s_load_dwordx2 s[34:35], s[4:5], 0x20
	s_and_b64 vcc, exec, s[0:1]
	s_waitcnt lgkmcnt(0)
	s_mov_b32 s58, s34
	s_cbranch_vccnz .LBB49_3
; %bb.2:
	s_load_dword s58, s[34:35], 0x0
.LBB49_3:
	s_and_b64 vcc, exec, s[0:1]
	s_cbranch_vccnz .LBB49_5
; %bb.4:
	s_load_dword s35, s[34:35], 0x4
.LBB49_5:
	s_bitcmp1_b32 s7, 8
	s_cselect_b64 s[44:45], -1, 0
	s_bfe_u32 s7, s7, 0x10008
	s_mov_b32 s34, 0
	s_cmp_eq_u32 s7, 0
	s_mov_b32 s33, 0
	s_cbranch_scc1 .LBB49_11
; %bb.6:
	s_and_b64 vcc, exec, s[0:1]
	s_mov_b32 s33, s20
	s_cbranch_vccnz .LBB49_8
; %bb.7:
	s_load_dword s33, s[20:21], 0x0
.LBB49_8:
	s_and_b64 vcc, exec, s[0:1]
	s_cbranch_vccnz .LBB49_10
; %bb.9:
	s_load_dword s21, s[20:21], 0x4
.LBB49_10:
	s_waitcnt lgkmcnt(0)
	s_mov_b32 s34, s21
.LBB49_11:
	s_load_dword s56, s[4:5], 0x8
	s_movk_i32 s0, 0x80
	v_cmp_gt_u32_e64 s[0:1], s0, v0
	v_lshl_add_u32 v1, v0, 2, 0
	s_and_saveexec_b64 s[20:21], s[0:1]
	s_cbranch_execz .LBB49_13
; %bb.12:
	s_waitcnt lgkmcnt(0)
	v_mov_b32_e32 v2, s56
	ds_write_b32 v1, v2
.LBB49_13:
	s_or_b64 exec, exec, s[20:21]
	s_movk_i32 s7, 0x200
	v_cmp_gt_u32_e32 vcc, s7, v0
	s_and_saveexec_b64 s[20:21], vcc
	s_cbranch_execz .LBB49_16
; %bb.14:
	v_lshl_add_u32 v2, v0, 3, 0
	v_add_u32_e32 v2, 0x200, v2
	v_or_b32_e32 v3, 0xffffff00, v0
	s_mov_b64 s[48:49], 0
	v_mov_b32_e32 v4, 0
.LBB49_15:                              ; =>This Inner Loop Header: Depth=1
	v_add_co_u32_e32 v3, vcc, 0x100, v3
	s_xor_b64 s[50:51], vcc, -1
	s_and_b64 s[50:51], exec, s[50:51]
	ds_write2_b32 v2, v4, v4 offset1:1
	s_or_b64 s[48:49], s[50:51], s[48:49]
	v_add_u32_e32 v2, 0x800, v2
	s_andn2_b64 exec, exec, s[48:49]
	s_cbranch_execnz .LBB49_15
.LBB49_16:
	s_or_b64 exec, exec, s[20:21]
	s_cmp_lg_u64 s[42:43], 0
	s_waitcnt lgkmcnt(0)
	s_barrier
	s_cbranch_scc0 .LBB49_18
; %bb.17:
	s_load_dword s7, s[40:41], 0x0
	s_waitcnt lgkmcnt(0)
	s_add_i32 s6, s7, s6
	s_mov_b32 s7, 0
	s_lshl_b64 s[6:7], s[6:7], 2
	s_add_u32 s6, s42, s6
	s_addc_u32 s7, s43, s7
	s_load_dword s6, s[6:7], 0x0
.LBB49_18:
	s_nop 0
	s_load_dword s57, s[4:5], 0x0
	s_andn2_b64 vcc, exec, s[46:47]
	s_waitcnt lgkmcnt(0)
	s_ashr_i32 s7, s6, 31
	s_cbranch_vccnz .LBB49_74
; %bb.19:
	s_lshl_b64 s[4:5], s[6:7], 2
	s_add_u32 s4, s24, s4
	s_addc_u32 s5, s25, s5
	s_load_dwordx2 s[4:5], s[4:5], 0x0
	v_lshrrev_b32_e32 v2, 4, v0
	v_subrev_u32_e32 v2, s36, v2
	s_waitcnt lgkmcnt(0)
	s_sub_i32 s59, s5, s36
	v_add_u32_e32 v2, s4, v2
	v_cmp_gt_i32_e32 vcc, s59, v2
	s_and_saveexec_b64 s[4:5], vcc
	s_cbranch_execz .LBB49_73
; %bb.20:
	v_and_b32_e32 v3, 15, v0
	s_cmp_eq_u32 s57, 0
	v_subrev_u32_e32 v15, s37, v3
	s_cselect_b32 s60, 2, 1
	s_cselect_b32 s61, 1, 2
	s_mov_b64 s[20:21], 0
	v_mov_b32_e32 v16, s27
	v_mov_b32_e32 v17, s31
	s_branch .LBB49_22
.LBB49_21:                              ;   in Loop: Header=BB49_22 Depth=1
	s_or_b64 exec, exec, s[24:25]
	v_add_u32_e32 v2, 16, v2
	v_cmp_le_i32_e32 vcc, s59, v2
	s_or_b64 s[20:21], vcc, s[20:21]
	s_andn2_b64 exec, exec, s[20:21]
	s_cbranch_execz .LBB49_73
.LBB49_22:                              ; =>This Loop Header: Depth=1
                                        ;     Child Loop BB49_25 Depth 2
                                        ;       Child Loop BB49_27 Depth 3
                                        ;       Child Loop BB49_39 Depth 3
                                        ;       Child Loop BB49_51 Depth 3
                                        ;       Child Loop BB49_63 Depth 3
	v_ashrrev_i32_e32 v3, 31, v2
	v_lshlrev_b64 v[4:5], 2, v[2:3]
	v_add_co_u32_e32 v4, vcc, s26, v4
	v_addc_co_u32_e32 v5, vcc, v16, v5, vcc
	global_load_dword v3, v[4:5], off
	s_waitcnt vmcnt(0)
	v_subrev_u32_e32 v4, s36, v3
	v_ashrrev_i32_e32 v5, 31, v4
	v_lshlrev_b64 v[4:5], 2, v[4:5]
	v_add_co_u32_e32 v4, vcc, s30, v4
	v_addc_co_u32_e32 v5, vcc, v17, v5, vcc
	global_load_dwordx2 v[4:5], v[4:5], off
	s_waitcnt vmcnt(0)
	v_subrev_u32_e32 v3, s37, v5
	v_add_u32_e32 v4, v4, v15
	v_cmp_lt_i32_e32 vcc, v4, v3
	s_and_saveexec_b64 s[24:25], vcc
	s_cbranch_execz .LBB49_21
; %bb.23:                               ;   in Loop: Header=BB49_22 Depth=1
	v_lshlrev_b32_e32 v6, 2, v2
	v_ashrrev_i32_e32 v7, 31, v6
	v_lshlrev_b64 v[8:9], 3, v[6:7]
	v_or_b32_e32 v12, s60, v6
	v_mov_b32_e32 v5, s29
	v_add_co_u32_e32 v8, vcc, s28, v8
	v_ashrrev_i32_e32 v13, 31, v12
	v_addc_co_u32_e32 v9, vcc, v5, v9, vcc
	v_lshlrev_b64 v[12:13], 3, v[12:13]
	v_or_b32_e32 v6, s61, v6
	v_add_co_u32_e32 v12, vcc, s28, v12
	v_ashrrev_i32_e32 v7, 31, v6
	v_addc_co_u32_e32 v13, vcc, v5, v13, vcc
	v_lshlrev_b64 v[6:7], 3, v[6:7]
	v_add_co_u32_e32 v6, vcc, s28, v6
	global_load_dwordx2 v[10:11], v[8:9], off
	v_addc_co_u32_e32 v7, vcc, v5, v7, vcc
	global_load_dwordx2 v[12:13], v[12:13], off
	s_nop 0
	global_load_dwordx2 v[26:27], v[6:7], off
	global_load_dwordx2 v[28:29], v[8:9], off offset:24
	s_mov_b64 s[40:41], 0
	s_waitcnt vmcnt(3)
	v_mul_f32_e64 v18, v11, -s35
	v_mul_f32_e32 v19, s58, v11
	s_waitcnt vmcnt(2)
	v_mul_f32_e64 v20, v13, -s35
	v_mul_f32_e32 v21, s58, v13
	s_waitcnt vmcnt(0)
	v_mul_f32_e32 v22, s58, v29
	v_mul_f32_e64 v23, v29, -s35
	v_mul_f32_e32 v24, s58, v27
	v_mul_f32_e64 v25, v27, -s35
	v_fmac_f32_e32 v18, s58, v10
	v_fmac_f32_e32 v19, s35, v10
	v_fmac_f32_e32 v20, s58, v12
	v_fmac_f32_e32 v21, s35, v12
	v_fmac_f32_e32 v22, s35, v28
	v_fmac_f32_e32 v23, s58, v28
	v_fmac_f32_e32 v24, s35, v26
	v_fmac_f32_e32 v25, s58, v26
	s_branch .LBB49_25
.LBB49_24:                              ;   in Loop: Header=BB49_25 Depth=2
	s_or_b64 exec, exec, s[42:43]
	v_add_u32_e32 v4, 16, v4
	v_cmp_ge_i32_e32 vcc, v4, v3
	s_or_b64 s[40:41], vcc, s[40:41]
	s_andn2_b64 exec, exec, s[40:41]
	s_cbranch_execz .LBB49_21
.LBB49_25:                              ;   Parent Loop BB49_22 Depth=1
                                        ; =>  This Loop Header: Depth=2
                                        ;       Child Loop BB49_27 Depth 3
                                        ;       Child Loop BB49_39 Depth 3
	;; [unrolled: 1-line block ×4, first 2 shown]
	v_ashrrev_i32_e32 v5, 31, v4
	v_lshlrev_b64 v[6:7], 2, v[4:5]
	v_mov_b32_e32 v5, s17
	v_add_co_u32_e32 v6, vcc, s16, v6
	v_addc_co_u32_e32 v7, vcc, v5, v7, vcc
	global_load_dword v5, v[6:7], off
	v_lshlrev_b32_e32 v6, 2, v4
	v_or_b32_e32 v10, s60, v6
	v_ashrrev_i32_e32 v11, 31, v10
	v_lshlrev_b64 v[10:11], 3, v[10:11]
	v_ashrrev_i32_e32 v7, 31, v6
	v_mov_b32_e32 v14, s19
	v_add_co_u32_e32 v10, vcc, s18, v10
	v_or_b32_e32 v8, s61, v6
	v_lshlrev_b64 v[6:7], 3, v[6:7]
	v_addc_co_u32_e32 v11, vcc, v14, v11, vcc
	global_load_dwordx2 v[12:13], v[10:11], off
	v_add_co_u32_e32 v26, vcc, s18, v6
	v_ashrrev_i32_e32 v9, 31, v8
	v_addc_co_u32_e32 v27, vcc, v14, v7, vcc
	v_lshlrev_b64 v[6:7], 3, v[8:9]
	global_load_dwordx2 v[10:11], v[26:27], off
	v_add_co_u32_e32 v6, vcc, s18, v6
	v_addc_co_u32_e32 v7, vcc, v14, v7, vcc
	global_load_dwordx2 v[6:7], v[6:7], off
	s_nop 0
	global_load_dwordx2 v[8:9], v[26:27], off offset:24
	s_mov_b64 s[42:43], 0
	s_waitcnt vmcnt(4)
	v_subrev_u32_e32 v5, s37, v5
	v_lshl_add_u32 v14, v5, 3, v5
	v_and_b32_e32 v26, 0x7f, v14
	v_mov_b32_e32 v29, v26
	s_waitcnt vmcnt(3)
	v_mul_f32_e64 v28, v13, -v24
	v_mul_f32_e32 v27, v25, v13
	v_fmac_f32_e32 v28, v25, v12
	v_fmac_f32_e32 v27, v24, v12
	s_waitcnt vmcnt(2)
	v_fmac_f32_e32 v28, v18, v10
	v_fmac_f32_e32 v27, v19, v10
	v_fma_f32 v28, -v19, v11, v28
	v_fmac_f32_e32 v27, v18, v11
	s_branch .LBB49_27
.LBB49_26:                              ;   in Loop: Header=BB49_27 Depth=3
	s_or_b64 exec, exec, s[46:47]
	s_xor_b64 s[46:47], s[48:49], -1
	s_and_b64 s[46:47], exec, s[46:47]
	s_or_b64 s[42:43], s[46:47], s[42:43]
	s_andn2_b64 exec, exec, s[42:43]
	s_cbranch_execz .LBB49_37
.LBB49_27:                              ;   Parent Loop BB49_22 Depth=1
                                        ;     Parent Loop BB49_25 Depth=2
                                        ; =>    This Inner Loop Header: Depth=3
	v_lshl_add_u32 v14, v29, 2, 0
	ds_read_b32 v30, v14
                                        ; implicit-def: $sgpr48_sgpr49
	s_waitcnt lgkmcnt(0)
	v_cmp_ne_u32_e32 vcc, v30, v5
	s_and_saveexec_b64 s[46:47], vcc
	s_xor_b64 s[46:47], exec, s[46:47]
	s_cbranch_execz .LBB49_35
; %bb.28:                               ;   in Loop: Header=BB49_27 Depth=3
	v_cmp_ne_u32_e32 vcc, s56, v30
                                        ; implicit-def: $sgpr48_sgpr49
	s_and_saveexec_b64 s[50:51], vcc
	s_xor_b64 s[50:51], exec, s[50:51]
; %bb.29:                               ;   in Loop: Header=BB49_27 Depth=3
	v_add_u32_e32 v14, 1, v29
	v_and_b32_e32 v29, 0x7f, v14
	s_mov_b64 s[48:49], -1
                                        ; implicit-def: $vgpr14
; %bb.30:                               ;   in Loop: Header=BB49_27 Depth=3
	s_andn2_saveexec_b64 s[50:51], s[50:51]
	s_cbranch_execz .LBB49_34
; %bb.31:                               ;   in Loop: Header=BB49_27 Depth=3
	v_mov_b32_e32 v30, s56
	ds_cmpst_rtn_b32 v30, v14, v30, v5
	s_mov_b64 s[54:55], -1
	s_waitcnt lgkmcnt(0)
	v_cmp_eq_u32_e32 vcc, s56, v30
	s_and_saveexec_b64 s[52:53], vcc
	s_cbranch_execz .LBB49_33
; %bb.32:                               ;   in Loop: Header=BB49_27 Depth=3
	v_mad_u64_u32 v[30:31], s[54:55], v29, 28, v[14:15]
	ds_add_f32 v30, v28 offset:512
	ds_add_f32 v30, v27 offset:516
	s_xor_b64 s[54:55], exec, -1
.LBB49_33:                              ;   in Loop: Header=BB49_27 Depth=3
	s_or_b64 exec, exec, s[52:53]
	s_andn2_b64 s[48:49], s[48:49], exec
	s_and_b64 s[52:53], s[54:55], exec
	s_or_b64 s[48:49], s[48:49], s[52:53]
.LBB49_34:                              ;   in Loop: Header=BB49_27 Depth=3
	s_or_b64 exec, exec, s[50:51]
	s_and_b64 s[48:49], s[48:49], exec
                                        ; implicit-def: $vgpr14
.LBB49_35:                              ;   in Loop: Header=BB49_27 Depth=3
	s_andn2_saveexec_b64 s[46:47], s[46:47]
	s_cbranch_execz .LBB49_26
; %bb.36:                               ;   in Loop: Header=BB49_27 Depth=3
	v_mad_u64_u32 v[30:31], s[50:51], v29, 28, v[14:15]
	ds_add_f32 v30, v28 offset:512
	ds_add_f32 v30, v27 offset:516
	s_andn2_b64 s[48:49], s[48:49], exec
	s_branch .LBB49_26
.LBB49_37:                              ;   in Loop: Header=BB49_25 Depth=2
	s_or_b64 exec, exec, s[42:43]
	s_waitcnt vmcnt(0)
	v_mul_f32_e64 v14, v9, -v24
	v_mul_f32_e32 v27, v25, v9
	v_fmac_f32_e32 v14, v25, v8
	v_fmac_f32_e32 v27, v24, v8
	;; [unrolled: 1-line block ×4, first 2 shown]
	v_fma_f32 v28, -v19, v7, v14
	v_fmac_f32_e32 v27, v18, v7
	s_mov_b64 s[42:43], 0
	v_mov_b32_e32 v29, v26
	s_branch .LBB49_39
.LBB49_38:                              ;   in Loop: Header=BB49_39 Depth=3
	s_or_b64 exec, exec, s[46:47]
	s_xor_b64 s[46:47], s[48:49], -1
	s_and_b64 s[46:47], exec, s[46:47]
	s_or_b64 s[42:43], s[46:47], s[42:43]
	s_andn2_b64 exec, exec, s[42:43]
	s_cbranch_execz .LBB49_49
.LBB49_39:                              ;   Parent Loop BB49_22 Depth=1
                                        ;     Parent Loop BB49_25 Depth=2
                                        ; =>    This Inner Loop Header: Depth=3
	v_lshl_add_u32 v14, v29, 2, 0
	ds_read_b32 v30, v14
                                        ; implicit-def: $sgpr48_sgpr49
	s_waitcnt lgkmcnt(0)
	v_cmp_ne_u32_e32 vcc, v30, v5
	s_and_saveexec_b64 s[46:47], vcc
	s_xor_b64 s[46:47], exec, s[46:47]
	s_cbranch_execz .LBB49_47
; %bb.40:                               ;   in Loop: Header=BB49_39 Depth=3
	v_cmp_ne_u32_e32 vcc, s56, v30
                                        ; implicit-def: $sgpr48_sgpr49
	s_and_saveexec_b64 s[50:51], vcc
	s_xor_b64 s[50:51], exec, s[50:51]
; %bb.41:                               ;   in Loop: Header=BB49_39 Depth=3
	v_add_u32_e32 v14, 1, v29
	v_and_b32_e32 v29, 0x7f, v14
	s_mov_b64 s[48:49], -1
                                        ; implicit-def: $vgpr14
; %bb.42:                               ;   in Loop: Header=BB49_39 Depth=3
	s_andn2_saveexec_b64 s[50:51], s[50:51]
	s_cbranch_execz .LBB49_46
; %bb.43:                               ;   in Loop: Header=BB49_39 Depth=3
	v_mov_b32_e32 v30, s56
	ds_cmpst_rtn_b32 v30, v14, v30, v5
	s_mov_b64 s[54:55], -1
	s_waitcnt lgkmcnt(0)
	v_cmp_eq_u32_e32 vcc, s56, v30
	s_and_saveexec_b64 s[52:53], vcc
	s_cbranch_execz .LBB49_45
; %bb.44:                               ;   in Loop: Header=BB49_39 Depth=3
	v_mad_u64_u32 v[30:31], s[54:55], v29, 28, v[14:15]
	ds_add_f32 v30, v28 offset:520
	ds_add_f32 v30, v27 offset:524
	s_xor_b64 s[54:55], exec, -1
.LBB49_45:                              ;   in Loop: Header=BB49_39 Depth=3
	s_or_b64 exec, exec, s[52:53]
	s_andn2_b64 s[48:49], s[48:49], exec
	s_and_b64 s[52:53], s[54:55], exec
	s_or_b64 s[48:49], s[48:49], s[52:53]
.LBB49_46:                              ;   in Loop: Header=BB49_39 Depth=3
	s_or_b64 exec, exec, s[50:51]
	s_and_b64 s[48:49], s[48:49], exec
                                        ; implicit-def: $vgpr14
.LBB49_47:                              ;   in Loop: Header=BB49_39 Depth=3
	s_andn2_saveexec_b64 s[46:47], s[46:47]
	s_cbranch_execz .LBB49_38
; %bb.48:                               ;   in Loop: Header=BB49_39 Depth=3
	v_mad_u64_u32 v[30:31], s[50:51], v29, 28, v[14:15]
	ds_add_f32 v30, v28 offset:520
	ds_add_f32 v30, v27 offset:524
	s_andn2_b64 s[48:49], s[48:49], exec
	s_branch .LBB49_38
.LBB49_49:                              ;   in Loop: Header=BB49_25 Depth=2
	s_or_b64 exec, exec, s[42:43]
	v_mul_f32_e64 v14, v13, -v22
	v_mul_f32_e32 v13, v23, v13
	v_fmac_f32_e32 v14, v23, v12
	v_fmac_f32_e32 v13, v22, v12
	;; [unrolled: 1-line block ×4, first 2 shown]
	v_fma_f32 v12, -v21, v11, v14
	v_fmac_f32_e32 v13, v20, v11
	s_mov_b64 s[42:43], 0
	v_mov_b32_e32 v11, v26
	s_branch .LBB49_51
.LBB49_50:                              ;   in Loop: Header=BB49_51 Depth=3
	s_or_b64 exec, exec, s[46:47]
	s_xor_b64 s[46:47], s[48:49], -1
	s_and_b64 s[46:47], exec, s[46:47]
	s_or_b64 s[42:43], s[46:47], s[42:43]
	s_andn2_b64 exec, exec, s[42:43]
	s_cbranch_execz .LBB49_61
.LBB49_51:                              ;   Parent Loop BB49_22 Depth=1
                                        ;     Parent Loop BB49_25 Depth=2
                                        ; =>    This Inner Loop Header: Depth=3
	v_lshl_add_u32 v10, v11, 2, 0
	ds_read_b32 v14, v10
                                        ; implicit-def: $sgpr48_sgpr49
	s_waitcnt lgkmcnt(0)
	v_cmp_ne_u32_e32 vcc, v14, v5
	s_and_saveexec_b64 s[46:47], vcc
	s_xor_b64 s[46:47], exec, s[46:47]
	s_cbranch_execz .LBB49_59
; %bb.52:                               ;   in Loop: Header=BB49_51 Depth=3
	v_cmp_ne_u32_e32 vcc, s56, v14
                                        ; implicit-def: $sgpr48_sgpr49
	s_and_saveexec_b64 s[50:51], vcc
	s_xor_b64 s[50:51], exec, s[50:51]
; %bb.53:                               ;   in Loop: Header=BB49_51 Depth=3
	v_add_u32_e32 v10, 1, v11
	v_and_b32_e32 v11, 0x7f, v10
	s_mov_b64 s[48:49], -1
                                        ; implicit-def: $vgpr10
; %bb.54:                               ;   in Loop: Header=BB49_51 Depth=3
	s_andn2_saveexec_b64 s[50:51], s[50:51]
	s_cbranch_execz .LBB49_58
; %bb.55:                               ;   in Loop: Header=BB49_51 Depth=3
	v_mov_b32_e32 v14, s56
	ds_cmpst_rtn_b32 v14, v10, v14, v5
	s_mov_b64 s[54:55], -1
	s_waitcnt lgkmcnt(0)
	v_cmp_eq_u32_e32 vcc, s56, v14
	s_and_saveexec_b64 s[52:53], vcc
	s_cbranch_execz .LBB49_57
; %bb.56:                               ;   in Loop: Header=BB49_51 Depth=3
	v_mad_u64_u32 v[28:29], s[54:55], v11, 28, v[10:11]
	ds_add_f32 v28, v12 offset:528
	ds_add_f32 v28, v13 offset:532
	s_xor_b64 s[54:55], exec, -1
.LBB49_57:                              ;   in Loop: Header=BB49_51 Depth=3
	s_or_b64 exec, exec, s[52:53]
	s_andn2_b64 s[48:49], s[48:49], exec
	s_and_b64 s[52:53], s[54:55], exec
	s_or_b64 s[48:49], s[48:49], s[52:53]
.LBB49_58:                              ;   in Loop: Header=BB49_51 Depth=3
	s_or_b64 exec, exec, s[50:51]
	s_and_b64 s[48:49], s[48:49], exec
                                        ; implicit-def: $vgpr10
.LBB49_59:                              ;   in Loop: Header=BB49_51 Depth=3
	s_andn2_saveexec_b64 s[46:47], s[46:47]
	s_cbranch_execz .LBB49_50
; %bb.60:                               ;   in Loop: Header=BB49_51 Depth=3
	v_mad_u64_u32 v[28:29], s[50:51], v11, 28, v[10:11]
	ds_add_f32 v28, v12 offset:528
	ds_add_f32 v28, v13 offset:532
	s_andn2_b64 s[48:49], s[48:49], exec
	s_branch .LBB49_50
.LBB49_61:                              ;   in Loop: Header=BB49_25 Depth=2
	s_or_b64 exec, exec, s[42:43]
	v_mul_f32_e64 v10, v9, -v22
	v_mul_f32_e32 v9, v23, v9
	v_fmac_f32_e32 v10, v23, v8
	v_fmac_f32_e32 v9, v22, v8
	;; [unrolled: 1-line block ×4, first 2 shown]
	v_fma_f32 v8, -v21, v7, v10
	v_fmac_f32_e32 v9, v20, v7
	s_mov_b64 s[42:43], 0
	s_branch .LBB49_63
.LBB49_62:                              ;   in Loop: Header=BB49_63 Depth=3
	s_or_b64 exec, exec, s[46:47]
	s_xor_b64 s[46:47], s[48:49], -1
	s_and_b64 s[46:47], exec, s[46:47]
	s_or_b64 s[42:43], s[46:47], s[42:43]
	s_andn2_b64 exec, exec, s[42:43]
	s_cbranch_execz .LBB49_24
.LBB49_63:                              ;   Parent Loop BB49_22 Depth=1
                                        ;     Parent Loop BB49_25 Depth=2
                                        ; =>    This Inner Loop Header: Depth=3
	v_lshl_add_u32 v6, v26, 2, 0
	ds_read_b32 v7, v6
                                        ; implicit-def: $sgpr48_sgpr49
	s_waitcnt lgkmcnt(0)
	v_cmp_ne_u32_e32 vcc, v7, v5
	s_and_saveexec_b64 s[46:47], vcc
	s_xor_b64 s[46:47], exec, s[46:47]
	s_cbranch_execz .LBB49_71
; %bb.64:                               ;   in Loop: Header=BB49_63 Depth=3
	v_cmp_ne_u32_e32 vcc, s56, v7
                                        ; implicit-def: $sgpr48_sgpr49
	s_and_saveexec_b64 s[50:51], vcc
	s_xor_b64 s[50:51], exec, s[50:51]
; %bb.65:                               ;   in Loop: Header=BB49_63 Depth=3
	v_add_u32_e32 v6, 1, v26
	v_and_b32_e32 v26, 0x7f, v6
	s_mov_b64 s[48:49], -1
                                        ; implicit-def: $vgpr6
; %bb.66:                               ;   in Loop: Header=BB49_63 Depth=3
	s_andn2_saveexec_b64 s[50:51], s[50:51]
	s_cbranch_execz .LBB49_70
; %bb.67:                               ;   in Loop: Header=BB49_63 Depth=3
	v_mov_b32_e32 v7, s56
	ds_cmpst_rtn_b32 v7, v6, v7, v5
	s_mov_b64 s[54:55], -1
	s_waitcnt lgkmcnt(0)
	v_cmp_eq_u32_e32 vcc, s56, v7
	s_and_saveexec_b64 s[52:53], vcc
	s_cbranch_execz .LBB49_69
; %bb.68:                               ;   in Loop: Header=BB49_63 Depth=3
	v_mad_u64_u32 v[6:7], s[54:55], v26, 28, v[6:7]
	ds_add_f32 v6, v8 offset:536
	ds_add_f32 v6, v9 offset:540
	s_xor_b64 s[54:55], exec, -1
.LBB49_69:                              ;   in Loop: Header=BB49_63 Depth=3
	s_or_b64 exec, exec, s[52:53]
	s_andn2_b64 s[48:49], s[48:49], exec
	s_and_b64 s[52:53], s[54:55], exec
	s_or_b64 s[48:49], s[48:49], s[52:53]
.LBB49_70:                              ;   in Loop: Header=BB49_63 Depth=3
	s_or_b64 exec, exec, s[50:51]
	s_and_b64 s[48:49], s[48:49], exec
                                        ; implicit-def: $vgpr6
.LBB49_71:                              ;   in Loop: Header=BB49_63 Depth=3
	s_andn2_saveexec_b64 s[46:47], s[46:47]
	s_cbranch_execz .LBB49_62
; %bb.72:                               ;   in Loop: Header=BB49_63 Depth=3
	v_mad_u64_u32 v[6:7], s[50:51], v26, 28, v[6:7]
	ds_add_f32 v6, v8 offset:536
	ds_add_f32 v6, v9 offset:540
	s_andn2_b64 s[48:49], s[48:49], exec
	s_branch .LBB49_62
.LBB49_73:
	s_or_b64 exec, exec, s[4:5]
.LBB49_74:
	s_andn2_b64 vcc, exec, s[44:45]
	s_waitcnt lgkmcnt(0)
	s_barrier
	s_cbranch_vccnz .LBB49_127
; %bb.75:
	s_lshl_b64 s[4:5], s[6:7], 2
	s_add_u32 s4, s22, s4
	s_addc_u32 s5, s23, s5
	s_load_dwordx2 s[4:5], s[4:5], 0x0
	v_subrev_u32_e32 v2, s39, v0
	s_waitcnt lgkmcnt(0)
	s_sub_i32 s30, s5, s39
	v_add_u32_e32 v2, s4, v2
	v_cmp_gt_i32_e32 vcc, s30, v2
	s_and_saveexec_b64 s[4:5], vcc
	s_cbranch_execz .LBB49_126
; %bb.76:
	s_cmp_eq_u32 s57, 0
	s_cselect_b32 s31, 1, 2
	s_cselect_b32 s35, 2, 1
	s_mov_b64 s[16:17], 0
	v_mov_b32_e32 v11, s11
	v_mov_b32_e32 v12, s9
	s_branch .LBB49_78
.LBB49_77:                              ;   in Loop: Header=BB49_78 Depth=1
	s_or_b64 exec, exec, s[18:19]
	v_add_u32_e32 v2, 0x100, v2
	v_cmp_le_i32_e32 vcc, s30, v2
	s_or_b64 s[16:17], vcc, s[16:17]
	s_andn2_b64 exec, exec, s[16:17]
	s_cbranch_execz .LBB49_126
.LBB49_78:                              ; =>This Loop Header: Depth=1
                                        ;     Child Loop BB49_80 Depth 2
                                        ;     Child Loop BB49_92 Depth 2
	;; [unrolled: 1-line block ×4, first 2 shown]
	v_lshlrev_b32_e32 v4, 2, v2
	v_ashrrev_i32_e32 v5, 31, v4
	v_lshlrev_b64 v[6:7], 3, v[4:5]
	v_add_co_u32_e32 v14, vcc, s10, v6
	v_or_b32_e32 v6, s31, v4
	v_addc_co_u32_e32 v15, vcc, v11, v7, vcc
	v_ashrrev_i32_e32 v7, 31, v6
	v_lshlrev_b64 v[6:7], 3, v[6:7]
	v_ashrrev_i32_e32 v3, 31, v2
	v_add_co_u32_e32 v18, vcc, s10, v6
	v_addc_co_u32_e32 v19, vcc, v11, v7, vcc
	v_lshlrev_b64 v[6:7], 2, v[2:3]
	v_add_co_u32_e32 v6, vcc, s8, v6
	v_or_b32_e32 v4, s35, v4
	v_addc_co_u32_e32 v7, vcc, v12, v7, vcc
	global_load_dword v3, v[6:7], off
	v_ashrrev_i32_e32 v5, 31, v4
	v_lshlrev_b64 v[4:5], 3, v[4:5]
	global_load_dwordx2 v[16:17], v[14:15], off
	v_add_co_u32_e32 v20, vcc, s10, v4
	v_addc_co_u32_e32 v21, vcc, v11, v5, vcc
	global_load_dwordx2 v[4:5], v[14:15], off offset:24
	global_load_dwordx2 v[8:9], v[18:19], off
	global_load_dwordx2 v[6:7], v[20:21], off
	s_mov_b64 s[18:19], 0
	s_waitcnt vmcnt(4)
	v_subrev_u32_e32 v3, s39, v3
	v_lshl_add_u32 v10, v3, 3, v3
	v_and_b32_e32 v13, 0x7f, v10
	s_waitcnt vmcnt(3)
	v_mul_f32_e64 v14, v17, -s34
	v_mul_f32_e32 v15, s33, v17
	v_fmac_f32_e32 v14, s33, v16
	v_fmac_f32_e32 v15, s34, v16
	v_mov_b32_e32 v16, v13
	s_branch .LBB49_80
.LBB49_79:                              ;   in Loop: Header=BB49_80 Depth=2
	s_or_b64 exec, exec, s[20:21]
	s_xor_b64 s[20:21], s[22:23], -1
	s_and_b64 s[20:21], exec, s[20:21]
	s_or_b64 s[18:19], s[20:21], s[18:19]
	s_andn2_b64 exec, exec, s[18:19]
	s_cbranch_execz .LBB49_90
.LBB49_80:                              ;   Parent Loop BB49_78 Depth=1
                                        ; =>  This Inner Loop Header: Depth=2
	v_lshl_add_u32 v10, v16, 2, 0
	ds_read_b32 v17, v10
                                        ; implicit-def: $sgpr22_sgpr23
	s_waitcnt lgkmcnt(0)
	v_cmp_ne_u32_e32 vcc, v17, v3
	s_and_saveexec_b64 s[20:21], vcc
	s_xor_b64 s[20:21], exec, s[20:21]
	s_cbranch_execz .LBB49_88
; %bb.81:                               ;   in Loop: Header=BB49_80 Depth=2
	v_cmp_ne_u32_e32 vcc, s56, v17
                                        ; implicit-def: $sgpr22_sgpr23
	s_and_saveexec_b64 s[24:25], vcc
	s_xor_b64 s[24:25], exec, s[24:25]
; %bb.82:                               ;   in Loop: Header=BB49_80 Depth=2
	v_add_u32_e32 v10, 1, v16
	v_and_b32_e32 v16, 0x7f, v10
	s_mov_b64 s[22:23], -1
                                        ; implicit-def: $vgpr10
; %bb.83:                               ;   in Loop: Header=BB49_80 Depth=2
	s_andn2_saveexec_b64 s[24:25], s[24:25]
	s_cbranch_execz .LBB49_87
; %bb.84:                               ;   in Loop: Header=BB49_80 Depth=2
	v_mov_b32_e32 v17, s56
	ds_cmpst_rtn_b32 v17, v10, v17, v3
	s_mov_b64 s[28:29], -1
	s_waitcnt lgkmcnt(0)
	v_cmp_eq_u32_e32 vcc, s56, v17
	s_and_saveexec_b64 s[26:27], vcc
	s_cbranch_execz .LBB49_86
; %bb.85:                               ;   in Loop: Header=BB49_80 Depth=2
	v_mad_u64_u32 v[18:19], s[28:29], v16, 28, v[10:11]
	ds_add_f32 v18, v14 offset:512
	ds_add_f32 v18, v15 offset:516
	s_xor_b64 s[28:29], exec, -1
.LBB49_86:                              ;   in Loop: Header=BB49_80 Depth=2
	s_or_b64 exec, exec, s[26:27]
	s_andn2_b64 s[22:23], s[22:23], exec
	s_and_b64 s[26:27], s[28:29], exec
	s_or_b64 s[22:23], s[22:23], s[26:27]
.LBB49_87:                              ;   in Loop: Header=BB49_80 Depth=2
	s_or_b64 exec, exec, s[24:25]
	s_and_b64 s[22:23], s[22:23], exec
                                        ; implicit-def: $vgpr10
.LBB49_88:                              ;   in Loop: Header=BB49_80 Depth=2
	s_andn2_saveexec_b64 s[20:21], s[20:21]
	s_cbranch_execz .LBB49_79
; %bb.89:                               ;   in Loop: Header=BB49_80 Depth=2
	v_mad_u64_u32 v[18:19], s[24:25], v16, 28, v[10:11]
	ds_add_f32 v18, v14 offset:512
	ds_add_f32 v18, v15 offset:516
	s_andn2_b64 s[22:23], s[22:23], exec
	s_branch .LBB49_79
.LBB49_90:                              ;   in Loop: Header=BB49_78 Depth=1
	s_or_b64 exec, exec, s[18:19]
	s_waitcnt vmcnt(1)
	v_mul_f32_e64 v10, v9, -s34
	v_mul_f32_e32 v9, s33, v9
	v_fmac_f32_e32 v10, s33, v8
	v_fmac_f32_e32 v9, s34, v8
	s_mov_b64 s[18:19], 0
	v_mov_b32_e32 v14, v13
	s_branch .LBB49_92
.LBB49_91:                              ;   in Loop: Header=BB49_92 Depth=2
	s_or_b64 exec, exec, s[20:21]
	s_xor_b64 s[20:21], s[22:23], -1
	s_and_b64 s[20:21], exec, s[20:21]
	s_or_b64 s[18:19], s[20:21], s[18:19]
	s_andn2_b64 exec, exec, s[18:19]
	s_cbranch_execz .LBB49_102
.LBB49_92:                              ;   Parent Loop BB49_78 Depth=1
                                        ; =>  This Inner Loop Header: Depth=2
	v_lshl_add_u32 v8, v14, 2, 0
	ds_read_b32 v15, v8
                                        ; implicit-def: $sgpr22_sgpr23
	s_waitcnt lgkmcnt(0)
	v_cmp_ne_u32_e32 vcc, v15, v3
	s_and_saveexec_b64 s[20:21], vcc
	s_xor_b64 s[20:21], exec, s[20:21]
	s_cbranch_execz .LBB49_100
; %bb.93:                               ;   in Loop: Header=BB49_92 Depth=2
	v_cmp_ne_u32_e32 vcc, s56, v15
                                        ; implicit-def: $sgpr22_sgpr23
	s_and_saveexec_b64 s[24:25], vcc
	s_xor_b64 s[24:25], exec, s[24:25]
; %bb.94:                               ;   in Loop: Header=BB49_92 Depth=2
	v_add_u32_e32 v8, 1, v14
	v_and_b32_e32 v14, 0x7f, v8
	s_mov_b64 s[22:23], -1
                                        ; implicit-def: $vgpr8
; %bb.95:                               ;   in Loop: Header=BB49_92 Depth=2
	s_andn2_saveexec_b64 s[24:25], s[24:25]
	s_cbranch_execz .LBB49_99
; %bb.96:                               ;   in Loop: Header=BB49_92 Depth=2
	v_mov_b32_e32 v15, s56
	ds_cmpst_rtn_b32 v15, v8, v15, v3
	s_mov_b64 s[28:29], -1
	s_waitcnt lgkmcnt(0)
	v_cmp_eq_u32_e32 vcc, s56, v15
	s_and_saveexec_b64 s[26:27], vcc
	s_cbranch_execz .LBB49_98
; %bb.97:                               ;   in Loop: Header=BB49_92 Depth=2
	v_mad_u64_u32 v[16:17], s[28:29], v14, 28, v[8:9]
	ds_add_f32 v16, v10 offset:520
	ds_add_f32 v16, v9 offset:524
	s_xor_b64 s[28:29], exec, -1
.LBB49_98:                              ;   in Loop: Header=BB49_92 Depth=2
	s_or_b64 exec, exec, s[26:27]
	s_andn2_b64 s[22:23], s[22:23], exec
	s_and_b64 s[26:27], s[28:29], exec
	s_or_b64 s[22:23], s[22:23], s[26:27]
.LBB49_99:                              ;   in Loop: Header=BB49_92 Depth=2
	s_or_b64 exec, exec, s[24:25]
	s_and_b64 s[22:23], s[22:23], exec
                                        ; implicit-def: $vgpr8
.LBB49_100:                             ;   in Loop: Header=BB49_92 Depth=2
	s_andn2_saveexec_b64 s[20:21], s[20:21]
	s_cbranch_execz .LBB49_91
; %bb.101:                              ;   in Loop: Header=BB49_92 Depth=2
	v_mad_u64_u32 v[16:17], s[24:25], v14, 28, v[8:9]
	ds_add_f32 v16, v10 offset:520
	ds_add_f32 v16, v9 offset:524
	s_andn2_b64 s[22:23], s[22:23], exec
	s_branch .LBB49_91
.LBB49_102:                             ;   in Loop: Header=BB49_78 Depth=1
	s_or_b64 exec, exec, s[18:19]
	s_waitcnt vmcnt(0)
	v_mul_f32_e64 v8, v7, -s34
	v_mul_f32_e32 v7, s33, v7
	v_fmac_f32_e32 v8, s33, v6
	v_fmac_f32_e32 v7, s34, v6
	s_mov_b64 s[18:19], 0
	v_mov_b32_e32 v9, v13
	s_branch .LBB49_104
.LBB49_103:                             ;   in Loop: Header=BB49_104 Depth=2
	s_or_b64 exec, exec, s[20:21]
	s_xor_b64 s[20:21], s[22:23], -1
	s_and_b64 s[20:21], exec, s[20:21]
	s_or_b64 s[18:19], s[20:21], s[18:19]
	s_andn2_b64 exec, exec, s[18:19]
	s_cbranch_execz .LBB49_114
.LBB49_104:                             ;   Parent Loop BB49_78 Depth=1
                                        ; =>  This Inner Loop Header: Depth=2
	v_lshl_add_u32 v6, v9, 2, 0
	ds_read_b32 v10, v6
                                        ; implicit-def: $sgpr22_sgpr23
	s_waitcnt lgkmcnt(0)
	v_cmp_ne_u32_e32 vcc, v10, v3
	s_and_saveexec_b64 s[20:21], vcc
	s_xor_b64 s[20:21], exec, s[20:21]
	s_cbranch_execz .LBB49_112
; %bb.105:                              ;   in Loop: Header=BB49_104 Depth=2
	v_cmp_ne_u32_e32 vcc, s56, v10
                                        ; implicit-def: $sgpr22_sgpr23
	s_and_saveexec_b64 s[24:25], vcc
	s_xor_b64 s[24:25], exec, s[24:25]
; %bb.106:                              ;   in Loop: Header=BB49_104 Depth=2
	v_add_u32_e32 v6, 1, v9
	v_and_b32_e32 v9, 0x7f, v6
	s_mov_b64 s[22:23], -1
                                        ; implicit-def: $vgpr6
; %bb.107:                              ;   in Loop: Header=BB49_104 Depth=2
	s_andn2_saveexec_b64 s[24:25], s[24:25]
	s_cbranch_execz .LBB49_111
; %bb.108:                              ;   in Loop: Header=BB49_104 Depth=2
	v_mov_b32_e32 v10, s56
	ds_cmpst_rtn_b32 v10, v6, v10, v3
	s_mov_b64 s[28:29], -1
	s_waitcnt lgkmcnt(0)
	v_cmp_eq_u32_e32 vcc, s56, v10
	s_and_saveexec_b64 s[26:27], vcc
	s_cbranch_execz .LBB49_110
; %bb.109:                              ;   in Loop: Header=BB49_104 Depth=2
	v_mad_u64_u32 v[14:15], s[28:29], v9, 28, v[6:7]
	ds_add_f32 v14, v8 offset:528
	ds_add_f32 v14, v7 offset:532
	s_xor_b64 s[28:29], exec, -1
.LBB49_110:                             ;   in Loop: Header=BB49_104 Depth=2
	s_or_b64 exec, exec, s[26:27]
	s_andn2_b64 s[22:23], s[22:23], exec
	s_and_b64 s[26:27], s[28:29], exec
	s_or_b64 s[22:23], s[22:23], s[26:27]
.LBB49_111:                             ;   in Loop: Header=BB49_104 Depth=2
	s_or_b64 exec, exec, s[24:25]
	s_and_b64 s[22:23], s[22:23], exec
                                        ; implicit-def: $vgpr6
.LBB49_112:                             ;   in Loop: Header=BB49_104 Depth=2
	s_andn2_saveexec_b64 s[20:21], s[20:21]
	s_cbranch_execz .LBB49_103
; %bb.113:                              ;   in Loop: Header=BB49_104 Depth=2
	v_mad_u64_u32 v[14:15], s[24:25], v9, 28, v[6:7]
	ds_add_f32 v14, v8 offset:528
	ds_add_f32 v14, v7 offset:532
	s_andn2_b64 s[22:23], s[22:23], exec
	s_branch .LBB49_103
.LBB49_114:                             ;   in Loop: Header=BB49_78 Depth=1
	s_or_b64 exec, exec, s[18:19]
	v_mul_f32_e64 v6, v5, -s34
	v_mul_f32_e32 v5, s33, v5
	v_fmac_f32_e32 v6, s33, v4
	v_fmac_f32_e32 v5, s34, v4
	s_mov_b64 s[18:19], 0
	s_branch .LBB49_116
.LBB49_115:                             ;   in Loop: Header=BB49_116 Depth=2
	s_or_b64 exec, exec, s[20:21]
	s_xor_b64 s[20:21], s[22:23], -1
	s_and_b64 s[20:21], exec, s[20:21]
	s_or_b64 s[18:19], s[20:21], s[18:19]
	s_andn2_b64 exec, exec, s[18:19]
	s_cbranch_execz .LBB49_77
.LBB49_116:                             ;   Parent Loop BB49_78 Depth=1
                                        ; =>  This Inner Loop Header: Depth=2
	v_lshl_add_u32 v4, v13, 2, 0
	ds_read_b32 v7, v4
                                        ; implicit-def: $sgpr22_sgpr23
	s_waitcnt lgkmcnt(0)
	v_cmp_ne_u32_e32 vcc, v7, v3
	s_and_saveexec_b64 s[20:21], vcc
	s_xor_b64 s[20:21], exec, s[20:21]
	s_cbranch_execz .LBB49_124
; %bb.117:                              ;   in Loop: Header=BB49_116 Depth=2
	v_cmp_ne_u32_e32 vcc, s56, v7
                                        ; implicit-def: $sgpr22_sgpr23
	s_and_saveexec_b64 s[24:25], vcc
	s_xor_b64 s[24:25], exec, s[24:25]
; %bb.118:                              ;   in Loop: Header=BB49_116 Depth=2
	v_add_u32_e32 v4, 1, v13
	v_and_b32_e32 v13, 0x7f, v4
	s_mov_b64 s[22:23], -1
                                        ; implicit-def: $vgpr4
; %bb.119:                              ;   in Loop: Header=BB49_116 Depth=2
	s_andn2_saveexec_b64 s[24:25], s[24:25]
	s_cbranch_execz .LBB49_123
; %bb.120:                              ;   in Loop: Header=BB49_116 Depth=2
	v_mov_b32_e32 v7, s56
	ds_cmpst_rtn_b32 v7, v4, v7, v3
	s_mov_b64 s[28:29], -1
	s_waitcnt lgkmcnt(0)
	v_cmp_eq_u32_e32 vcc, s56, v7
	s_and_saveexec_b64 s[26:27], vcc
	s_cbranch_execz .LBB49_122
; %bb.121:                              ;   in Loop: Header=BB49_116 Depth=2
	v_mad_u64_u32 v[8:9], s[28:29], v13, 28, v[4:5]
	ds_add_f32 v8, v6 offset:536
	ds_add_f32 v8, v5 offset:540
	s_xor_b64 s[28:29], exec, -1
.LBB49_122:                             ;   in Loop: Header=BB49_116 Depth=2
	s_or_b64 exec, exec, s[26:27]
	s_andn2_b64 s[22:23], s[22:23], exec
	s_and_b64 s[26:27], s[28:29], exec
	s_or_b64 s[22:23], s[22:23], s[26:27]
.LBB49_123:                             ;   in Loop: Header=BB49_116 Depth=2
	s_or_b64 exec, exec, s[24:25]
	s_and_b64 s[22:23], s[22:23], exec
                                        ; implicit-def: $vgpr4
.LBB49_124:                             ;   in Loop: Header=BB49_116 Depth=2
	s_andn2_saveexec_b64 s[20:21], s[20:21]
	s_cbranch_execz .LBB49_115
; %bb.125:                              ;   in Loop: Header=BB49_116 Depth=2
	v_mad_u64_u32 v[8:9], s[24:25], v13, 28, v[4:5]
	ds_add_f32 v8, v6 offset:536
	ds_add_f32 v8, v5 offset:540
	s_andn2_b64 s[22:23], s[22:23], exec
	s_branch .LBB49_115
.LBB49_126:
	s_or_b64 exec, exec, s[4:5]
.LBB49_127:
	s_waitcnt lgkmcnt(0)
	s_barrier
	s_and_saveexec_b64 s[4:5], s[0:1]
	s_cbranch_execz .LBB49_130
; %bb.128:
	ds_read_b32 v1, v1
	s_waitcnt lgkmcnt(0)
	v_cmp_gt_i32_e32 vcc, s56, v1
	s_and_b64 exec, exec, vcc
	s_cbranch_execz .LBB49_130
; %bb.129:
	s_lshl_b64 s[0:1], s[6:7], 2
	s_add_u32 s0, s12, s0
	s_addc_u32 s1, s13, s1
	v_mov_b32_e32 v2, 0
	s_load_dword s1, s[0:1], 0x0
	ds_read2_b32 v[4:5], v2 offset1:1
	ds_read2_b32 v[6:7], v2 offset0:2 offset1:3
	ds_read2_b32 v[8:9], v2 offset0:4 offset1:5
	;; [unrolled: 1-line block ×3, first 2 shown]
	s_add_i32 s0, 0, 0x200
	s_waitcnt lgkmcnt(0)
	s_sub_i32 s1, s1, s38
	v_cmp_gt_i32_e32 vcc, v1, v4
	v_cndmask_b32_e64 v3, 0, 1, vcc
	v_mov_b32_e32 v4, s1
	v_cmp_gt_i32_e32 vcc, v1, v5
	v_addc_co_u32_e32 v3, vcc, v4, v3, vcc
	v_cmp_gt_i32_e32 vcc, v1, v6
	v_cndmask_b32_e64 v4, 0, 1, vcc
	v_cmp_gt_i32_e32 vcc, v1, v7
	v_addc_co_u32_e32 v3, vcc, v3, v4, vcc
	v_cmp_gt_i32_e32 vcc, v1, v8
	v_cndmask_b32_e64 v4, 0, 1, vcc
	v_cmp_gt_i32_e32 vcc, v1, v9
	v_addc_co_u32_e32 v3, vcc, v3, v4, vcc
	ds_read2_b32 v[4:5], v2 offset0:8 offset1:9
	v_cmp_gt_i32_e32 vcc, v1, v10
	v_cndmask_b32_e64 v6, 0, 1, vcc
	v_cmp_gt_i32_e32 vcc, v1, v11
	v_addc_co_u32_e32 v3, vcc, v3, v6, vcc
	ds_read2_b32 v[6:7], v2 offset0:10 offset1:11
	ds_read2_b32 v[8:9], v2 offset0:12 offset1:13
	ds_read2_b32 v[10:11], v2 offset0:14 offset1:15
	s_waitcnt lgkmcnt(3)
	v_cmp_gt_i32_e32 vcc, v1, v4
	v_cndmask_b32_e64 v4, 0, 1, vcc
	v_cmp_gt_i32_e32 vcc, v1, v5
	v_addc_co_u32_e32 v3, vcc, v3, v4, vcc
	s_waitcnt lgkmcnt(2)
	v_cmp_gt_i32_e32 vcc, v1, v6
	v_cndmask_b32_e64 v4, 0, 1, vcc
	v_cmp_gt_i32_e32 vcc, v1, v7
	v_addc_co_u32_e32 v3, vcc, v3, v4, vcc
	s_waitcnt lgkmcnt(1)
	v_cmp_gt_i32_e32 vcc, v1, v8
	v_cndmask_b32_e64 v4, 0, 1, vcc
	v_cmp_gt_i32_e32 vcc, v1, v9
	v_addc_co_u32_e32 v3, vcc, v3, v4, vcc
	ds_read2_b32 v[4:5], v2 offset0:16 offset1:17
	s_waitcnt lgkmcnt(1)
	v_cmp_gt_i32_e32 vcc, v1, v10
	v_cndmask_b32_e64 v6, 0, 1, vcc
	v_cmp_gt_i32_e32 vcc, v1, v11
	v_addc_co_u32_e32 v3, vcc, v3, v6, vcc
	ds_read2_b32 v[6:7], v2 offset0:18 offset1:19
	ds_read2_b32 v[8:9], v2 offset0:20 offset1:21
	ds_read2_b32 v[10:11], v2 offset0:22 offset1:23
	s_waitcnt lgkmcnt(3)
	v_cmp_gt_i32_e32 vcc, v1, v4
	v_cndmask_b32_e64 v4, 0, 1, vcc
	v_cmp_gt_i32_e32 vcc, v1, v5
	v_addc_co_u32_e32 v3, vcc, v3, v4, vcc
	s_waitcnt lgkmcnt(2)
	v_cmp_gt_i32_e32 vcc, v1, v6
	v_cndmask_b32_e64 v4, 0, 1, vcc
	v_cmp_gt_i32_e32 vcc, v1, v7
	v_addc_co_u32_e32 v3, vcc, v3, v4, vcc
	s_waitcnt lgkmcnt(1)
	v_cmp_gt_i32_e32 vcc, v1, v8
	v_cndmask_b32_e64 v4, 0, 1, vcc
	v_cmp_gt_i32_e32 vcc, v1, v9
	v_addc_co_u32_e32 v3, vcc, v3, v4, vcc
	ds_read2_b32 v[4:5], v2 offset0:24 offset1:25
	s_waitcnt lgkmcnt(1)
	;; [unrolled: 24-line block ×14, first 2 shown]
	v_cmp_gt_i32_e32 vcc, v1, v10
	v_cndmask_b32_e64 v6, 0, 1, vcc
	v_cmp_gt_i32_e32 vcc, v1, v11
	v_addc_co_u32_e32 v10, vcc, v3, v6, vcc
	ds_read2_b32 v[6:7], v2 offset0:122 offset1:123
	ds_read2_b32 v[8:9], v2 offset0:124 offset1:125
	ds_read2_b32 v[2:3], v2 offset0:126 offset1:127
	s_waitcnt lgkmcnt(3)
	v_cmp_gt_i32_e32 vcc, v1, v4
	v_cndmask_b32_e64 v4, 0, 1, vcc
	v_cmp_gt_i32_e32 vcc, v1, v5
	v_addc_co_u32_e32 v4, vcc, v10, v4, vcc
	s_waitcnt lgkmcnt(2)
	v_cmp_gt_i32_e32 vcc, v1, v6
	v_cndmask_b32_e64 v5, 0, 1, vcc
	v_cmp_gt_i32_e32 vcc, v1, v7
	v_addc_co_u32_e32 v4, vcc, v4, v5, vcc
	;; [unrolled: 5-line block ×4, first 2 shown]
	v_ashrrev_i32_e32 v3, 31, v2
	v_lshlrev_b64 v[4:5], 2, v[2:3]
	v_mov_b32_e32 v3, s15
	v_add_co_u32_e32 v4, vcc, s14, v4
	v_add_u32_e32 v1, s38, v1
	v_addc_co_u32_e32 v5, vcc, v3, v5, vcc
	s_cmp_eq_u32 s57, 0
	global_store_dword v[4:5], v1, off
	v_lshlrev_b32_e32 v4, 5, v0
	v_lshlrev_b32_e32 v3, 2, v0
	v_add_u32_e32 v6, s0, v4
	s_cselect_b32 s0, 1, 2
	s_cselect_b32 s1, 2, 1
	v_lshlrev_b32_e32 v0, 2, v2
	v_or_b32_e32 v2, s0, v3
	v_or_b32_e32 v3, s1, v3
	v_add_u32_e32 v5, 0, v4
	v_ashrrev_i32_e32 v1, 31, v0
	v_lshl_add_u32 v2, v2, 3, 0
	v_lshl_add_u32 v3, v3, 3, 0
	v_lshlrev_b64 v[8:9], 3, v[0:1]
	ds_read2_b32 v[0:1], v5 offset0:128 offset1:129
	ds_read2_b32 v[4:5], v3 offset0:128 offset1:129
	;; [unrolled: 1-line block ×4, first 2 shown]
	v_mov_b32_e32 v10, s3
	v_add_co_u32_e32 v8, vcc, s2, v8
	v_addc_co_u32_e32 v9, vcc, v10, v9, vcc
	s_waitcnt lgkmcnt(1)
	global_store_dwordx4 v[8:9], v[0:3], off
	s_waitcnt lgkmcnt(0)
	global_store_dwordx4 v[8:9], v[4:7], off offset:16
.LBB49_130:
	s_endpgm
	.section	.rodata,"a",@progbits
	.p2align	6, 0x0
	.amdhsa_kernel _ZN9rocsparseL30bsrgemm_fill_block_per_row_2x2ILj256ELj16ELj128ELj137Eii21rocsparse_complex_numIfEEEv20rocsparse_direction_T4_S4_PKS4_S6_NS_24const_host_device_scalarIT5_EEPKT3_S6_PKS8_SC_S6_SE_S9_SC_S6_SE_SC_PS4_PS8_21rocsparse_index_base_SH_SH_SH_bbb
		.amdhsa_group_segment_fixed_size 0
		.amdhsa_private_segment_fixed_size 0
		.amdhsa_kernarg_size 164
		.amdhsa_user_sgpr_count 6
		.amdhsa_user_sgpr_private_segment_buffer 1
		.amdhsa_user_sgpr_dispatch_ptr 0
		.amdhsa_user_sgpr_queue_ptr 0
		.amdhsa_user_sgpr_kernarg_segment_ptr 1
		.amdhsa_user_sgpr_dispatch_id 0
		.amdhsa_user_sgpr_flat_scratch_init 0
		.amdhsa_user_sgpr_kernarg_preload_length 0
		.amdhsa_user_sgpr_kernarg_preload_offset 0
		.amdhsa_user_sgpr_private_segment_size 0
		.amdhsa_uses_dynamic_stack 0
		.amdhsa_system_sgpr_private_segment_wavefront_offset 0
		.amdhsa_system_sgpr_workgroup_id_x 1
		.amdhsa_system_sgpr_workgroup_id_y 0
		.amdhsa_system_sgpr_workgroup_id_z 0
		.amdhsa_system_sgpr_workgroup_info 0
		.amdhsa_system_vgpr_workitem_id 0
		.amdhsa_next_free_vgpr 32
		.amdhsa_next_free_sgpr 62
		.amdhsa_accum_offset 32
		.amdhsa_reserve_vcc 1
		.amdhsa_reserve_flat_scratch 0
		.amdhsa_float_round_mode_32 0
		.amdhsa_float_round_mode_16_64 0
		.amdhsa_float_denorm_mode_32 3
		.amdhsa_float_denorm_mode_16_64 3
		.amdhsa_dx10_clamp 1
		.amdhsa_ieee_mode 1
		.amdhsa_fp16_overflow 0
		.amdhsa_tg_split 0
		.amdhsa_exception_fp_ieee_invalid_op 0
		.amdhsa_exception_fp_denorm_src 0
		.amdhsa_exception_fp_ieee_div_zero 0
		.amdhsa_exception_fp_ieee_overflow 0
		.amdhsa_exception_fp_ieee_underflow 0
		.amdhsa_exception_fp_ieee_inexact 0
		.amdhsa_exception_int_div_zero 0
	.end_amdhsa_kernel
	.section	.text._ZN9rocsparseL30bsrgemm_fill_block_per_row_2x2ILj256ELj16ELj128ELj137Eii21rocsparse_complex_numIfEEEv20rocsparse_direction_T4_S4_PKS4_S6_NS_24const_host_device_scalarIT5_EEPKT3_S6_PKS8_SC_S6_SE_S9_SC_S6_SE_SC_PS4_PS8_21rocsparse_index_base_SH_SH_SH_bbb,"axG",@progbits,_ZN9rocsparseL30bsrgemm_fill_block_per_row_2x2ILj256ELj16ELj128ELj137Eii21rocsparse_complex_numIfEEEv20rocsparse_direction_T4_S4_PKS4_S6_NS_24const_host_device_scalarIT5_EEPKT3_S6_PKS8_SC_S6_SE_S9_SC_S6_SE_SC_PS4_PS8_21rocsparse_index_base_SH_SH_SH_bbb,comdat
.Lfunc_end49:
	.size	_ZN9rocsparseL30bsrgemm_fill_block_per_row_2x2ILj256ELj16ELj128ELj137Eii21rocsparse_complex_numIfEEEv20rocsparse_direction_T4_S4_PKS4_S6_NS_24const_host_device_scalarIT5_EEPKT3_S6_PKS8_SC_S6_SE_S9_SC_S6_SE_SC_PS4_PS8_21rocsparse_index_base_SH_SH_SH_bbb, .Lfunc_end49-_ZN9rocsparseL30bsrgemm_fill_block_per_row_2x2ILj256ELj16ELj128ELj137Eii21rocsparse_complex_numIfEEEv20rocsparse_direction_T4_S4_PKS4_S6_NS_24const_host_device_scalarIT5_EEPKT3_S6_PKS8_SC_S6_SE_S9_SC_S6_SE_SC_PS4_PS8_21rocsparse_index_base_SH_SH_SH_bbb
                                        ; -- End function
	.section	.AMDGPU.csdata,"",@progbits
; Kernel info:
; codeLenInByte = 5788
; NumSgprs: 66
; NumVgprs: 32
; NumAgprs: 0
; TotalNumVgprs: 32
; ScratchSize: 0
; MemoryBound: 0
; FloatMode: 240
; IeeeMode: 1
; LDSByteSize: 0 bytes/workgroup (compile time only)
; SGPRBlocks: 8
; VGPRBlocks: 3
; NumSGPRsForWavesPerEU: 66
; NumVGPRsForWavesPerEU: 32
; AccumOffset: 32
; Occupancy: 8
; WaveLimiterHint : 1
; COMPUTE_PGM_RSRC2:SCRATCH_EN: 0
; COMPUTE_PGM_RSRC2:USER_SGPR: 6
; COMPUTE_PGM_RSRC2:TRAP_HANDLER: 0
; COMPUTE_PGM_RSRC2:TGID_X_EN: 1
; COMPUTE_PGM_RSRC2:TGID_Y_EN: 0
; COMPUTE_PGM_RSRC2:TGID_Z_EN: 0
; COMPUTE_PGM_RSRC2:TIDIG_COMP_CNT: 0
; COMPUTE_PGM_RSRC3_GFX90A:ACCUM_OFFSET: 7
; COMPUTE_PGM_RSRC3_GFX90A:TG_SPLIT: 0
	.section	.text._ZN9rocsparseL30bsrgemm_fill_block_per_row_2x2ILj256ELj16ELj256ELj137Eii21rocsparse_complex_numIfEEEv20rocsparse_direction_T4_S4_PKS4_S6_NS_24const_host_device_scalarIT5_EEPKT3_S6_PKS8_SC_S6_SE_S9_SC_S6_SE_SC_PS4_PS8_21rocsparse_index_base_SH_SH_SH_bbb,"axG",@progbits,_ZN9rocsparseL30bsrgemm_fill_block_per_row_2x2ILj256ELj16ELj256ELj137Eii21rocsparse_complex_numIfEEEv20rocsparse_direction_T4_S4_PKS4_S6_NS_24const_host_device_scalarIT5_EEPKT3_S6_PKS8_SC_S6_SE_S9_SC_S6_SE_SC_PS4_PS8_21rocsparse_index_base_SH_SH_SH_bbb,comdat
	.globl	_ZN9rocsparseL30bsrgemm_fill_block_per_row_2x2ILj256ELj16ELj256ELj137Eii21rocsparse_complex_numIfEEEv20rocsparse_direction_T4_S4_PKS4_S6_NS_24const_host_device_scalarIT5_EEPKT3_S6_PKS8_SC_S6_SE_S9_SC_S6_SE_SC_PS4_PS8_21rocsparse_index_base_SH_SH_SH_bbb ; -- Begin function _ZN9rocsparseL30bsrgemm_fill_block_per_row_2x2ILj256ELj16ELj256ELj137Eii21rocsparse_complex_numIfEEEv20rocsparse_direction_T4_S4_PKS4_S6_NS_24const_host_device_scalarIT5_EEPKT3_S6_PKS8_SC_S6_SE_S9_SC_S6_SE_SC_PS4_PS8_21rocsparse_index_base_SH_SH_SH_bbb
	.p2align	8
	.type	_ZN9rocsparseL30bsrgemm_fill_block_per_row_2x2ILj256ELj16ELj256ELj137Eii21rocsparse_complex_numIfEEEv20rocsparse_direction_T4_S4_PKS4_S6_NS_24const_host_device_scalarIT5_EEPKT3_S6_PKS8_SC_S6_SE_S9_SC_S6_SE_SC_PS4_PS8_21rocsparse_index_base_SH_SH_SH_bbb,@function
_ZN9rocsparseL30bsrgemm_fill_block_per_row_2x2ILj256ELj16ELj256ELj137Eii21rocsparse_complex_numIfEEEv20rocsparse_direction_T4_S4_PKS4_S6_NS_24const_host_device_scalarIT5_EEPKT3_S6_PKS8_SC_S6_SE_S9_SC_S6_SE_SC_PS4_PS8_21rocsparse_index_base_SH_SH_SH_bbb: ; @_ZN9rocsparseL30bsrgemm_fill_block_per_row_2x2ILj256ELj16ELj256ELj137Eii21rocsparse_complex_numIfEEEv20rocsparse_direction_T4_S4_PKS4_S6_NS_24const_host_device_scalarIT5_EEPKT3_S6_PKS8_SC_S6_SE_S9_SC_S6_SE_SC_PS4_PS8_21rocsparse_index_base_SH_SH_SH_bbb
; %bb.0:
	s_load_dwordx8 s[8:15], s[4:5], 0x68
	s_load_dwordx8 s[16:23], s[4:5], 0x48
	s_load_dword s7, s[4:5], 0xa0
	s_load_dwordx4 s[40:43], s[4:5], 0x10
	s_load_dwordx8 s[24:31], s[4:5], 0x28
	s_load_dwordx2 s[2:3], s[4:5], 0x88
	s_load_dwordx4 s[36:39], s[4:5], 0x90
	s_waitcnt lgkmcnt(0)
	s_bitcmp1_b32 s7, 0
	s_cselect_b64 s[46:47], -1, 0
	s_bitcmp1_b32 s7, 16
	s_cselect_b64 s[0:1], -1, 0
	s_xor_b64 s[0:1], s[0:1], -1
	v_cndmask_b32_e64 v1, 0, 1, s[0:1]
	s_mov_b32 s35, 0
	s_bitcmp0_b32 s7, 0
	v_cmp_ne_u32_e64 s[0:1], 1, v1
	s_mov_b32 s58, 0
	s_cbranch_scc1 .LBB50_5
; %bb.1:
	s_load_dwordx2 s[34:35], s[4:5], 0x20
	s_and_b64 vcc, exec, s[0:1]
	s_waitcnt lgkmcnt(0)
	s_mov_b32 s58, s34
	s_cbranch_vccnz .LBB50_3
; %bb.2:
	s_load_dword s58, s[34:35], 0x0
.LBB50_3:
	s_and_b64 vcc, exec, s[0:1]
	s_cbranch_vccnz .LBB50_5
; %bb.4:
	s_load_dword s35, s[34:35], 0x4
.LBB50_5:
	s_bitcmp1_b32 s7, 8
	s_cselect_b64 s[44:45], -1, 0
	s_bfe_u32 s7, s7, 0x10008
	s_mov_b32 s57, 0
	s_cmp_eq_u32 s7, 0
	s_mov_b32 s34, 0
	s_cbranch_scc1 .LBB50_11
; %bb.6:
	s_and_b64 vcc, exec, s[0:1]
	s_mov_b32 s34, s20
	s_cbranch_vccnz .LBB50_8
; %bb.7:
	s_load_dword s34, s[20:21], 0x0
.LBB50_8:
	s_and_b64 vcc, exec, s[0:1]
	s_cbranch_vccnz .LBB50_10
; %bb.9:
	s_load_dword s21, s[20:21], 0x4
.LBB50_10:
	s_waitcnt lgkmcnt(0)
	s_mov_b32 s57, s21
.LBB50_11:
	s_load_dword s56, s[4:5], 0x8
	s_movk_i32 s0, 0x100
	v_cmp_gt_u32_e64 s[0:1], s0, v0
	v_lshl_add_u32 v15, v0, 2, 0
	s_and_saveexec_b64 s[20:21], s[0:1]
	s_cbranch_execz .LBB50_13
; %bb.12:
	s_waitcnt lgkmcnt(0)
	v_mov_b32_e32 v1, s56
	ds_write_b32 v15, v1
.LBB50_13:
	s_or_b64 exec, exec, s[20:21]
	v_lshl_add_u32 v1, v0, 3, 0
	v_add_u32_e32 v1, 0x400, v1
	v_or_b32_e32 v2, 0xffffff00, v0
	s_mov_b64 s[20:21], 0
	v_mov_b32_e32 v3, 0
	s_movk_i32 s7, 0x2ff
.LBB50_14:                              ; =>This Inner Loop Header: Depth=1
	v_add_u32_e32 v2, 0x100, v2
	v_cmp_lt_u32_e32 vcc, s7, v2
	ds_write2_b32 v1, v3, v3 offset1:1
	s_or_b64 s[20:21], vcc, s[20:21]
	v_add_u32_e32 v1, 0x800, v1
	s_andn2_b64 exec, exec, s[20:21]
	s_cbranch_execnz .LBB50_14
; %bb.15:
	s_or_b64 exec, exec, s[20:21]
	s_cmp_lg_u64 s[42:43], 0
	s_waitcnt lgkmcnt(0)
	s_barrier
	s_cbranch_scc0 .LBB50_17
; %bb.16:
	s_load_dword s7, s[40:41], 0x0
	s_waitcnt lgkmcnt(0)
	s_add_i32 s6, s7, s6
	s_mov_b32 s7, 0
	s_lshl_b64 s[6:7], s[6:7], 2
	s_add_u32 s6, s42, s6
	s_addc_u32 s7, s43, s7
	s_load_dword s6, s[6:7], 0x0
.LBB50_17:
	s_nop 0
	s_load_dword s33, s[4:5], 0x0
	s_andn2_b64 vcc, exec, s[46:47]
	s_waitcnt lgkmcnt(0)
	s_ashr_i32 s7, s6, 31
	s_cbranch_vccnz .LBB50_73
; %bb.18:
	s_lshl_b64 s[4:5], s[6:7], 2
	s_add_u32 s4, s24, s4
	s_addc_u32 s5, s25, s5
	s_load_dwordx2 s[4:5], s[4:5], 0x0
	v_lshrrev_b32_e32 v1, 4, v0
	v_subrev_u32_e32 v1, s36, v1
	s_waitcnt lgkmcnt(0)
	s_sub_i32 s59, s5, s36
	v_add_u32_e32 v2, s4, v1
	v_cmp_gt_i32_e32 vcc, s59, v2
	s_and_saveexec_b64 s[4:5], vcc
	s_cbranch_execz .LBB50_72
; %bb.19:
	v_and_b32_e32 v1, 15, v0
	s_cmp_eq_u32 s33, 0
	v_subrev_u32_e32 v1, s37, v1
	s_cselect_b32 s60, 2, 1
	s_cselect_b32 s61, 1, 2
	s_mov_b64 s[20:21], 0
	v_mov_b32_e32 v16, s27
	v_mov_b32_e32 v17, s31
	s_movk_i32 s27, 0x89
	s_branch .LBB50_21
.LBB50_20:                              ;   in Loop: Header=BB50_21 Depth=1
	s_or_b64 exec, exec, s[24:25]
	v_add_u32_e32 v2, 16, v2
	v_cmp_le_i32_e32 vcc, s59, v2
	s_or_b64 s[20:21], vcc, s[20:21]
	s_andn2_b64 exec, exec, s[20:21]
	s_cbranch_execz .LBB50_72
.LBB50_21:                              ; =>This Loop Header: Depth=1
                                        ;     Child Loop BB50_24 Depth 2
                                        ;       Child Loop BB50_26 Depth 3
                                        ;       Child Loop BB50_38 Depth 3
	;; [unrolled: 1-line block ×4, first 2 shown]
	v_ashrrev_i32_e32 v3, 31, v2
	v_lshlrev_b64 v[4:5], 2, v[2:3]
	v_add_co_u32_e32 v4, vcc, s26, v4
	v_addc_co_u32_e32 v5, vcc, v16, v5, vcc
	global_load_dword v3, v[4:5], off
	s_waitcnt vmcnt(0)
	v_subrev_u32_e32 v4, s36, v3
	v_ashrrev_i32_e32 v5, 31, v4
	v_lshlrev_b64 v[4:5], 2, v[4:5]
	v_add_co_u32_e32 v4, vcc, s30, v4
	v_addc_co_u32_e32 v5, vcc, v17, v5, vcc
	global_load_dwordx2 v[4:5], v[4:5], off
	s_waitcnt vmcnt(0)
	v_subrev_u32_e32 v3, s37, v5
	v_add_u32_e32 v4, v4, v1
	v_cmp_lt_i32_e32 vcc, v4, v3
	s_and_saveexec_b64 s[24:25], vcc
	s_cbranch_execz .LBB50_20
; %bb.22:                               ;   in Loop: Header=BB50_21 Depth=1
	v_lshlrev_b32_e32 v6, 2, v2
	v_ashrrev_i32_e32 v7, 31, v6
	v_lshlrev_b64 v[8:9], 3, v[6:7]
	v_or_b32_e32 v12, s60, v6
	v_mov_b32_e32 v5, s29
	v_add_co_u32_e32 v8, vcc, s28, v8
	v_ashrrev_i32_e32 v13, 31, v12
	v_addc_co_u32_e32 v9, vcc, v5, v9, vcc
	v_lshlrev_b64 v[12:13], 3, v[12:13]
	v_or_b32_e32 v6, s61, v6
	v_add_co_u32_e32 v12, vcc, s28, v12
	v_ashrrev_i32_e32 v7, 31, v6
	v_addc_co_u32_e32 v13, vcc, v5, v13, vcc
	v_lshlrev_b64 v[6:7], 3, v[6:7]
	v_add_co_u32_e32 v6, vcc, s28, v6
	global_load_dwordx2 v[10:11], v[8:9], off
	v_addc_co_u32_e32 v7, vcc, v5, v7, vcc
	global_load_dwordx2 v[12:13], v[12:13], off
	s_nop 0
	global_load_dwordx2 v[26:27], v[6:7], off
	global_load_dwordx2 v[28:29], v[8:9], off offset:24
	s_mov_b64 s[40:41], 0
	s_waitcnt vmcnt(3)
	v_mul_f32_e64 v18, v11, -s35
	v_mul_f32_e32 v19, s58, v11
	s_waitcnt vmcnt(2)
	v_mul_f32_e64 v20, v13, -s35
	v_mul_f32_e32 v21, s58, v13
	s_waitcnt vmcnt(0)
	v_mul_f32_e32 v22, s58, v29
	v_mul_f32_e64 v23, v29, -s35
	v_mul_f32_e32 v24, s58, v27
	v_mul_f32_e64 v25, v27, -s35
	v_fmac_f32_e32 v18, s58, v10
	v_fmac_f32_e32 v19, s35, v10
	;; [unrolled: 1-line block ×8, first 2 shown]
	s_branch .LBB50_24
.LBB50_23:                              ;   in Loop: Header=BB50_24 Depth=2
	s_or_b64 exec, exec, s[42:43]
	v_add_u32_e32 v4, 16, v4
	v_cmp_ge_i32_e32 vcc, v4, v3
	s_or_b64 s[40:41], vcc, s[40:41]
	s_andn2_b64 exec, exec, s[40:41]
	s_cbranch_execz .LBB50_20
.LBB50_24:                              ;   Parent Loop BB50_21 Depth=1
                                        ; =>  This Loop Header: Depth=2
                                        ;       Child Loop BB50_26 Depth 3
                                        ;       Child Loop BB50_38 Depth 3
                                        ;       Child Loop BB50_50 Depth 3
                                        ;       Child Loop BB50_62 Depth 3
	v_ashrrev_i32_e32 v5, 31, v4
	v_lshlrev_b64 v[6:7], 2, v[4:5]
	v_mov_b32_e32 v5, s17
	v_add_co_u32_e32 v6, vcc, s16, v6
	v_addc_co_u32_e32 v7, vcc, v5, v7, vcc
	global_load_dword v5, v[6:7], off
	v_lshlrev_b32_e32 v6, 2, v4
	v_or_b32_e32 v10, s60, v6
	v_ashrrev_i32_e32 v11, 31, v10
	v_lshlrev_b64 v[10:11], 3, v[10:11]
	v_ashrrev_i32_e32 v7, 31, v6
	v_mov_b32_e32 v14, s19
	v_add_co_u32_e32 v10, vcc, s18, v10
	v_or_b32_e32 v8, s61, v6
	v_lshlrev_b64 v[6:7], 3, v[6:7]
	v_addc_co_u32_e32 v11, vcc, v14, v11, vcc
	global_load_dwordx2 v[12:13], v[10:11], off
	v_add_co_u32_e32 v26, vcc, s18, v6
	v_ashrrev_i32_e32 v9, 31, v8
	v_addc_co_u32_e32 v27, vcc, v14, v7, vcc
	v_lshlrev_b64 v[6:7], 3, v[8:9]
	global_load_dwordx2 v[10:11], v[26:27], off
	v_add_co_u32_e32 v6, vcc, s18, v6
	v_addc_co_u32_e32 v7, vcc, v14, v7, vcc
	global_load_dwordx2 v[6:7], v[6:7], off
	s_nop 0
	global_load_dwordx2 v[8:9], v[26:27], off offset:24
	s_mov_b64 s[42:43], 0
	s_waitcnt vmcnt(4)
	v_subrev_u32_e32 v5, s37, v5
	v_mul_lo_u32 v14, v5, s27
	v_and_b32_e32 v26, 0xff, v14
	v_mov_b32_e32 v29, v26
	s_waitcnt vmcnt(3)
	v_mul_f32_e64 v28, v13, -v24
	v_mul_f32_e32 v27, v25, v13
	v_fmac_f32_e32 v28, v25, v12
	v_fmac_f32_e32 v27, v24, v12
	s_waitcnt vmcnt(2)
	v_fmac_f32_e32 v28, v18, v10
	v_fmac_f32_e32 v27, v19, v10
	v_fma_f32 v28, -v19, v11, v28
	v_fmac_f32_e32 v27, v18, v11
	s_branch .LBB50_26
.LBB50_25:                              ;   in Loop: Header=BB50_26 Depth=3
	s_or_b64 exec, exec, s[46:47]
	s_xor_b64 s[46:47], s[48:49], -1
	s_and_b64 s[46:47], exec, s[46:47]
	s_or_b64 s[42:43], s[46:47], s[42:43]
	s_andn2_b64 exec, exec, s[42:43]
	s_cbranch_execz .LBB50_36
.LBB50_26:                              ;   Parent Loop BB50_21 Depth=1
                                        ;     Parent Loop BB50_24 Depth=2
                                        ; =>    This Inner Loop Header: Depth=3
	v_lshl_add_u32 v14, v29, 2, 0
	ds_read_b32 v30, v14
                                        ; implicit-def: $sgpr48_sgpr49
	s_waitcnt lgkmcnt(0)
	v_cmp_ne_u32_e32 vcc, v30, v5
	s_and_saveexec_b64 s[46:47], vcc
	s_xor_b64 s[46:47], exec, s[46:47]
	s_cbranch_execz .LBB50_34
; %bb.27:                               ;   in Loop: Header=BB50_26 Depth=3
	v_cmp_ne_u32_e32 vcc, s56, v30
                                        ; implicit-def: $sgpr48_sgpr49
	s_and_saveexec_b64 s[50:51], vcc
	s_xor_b64 s[50:51], exec, s[50:51]
; %bb.28:                               ;   in Loop: Header=BB50_26 Depth=3
	v_add_u32_e32 v14, 1, v29
	v_and_b32_e32 v29, 0xff, v14
	s_mov_b64 s[48:49], -1
                                        ; implicit-def: $vgpr14
; %bb.29:                               ;   in Loop: Header=BB50_26 Depth=3
	s_andn2_saveexec_b64 s[50:51], s[50:51]
	s_cbranch_execz .LBB50_33
; %bb.30:                               ;   in Loop: Header=BB50_26 Depth=3
	v_mov_b32_e32 v30, s56
	ds_cmpst_rtn_b32 v30, v14, v30, v5
	s_mov_b64 s[54:55], -1
	s_waitcnt lgkmcnt(0)
	v_cmp_eq_u32_e32 vcc, s56, v30
	s_and_saveexec_b64 s[52:53], vcc
	s_cbranch_execz .LBB50_32
; %bb.31:                               ;   in Loop: Header=BB50_26 Depth=3
	v_mad_u64_u32 v[30:31], s[54:55], v29, 28, v[14:15]
	ds_add_f32 v30, v28 offset:1024
	ds_add_f32 v30, v27 offset:1028
	s_xor_b64 s[54:55], exec, -1
.LBB50_32:                              ;   in Loop: Header=BB50_26 Depth=3
	s_or_b64 exec, exec, s[52:53]
	s_andn2_b64 s[48:49], s[48:49], exec
	s_and_b64 s[52:53], s[54:55], exec
	s_or_b64 s[48:49], s[48:49], s[52:53]
.LBB50_33:                              ;   in Loop: Header=BB50_26 Depth=3
	s_or_b64 exec, exec, s[50:51]
	s_and_b64 s[48:49], s[48:49], exec
                                        ; implicit-def: $vgpr14
.LBB50_34:                              ;   in Loop: Header=BB50_26 Depth=3
	s_andn2_saveexec_b64 s[46:47], s[46:47]
	s_cbranch_execz .LBB50_25
; %bb.35:                               ;   in Loop: Header=BB50_26 Depth=3
	v_mad_u64_u32 v[30:31], s[50:51], v29, 28, v[14:15]
	ds_add_f32 v30, v28 offset:1024
	ds_add_f32 v30, v27 offset:1028
	s_andn2_b64 s[48:49], s[48:49], exec
	s_branch .LBB50_25
.LBB50_36:                              ;   in Loop: Header=BB50_24 Depth=2
	s_or_b64 exec, exec, s[42:43]
	s_waitcnt vmcnt(0)
	v_mul_f32_e64 v14, v9, -v24
	v_mul_f32_e32 v27, v25, v9
	v_fmac_f32_e32 v14, v25, v8
	v_fmac_f32_e32 v27, v24, v8
	;; [unrolled: 1-line block ×4, first 2 shown]
	v_fma_f32 v28, -v19, v7, v14
	v_fmac_f32_e32 v27, v18, v7
	s_mov_b64 s[42:43], 0
	v_mov_b32_e32 v29, v26
	s_branch .LBB50_38
.LBB50_37:                              ;   in Loop: Header=BB50_38 Depth=3
	s_or_b64 exec, exec, s[46:47]
	s_xor_b64 s[46:47], s[48:49], -1
	s_and_b64 s[46:47], exec, s[46:47]
	s_or_b64 s[42:43], s[46:47], s[42:43]
	s_andn2_b64 exec, exec, s[42:43]
	s_cbranch_execz .LBB50_48
.LBB50_38:                              ;   Parent Loop BB50_21 Depth=1
                                        ;     Parent Loop BB50_24 Depth=2
                                        ; =>    This Inner Loop Header: Depth=3
	v_lshl_add_u32 v14, v29, 2, 0
	ds_read_b32 v30, v14
                                        ; implicit-def: $sgpr48_sgpr49
	s_waitcnt lgkmcnt(0)
	v_cmp_ne_u32_e32 vcc, v30, v5
	s_and_saveexec_b64 s[46:47], vcc
	s_xor_b64 s[46:47], exec, s[46:47]
	s_cbranch_execz .LBB50_46
; %bb.39:                               ;   in Loop: Header=BB50_38 Depth=3
	v_cmp_ne_u32_e32 vcc, s56, v30
                                        ; implicit-def: $sgpr48_sgpr49
	s_and_saveexec_b64 s[50:51], vcc
	s_xor_b64 s[50:51], exec, s[50:51]
; %bb.40:                               ;   in Loop: Header=BB50_38 Depth=3
	v_add_u32_e32 v14, 1, v29
	v_and_b32_e32 v29, 0xff, v14
	s_mov_b64 s[48:49], -1
                                        ; implicit-def: $vgpr14
; %bb.41:                               ;   in Loop: Header=BB50_38 Depth=3
	s_andn2_saveexec_b64 s[50:51], s[50:51]
	s_cbranch_execz .LBB50_45
; %bb.42:                               ;   in Loop: Header=BB50_38 Depth=3
	v_mov_b32_e32 v30, s56
	ds_cmpst_rtn_b32 v30, v14, v30, v5
	s_mov_b64 s[54:55], -1
	s_waitcnt lgkmcnt(0)
	v_cmp_eq_u32_e32 vcc, s56, v30
	s_and_saveexec_b64 s[52:53], vcc
	s_cbranch_execz .LBB50_44
; %bb.43:                               ;   in Loop: Header=BB50_38 Depth=3
	v_mad_u64_u32 v[30:31], s[54:55], v29, 28, v[14:15]
	ds_add_f32 v30, v28 offset:1032
	ds_add_f32 v30, v27 offset:1036
	s_xor_b64 s[54:55], exec, -1
.LBB50_44:                              ;   in Loop: Header=BB50_38 Depth=3
	s_or_b64 exec, exec, s[52:53]
	s_andn2_b64 s[48:49], s[48:49], exec
	s_and_b64 s[52:53], s[54:55], exec
	s_or_b64 s[48:49], s[48:49], s[52:53]
.LBB50_45:                              ;   in Loop: Header=BB50_38 Depth=3
	s_or_b64 exec, exec, s[50:51]
	s_and_b64 s[48:49], s[48:49], exec
                                        ; implicit-def: $vgpr14
.LBB50_46:                              ;   in Loop: Header=BB50_38 Depth=3
	s_andn2_saveexec_b64 s[46:47], s[46:47]
	s_cbranch_execz .LBB50_37
; %bb.47:                               ;   in Loop: Header=BB50_38 Depth=3
	v_mad_u64_u32 v[30:31], s[50:51], v29, 28, v[14:15]
	ds_add_f32 v30, v28 offset:1032
	ds_add_f32 v30, v27 offset:1036
	s_andn2_b64 s[48:49], s[48:49], exec
	s_branch .LBB50_37
.LBB50_48:                              ;   in Loop: Header=BB50_24 Depth=2
	s_or_b64 exec, exec, s[42:43]
	v_mul_f32_e64 v14, v13, -v22
	v_mul_f32_e32 v13, v23, v13
	v_fmac_f32_e32 v14, v23, v12
	v_fmac_f32_e32 v13, v22, v12
	;; [unrolled: 1-line block ×4, first 2 shown]
	v_fma_f32 v12, -v21, v11, v14
	v_fmac_f32_e32 v13, v20, v11
	s_mov_b64 s[42:43], 0
	v_mov_b32_e32 v11, v26
	s_branch .LBB50_50
.LBB50_49:                              ;   in Loop: Header=BB50_50 Depth=3
	s_or_b64 exec, exec, s[46:47]
	s_xor_b64 s[46:47], s[48:49], -1
	s_and_b64 s[46:47], exec, s[46:47]
	s_or_b64 s[42:43], s[46:47], s[42:43]
	s_andn2_b64 exec, exec, s[42:43]
	s_cbranch_execz .LBB50_60
.LBB50_50:                              ;   Parent Loop BB50_21 Depth=1
                                        ;     Parent Loop BB50_24 Depth=2
                                        ; =>    This Inner Loop Header: Depth=3
	v_lshl_add_u32 v10, v11, 2, 0
	ds_read_b32 v14, v10
                                        ; implicit-def: $sgpr48_sgpr49
	s_waitcnt lgkmcnt(0)
	v_cmp_ne_u32_e32 vcc, v14, v5
	s_and_saveexec_b64 s[46:47], vcc
	s_xor_b64 s[46:47], exec, s[46:47]
	s_cbranch_execz .LBB50_58
; %bb.51:                               ;   in Loop: Header=BB50_50 Depth=3
	v_cmp_ne_u32_e32 vcc, s56, v14
                                        ; implicit-def: $sgpr48_sgpr49
	s_and_saveexec_b64 s[50:51], vcc
	s_xor_b64 s[50:51], exec, s[50:51]
; %bb.52:                               ;   in Loop: Header=BB50_50 Depth=3
	v_add_u32_e32 v10, 1, v11
	v_and_b32_e32 v11, 0xff, v10
	s_mov_b64 s[48:49], -1
                                        ; implicit-def: $vgpr10
; %bb.53:                               ;   in Loop: Header=BB50_50 Depth=3
	s_andn2_saveexec_b64 s[50:51], s[50:51]
	s_cbranch_execz .LBB50_57
; %bb.54:                               ;   in Loop: Header=BB50_50 Depth=3
	v_mov_b32_e32 v14, s56
	ds_cmpst_rtn_b32 v14, v10, v14, v5
	s_mov_b64 s[54:55], -1
	s_waitcnt lgkmcnt(0)
	v_cmp_eq_u32_e32 vcc, s56, v14
	s_and_saveexec_b64 s[52:53], vcc
	s_cbranch_execz .LBB50_56
; %bb.55:                               ;   in Loop: Header=BB50_50 Depth=3
	v_mad_u64_u32 v[28:29], s[54:55], v11, 28, v[10:11]
	ds_add_f32 v28, v12 offset:1040
	ds_add_f32 v28, v13 offset:1044
	s_xor_b64 s[54:55], exec, -1
.LBB50_56:                              ;   in Loop: Header=BB50_50 Depth=3
	s_or_b64 exec, exec, s[52:53]
	s_andn2_b64 s[48:49], s[48:49], exec
	s_and_b64 s[52:53], s[54:55], exec
	s_or_b64 s[48:49], s[48:49], s[52:53]
.LBB50_57:                              ;   in Loop: Header=BB50_50 Depth=3
	s_or_b64 exec, exec, s[50:51]
	s_and_b64 s[48:49], s[48:49], exec
                                        ; implicit-def: $vgpr10
.LBB50_58:                              ;   in Loop: Header=BB50_50 Depth=3
	s_andn2_saveexec_b64 s[46:47], s[46:47]
	s_cbranch_execz .LBB50_49
; %bb.59:                               ;   in Loop: Header=BB50_50 Depth=3
	v_mad_u64_u32 v[28:29], s[50:51], v11, 28, v[10:11]
	ds_add_f32 v28, v12 offset:1040
	ds_add_f32 v28, v13 offset:1044
	s_andn2_b64 s[48:49], s[48:49], exec
	s_branch .LBB50_49
.LBB50_60:                              ;   in Loop: Header=BB50_24 Depth=2
	s_or_b64 exec, exec, s[42:43]
	v_mul_f32_e64 v10, v9, -v22
	v_mul_f32_e32 v9, v23, v9
	v_fmac_f32_e32 v10, v23, v8
	v_fmac_f32_e32 v9, v22, v8
	;; [unrolled: 1-line block ×4, first 2 shown]
	v_fma_f32 v8, -v21, v7, v10
	v_fmac_f32_e32 v9, v20, v7
	s_mov_b64 s[42:43], 0
	s_branch .LBB50_62
.LBB50_61:                              ;   in Loop: Header=BB50_62 Depth=3
	s_or_b64 exec, exec, s[46:47]
	s_xor_b64 s[46:47], s[48:49], -1
	s_and_b64 s[46:47], exec, s[46:47]
	s_or_b64 s[42:43], s[46:47], s[42:43]
	s_andn2_b64 exec, exec, s[42:43]
	s_cbranch_execz .LBB50_23
.LBB50_62:                              ;   Parent Loop BB50_21 Depth=1
                                        ;     Parent Loop BB50_24 Depth=2
                                        ; =>    This Inner Loop Header: Depth=3
	v_lshl_add_u32 v6, v26, 2, 0
	ds_read_b32 v7, v6
                                        ; implicit-def: $sgpr48_sgpr49
	s_waitcnt lgkmcnt(0)
	v_cmp_ne_u32_e32 vcc, v7, v5
	s_and_saveexec_b64 s[46:47], vcc
	s_xor_b64 s[46:47], exec, s[46:47]
	s_cbranch_execz .LBB50_70
; %bb.63:                               ;   in Loop: Header=BB50_62 Depth=3
	v_cmp_ne_u32_e32 vcc, s56, v7
                                        ; implicit-def: $sgpr48_sgpr49
	s_and_saveexec_b64 s[50:51], vcc
	s_xor_b64 s[50:51], exec, s[50:51]
; %bb.64:                               ;   in Loop: Header=BB50_62 Depth=3
	v_add_u32_e32 v6, 1, v26
	v_and_b32_e32 v26, 0xff, v6
	s_mov_b64 s[48:49], -1
                                        ; implicit-def: $vgpr6
; %bb.65:                               ;   in Loop: Header=BB50_62 Depth=3
	s_andn2_saveexec_b64 s[50:51], s[50:51]
	s_cbranch_execz .LBB50_69
; %bb.66:                               ;   in Loop: Header=BB50_62 Depth=3
	v_mov_b32_e32 v7, s56
	ds_cmpst_rtn_b32 v7, v6, v7, v5
	s_mov_b64 s[54:55], -1
	s_waitcnt lgkmcnt(0)
	v_cmp_eq_u32_e32 vcc, s56, v7
	s_and_saveexec_b64 s[52:53], vcc
	s_cbranch_execz .LBB50_68
; %bb.67:                               ;   in Loop: Header=BB50_62 Depth=3
	v_mad_u64_u32 v[6:7], s[54:55], v26, 28, v[6:7]
	ds_add_f32 v6, v8 offset:1048
	ds_add_f32 v6, v9 offset:1052
	s_xor_b64 s[54:55], exec, -1
.LBB50_68:                              ;   in Loop: Header=BB50_62 Depth=3
	s_or_b64 exec, exec, s[52:53]
	s_andn2_b64 s[48:49], s[48:49], exec
	s_and_b64 s[52:53], s[54:55], exec
	s_or_b64 s[48:49], s[48:49], s[52:53]
.LBB50_69:                              ;   in Loop: Header=BB50_62 Depth=3
	s_or_b64 exec, exec, s[50:51]
	s_and_b64 s[48:49], s[48:49], exec
                                        ; implicit-def: $vgpr6
.LBB50_70:                              ;   in Loop: Header=BB50_62 Depth=3
	s_andn2_saveexec_b64 s[46:47], s[46:47]
	s_cbranch_execz .LBB50_61
; %bb.71:                               ;   in Loop: Header=BB50_62 Depth=3
	v_mad_u64_u32 v[6:7], s[50:51], v26, 28, v[6:7]
	ds_add_f32 v6, v8 offset:1048
	ds_add_f32 v6, v9 offset:1052
	s_andn2_b64 s[48:49], s[48:49], exec
	s_branch .LBB50_61
.LBB50_72:
	s_or_b64 exec, exec, s[4:5]
.LBB50_73:
	s_andn2_b64 vcc, exec, s[44:45]
	s_waitcnt lgkmcnt(0)
	s_barrier
	s_cbranch_vccnz .LBB50_126
; %bb.74:
	s_lshl_b64 s[4:5], s[6:7], 2
	s_add_u32 s4, s22, s4
	s_addc_u32 s5, s23, s5
	s_load_dwordx2 s[4:5], s[4:5], 0x0
	v_subrev_u32_e32 v1, s39, v0
	s_waitcnt lgkmcnt(0)
	s_sub_i32 s30, s5, s39
	v_add_u32_e32 v2, s4, v1
	v_cmp_gt_i32_e32 vcc, s30, v2
	s_and_saveexec_b64 s[4:5], vcc
	s_cbranch_execz .LBB50_125
; %bb.75:
	s_cmp_eq_u32 s33, 0
	s_cselect_b32 s31, 1, 2
	s_cselect_b32 s35, 2, 1
	s_mov_b64 s[16:17], 0
	v_mov_b32_e32 v1, s11
	v_mov_b32_e32 v11, s9
	s_movk_i32 s9, 0x89
	s_branch .LBB50_77
.LBB50_76:                              ;   in Loop: Header=BB50_77 Depth=1
	s_or_b64 exec, exec, s[18:19]
	v_add_u32_e32 v2, 0x100, v2
	v_cmp_le_i32_e32 vcc, s30, v2
	s_or_b64 s[16:17], vcc, s[16:17]
	s_andn2_b64 exec, exec, s[16:17]
	s_cbranch_execz .LBB50_125
.LBB50_77:                              ; =>This Loop Header: Depth=1
                                        ;     Child Loop BB50_79 Depth 2
                                        ;     Child Loop BB50_91 Depth 2
                                        ;     Child Loop BB50_103 Depth 2
                                        ;     Child Loop BB50_115 Depth 2
	v_lshlrev_b32_e32 v4, 2, v2
	v_ashrrev_i32_e32 v5, 31, v4
	v_lshlrev_b64 v[6:7], 3, v[4:5]
	v_add_co_u32_e32 v12, vcc, s10, v6
	v_or_b32_e32 v6, s31, v4
	v_addc_co_u32_e32 v13, vcc, v1, v7, vcc
	v_ashrrev_i32_e32 v7, 31, v6
	v_lshlrev_b64 v[6:7], 3, v[6:7]
	v_ashrrev_i32_e32 v3, 31, v2
	v_add_co_u32_e32 v18, vcc, s10, v6
	v_addc_co_u32_e32 v19, vcc, v1, v7, vcc
	v_lshlrev_b64 v[6:7], 2, v[2:3]
	v_add_co_u32_e32 v6, vcc, s8, v6
	v_or_b32_e32 v4, s35, v4
	v_addc_co_u32_e32 v7, vcc, v11, v7, vcc
	global_load_dword v3, v[6:7], off
	v_ashrrev_i32_e32 v5, 31, v4
	v_lshlrev_b64 v[4:5], 3, v[4:5]
	global_load_dwordx2 v[16:17], v[12:13], off
	v_add_co_u32_e32 v20, vcc, s10, v4
	v_addc_co_u32_e32 v21, vcc, v1, v5, vcc
	global_load_dwordx2 v[4:5], v[12:13], off offset:24
	global_load_dwordx2 v[8:9], v[18:19], off
	global_load_dwordx2 v[6:7], v[20:21], off
	s_mov_b64 s[18:19], 0
	s_waitcnt vmcnt(4)
	v_subrev_u32_e32 v3, s39, v3
	v_mul_lo_u32 v10, v3, s9
	v_and_b32_e32 v12, 0xff, v10
	s_waitcnt vmcnt(3)
	v_mul_f32_e64 v13, v17, -s57
	v_mul_f32_e32 v14, s34, v17
	v_fmac_f32_e32 v13, s34, v16
	v_fmac_f32_e32 v14, s57, v16
	v_mov_b32_e32 v16, v12
	s_branch .LBB50_79
.LBB50_78:                              ;   in Loop: Header=BB50_79 Depth=2
	s_or_b64 exec, exec, s[20:21]
	s_xor_b64 s[20:21], s[22:23], -1
	s_and_b64 s[20:21], exec, s[20:21]
	s_or_b64 s[18:19], s[20:21], s[18:19]
	s_andn2_b64 exec, exec, s[18:19]
	s_cbranch_execz .LBB50_89
.LBB50_79:                              ;   Parent Loop BB50_77 Depth=1
                                        ; =>  This Inner Loop Header: Depth=2
	v_lshl_add_u32 v10, v16, 2, 0
	ds_read_b32 v17, v10
                                        ; implicit-def: $sgpr22_sgpr23
	s_waitcnt lgkmcnt(0)
	v_cmp_ne_u32_e32 vcc, v17, v3
	s_and_saveexec_b64 s[20:21], vcc
	s_xor_b64 s[20:21], exec, s[20:21]
	s_cbranch_execz .LBB50_87
; %bb.80:                               ;   in Loop: Header=BB50_79 Depth=2
	v_cmp_ne_u32_e32 vcc, s56, v17
                                        ; implicit-def: $sgpr22_sgpr23
	s_and_saveexec_b64 s[24:25], vcc
	s_xor_b64 s[24:25], exec, s[24:25]
; %bb.81:                               ;   in Loop: Header=BB50_79 Depth=2
	v_add_u32_e32 v10, 1, v16
	v_and_b32_e32 v16, 0xff, v10
	s_mov_b64 s[22:23], -1
                                        ; implicit-def: $vgpr10
; %bb.82:                               ;   in Loop: Header=BB50_79 Depth=2
	s_andn2_saveexec_b64 s[24:25], s[24:25]
	s_cbranch_execz .LBB50_86
; %bb.83:                               ;   in Loop: Header=BB50_79 Depth=2
	v_mov_b32_e32 v17, s56
	ds_cmpst_rtn_b32 v17, v10, v17, v3
	s_mov_b64 s[28:29], -1
	s_waitcnt lgkmcnt(0)
	v_cmp_eq_u32_e32 vcc, s56, v17
	s_and_saveexec_b64 s[26:27], vcc
	s_cbranch_execz .LBB50_85
; %bb.84:                               ;   in Loop: Header=BB50_79 Depth=2
	v_mad_u64_u32 v[18:19], s[28:29], v16, 28, v[10:11]
	ds_add_f32 v18, v13 offset:1024
	ds_add_f32 v18, v14 offset:1028
	s_xor_b64 s[28:29], exec, -1
.LBB50_85:                              ;   in Loop: Header=BB50_79 Depth=2
	s_or_b64 exec, exec, s[26:27]
	s_andn2_b64 s[22:23], s[22:23], exec
	s_and_b64 s[26:27], s[28:29], exec
	s_or_b64 s[22:23], s[22:23], s[26:27]
.LBB50_86:                              ;   in Loop: Header=BB50_79 Depth=2
	s_or_b64 exec, exec, s[24:25]
	s_and_b64 s[22:23], s[22:23], exec
                                        ; implicit-def: $vgpr10
.LBB50_87:                              ;   in Loop: Header=BB50_79 Depth=2
	s_andn2_saveexec_b64 s[20:21], s[20:21]
	s_cbranch_execz .LBB50_78
; %bb.88:                               ;   in Loop: Header=BB50_79 Depth=2
	v_mad_u64_u32 v[18:19], s[24:25], v16, 28, v[10:11]
	ds_add_f32 v18, v13 offset:1024
	ds_add_f32 v18, v14 offset:1028
	s_andn2_b64 s[22:23], s[22:23], exec
	s_branch .LBB50_78
.LBB50_89:                              ;   in Loop: Header=BB50_77 Depth=1
	s_or_b64 exec, exec, s[18:19]
	s_waitcnt vmcnt(1)
	v_mul_f32_e64 v10, v9, -s57
	v_mul_f32_e32 v9, s34, v9
	v_fmac_f32_e32 v10, s34, v8
	v_fmac_f32_e32 v9, s57, v8
	s_mov_b64 s[18:19], 0
	v_mov_b32_e32 v13, v12
	s_branch .LBB50_91
.LBB50_90:                              ;   in Loop: Header=BB50_91 Depth=2
	s_or_b64 exec, exec, s[20:21]
	s_xor_b64 s[20:21], s[22:23], -1
	s_and_b64 s[20:21], exec, s[20:21]
	s_or_b64 s[18:19], s[20:21], s[18:19]
	s_andn2_b64 exec, exec, s[18:19]
	s_cbranch_execz .LBB50_101
.LBB50_91:                              ;   Parent Loop BB50_77 Depth=1
                                        ; =>  This Inner Loop Header: Depth=2
	v_lshl_add_u32 v8, v13, 2, 0
	ds_read_b32 v14, v8
                                        ; implicit-def: $sgpr22_sgpr23
	s_waitcnt lgkmcnt(0)
	v_cmp_ne_u32_e32 vcc, v14, v3
	s_and_saveexec_b64 s[20:21], vcc
	s_xor_b64 s[20:21], exec, s[20:21]
	s_cbranch_execz .LBB50_99
; %bb.92:                               ;   in Loop: Header=BB50_91 Depth=2
	v_cmp_ne_u32_e32 vcc, s56, v14
                                        ; implicit-def: $sgpr22_sgpr23
	s_and_saveexec_b64 s[24:25], vcc
	s_xor_b64 s[24:25], exec, s[24:25]
; %bb.93:                               ;   in Loop: Header=BB50_91 Depth=2
	v_add_u32_e32 v8, 1, v13
	v_and_b32_e32 v13, 0xff, v8
	s_mov_b64 s[22:23], -1
                                        ; implicit-def: $vgpr8
; %bb.94:                               ;   in Loop: Header=BB50_91 Depth=2
	s_andn2_saveexec_b64 s[24:25], s[24:25]
	s_cbranch_execz .LBB50_98
; %bb.95:                               ;   in Loop: Header=BB50_91 Depth=2
	v_mov_b32_e32 v14, s56
	ds_cmpst_rtn_b32 v14, v8, v14, v3
	s_mov_b64 s[28:29], -1
	s_waitcnt lgkmcnt(0)
	v_cmp_eq_u32_e32 vcc, s56, v14
	s_and_saveexec_b64 s[26:27], vcc
	s_cbranch_execz .LBB50_97
; %bb.96:                               ;   in Loop: Header=BB50_91 Depth=2
	v_mad_u64_u32 v[16:17], s[28:29], v13, 28, v[8:9]
	ds_add_f32 v16, v10 offset:1032
	ds_add_f32 v16, v9 offset:1036
	s_xor_b64 s[28:29], exec, -1
.LBB50_97:                              ;   in Loop: Header=BB50_91 Depth=2
	s_or_b64 exec, exec, s[26:27]
	s_andn2_b64 s[22:23], s[22:23], exec
	s_and_b64 s[26:27], s[28:29], exec
	s_or_b64 s[22:23], s[22:23], s[26:27]
.LBB50_98:                              ;   in Loop: Header=BB50_91 Depth=2
	s_or_b64 exec, exec, s[24:25]
	s_and_b64 s[22:23], s[22:23], exec
                                        ; implicit-def: $vgpr8
.LBB50_99:                              ;   in Loop: Header=BB50_91 Depth=2
	s_andn2_saveexec_b64 s[20:21], s[20:21]
	s_cbranch_execz .LBB50_90
; %bb.100:                              ;   in Loop: Header=BB50_91 Depth=2
	v_mad_u64_u32 v[16:17], s[24:25], v13, 28, v[8:9]
	ds_add_f32 v16, v10 offset:1032
	ds_add_f32 v16, v9 offset:1036
	s_andn2_b64 s[22:23], s[22:23], exec
	s_branch .LBB50_90
.LBB50_101:                             ;   in Loop: Header=BB50_77 Depth=1
	s_or_b64 exec, exec, s[18:19]
	s_waitcnt vmcnt(0)
	v_mul_f32_e64 v8, v7, -s57
	v_mul_f32_e32 v7, s34, v7
	v_fmac_f32_e32 v8, s34, v6
	v_fmac_f32_e32 v7, s57, v6
	s_mov_b64 s[18:19], 0
	v_mov_b32_e32 v9, v12
	s_branch .LBB50_103
.LBB50_102:                             ;   in Loop: Header=BB50_103 Depth=2
	s_or_b64 exec, exec, s[20:21]
	s_xor_b64 s[20:21], s[22:23], -1
	s_and_b64 s[20:21], exec, s[20:21]
	s_or_b64 s[18:19], s[20:21], s[18:19]
	s_andn2_b64 exec, exec, s[18:19]
	s_cbranch_execz .LBB50_113
.LBB50_103:                             ;   Parent Loop BB50_77 Depth=1
                                        ; =>  This Inner Loop Header: Depth=2
	v_lshl_add_u32 v6, v9, 2, 0
	ds_read_b32 v10, v6
                                        ; implicit-def: $sgpr22_sgpr23
	s_waitcnt lgkmcnt(0)
	v_cmp_ne_u32_e32 vcc, v10, v3
	s_and_saveexec_b64 s[20:21], vcc
	s_xor_b64 s[20:21], exec, s[20:21]
	s_cbranch_execz .LBB50_111
; %bb.104:                              ;   in Loop: Header=BB50_103 Depth=2
	v_cmp_ne_u32_e32 vcc, s56, v10
                                        ; implicit-def: $sgpr22_sgpr23
	s_and_saveexec_b64 s[24:25], vcc
	s_xor_b64 s[24:25], exec, s[24:25]
; %bb.105:                              ;   in Loop: Header=BB50_103 Depth=2
	v_add_u32_e32 v6, 1, v9
	v_and_b32_e32 v9, 0xff, v6
	s_mov_b64 s[22:23], -1
                                        ; implicit-def: $vgpr6
; %bb.106:                              ;   in Loop: Header=BB50_103 Depth=2
	s_andn2_saveexec_b64 s[24:25], s[24:25]
	s_cbranch_execz .LBB50_110
; %bb.107:                              ;   in Loop: Header=BB50_103 Depth=2
	v_mov_b32_e32 v10, s56
	ds_cmpst_rtn_b32 v10, v6, v10, v3
	s_mov_b64 s[28:29], -1
	s_waitcnt lgkmcnt(0)
	v_cmp_eq_u32_e32 vcc, s56, v10
	s_and_saveexec_b64 s[26:27], vcc
	s_cbranch_execz .LBB50_109
; %bb.108:                              ;   in Loop: Header=BB50_103 Depth=2
	v_mad_u64_u32 v[16:17], s[28:29], v9, 28, v[6:7]
	ds_add_f32 v16, v8 offset:1040
	ds_add_f32 v16, v7 offset:1044
	s_xor_b64 s[28:29], exec, -1
.LBB50_109:                             ;   in Loop: Header=BB50_103 Depth=2
	s_or_b64 exec, exec, s[26:27]
	s_andn2_b64 s[22:23], s[22:23], exec
	s_and_b64 s[26:27], s[28:29], exec
	s_or_b64 s[22:23], s[22:23], s[26:27]
.LBB50_110:                             ;   in Loop: Header=BB50_103 Depth=2
	s_or_b64 exec, exec, s[24:25]
	s_and_b64 s[22:23], s[22:23], exec
                                        ; implicit-def: $vgpr6
.LBB50_111:                             ;   in Loop: Header=BB50_103 Depth=2
	s_andn2_saveexec_b64 s[20:21], s[20:21]
	s_cbranch_execz .LBB50_102
; %bb.112:                              ;   in Loop: Header=BB50_103 Depth=2
	v_mad_u64_u32 v[16:17], s[24:25], v9, 28, v[6:7]
	ds_add_f32 v16, v8 offset:1040
	ds_add_f32 v16, v7 offset:1044
	s_andn2_b64 s[22:23], s[22:23], exec
	s_branch .LBB50_102
.LBB50_113:                             ;   in Loop: Header=BB50_77 Depth=1
	s_or_b64 exec, exec, s[18:19]
	v_mul_f32_e64 v6, v5, -s57
	v_mul_f32_e32 v5, s34, v5
	v_fmac_f32_e32 v6, s34, v4
	v_fmac_f32_e32 v5, s57, v4
	s_mov_b64 s[18:19], 0
	s_branch .LBB50_115
.LBB50_114:                             ;   in Loop: Header=BB50_115 Depth=2
	s_or_b64 exec, exec, s[20:21]
	s_xor_b64 s[20:21], s[22:23], -1
	s_and_b64 s[20:21], exec, s[20:21]
	s_or_b64 s[18:19], s[20:21], s[18:19]
	s_andn2_b64 exec, exec, s[18:19]
	s_cbranch_execz .LBB50_76
.LBB50_115:                             ;   Parent Loop BB50_77 Depth=1
                                        ; =>  This Inner Loop Header: Depth=2
	v_lshl_add_u32 v4, v12, 2, 0
	ds_read_b32 v7, v4
                                        ; implicit-def: $sgpr22_sgpr23
	s_waitcnt lgkmcnt(0)
	v_cmp_ne_u32_e32 vcc, v7, v3
	s_and_saveexec_b64 s[20:21], vcc
	s_xor_b64 s[20:21], exec, s[20:21]
	s_cbranch_execz .LBB50_123
; %bb.116:                              ;   in Loop: Header=BB50_115 Depth=2
	v_cmp_ne_u32_e32 vcc, s56, v7
                                        ; implicit-def: $sgpr22_sgpr23
	s_and_saveexec_b64 s[24:25], vcc
	s_xor_b64 s[24:25], exec, s[24:25]
; %bb.117:                              ;   in Loop: Header=BB50_115 Depth=2
	v_add_u32_e32 v4, 1, v12
	v_and_b32_e32 v12, 0xff, v4
	s_mov_b64 s[22:23], -1
                                        ; implicit-def: $vgpr4
; %bb.118:                              ;   in Loop: Header=BB50_115 Depth=2
	s_andn2_saveexec_b64 s[24:25], s[24:25]
	s_cbranch_execz .LBB50_122
; %bb.119:                              ;   in Loop: Header=BB50_115 Depth=2
	v_mov_b32_e32 v7, s56
	ds_cmpst_rtn_b32 v7, v4, v7, v3
	s_mov_b64 s[28:29], -1
	s_waitcnt lgkmcnt(0)
	v_cmp_eq_u32_e32 vcc, s56, v7
	s_and_saveexec_b64 s[26:27], vcc
	s_cbranch_execz .LBB50_121
; %bb.120:                              ;   in Loop: Header=BB50_115 Depth=2
	v_mad_u64_u32 v[8:9], s[28:29], v12, 28, v[4:5]
	ds_add_f32 v8, v6 offset:1048
	ds_add_f32 v8, v5 offset:1052
	s_xor_b64 s[28:29], exec, -1
.LBB50_121:                             ;   in Loop: Header=BB50_115 Depth=2
	s_or_b64 exec, exec, s[26:27]
	s_andn2_b64 s[22:23], s[22:23], exec
	s_and_b64 s[26:27], s[28:29], exec
	s_or_b64 s[22:23], s[22:23], s[26:27]
.LBB50_122:                             ;   in Loop: Header=BB50_115 Depth=2
	s_or_b64 exec, exec, s[24:25]
	s_and_b64 s[22:23], s[22:23], exec
                                        ; implicit-def: $vgpr4
.LBB50_123:                             ;   in Loop: Header=BB50_115 Depth=2
	s_andn2_saveexec_b64 s[20:21], s[20:21]
	s_cbranch_execz .LBB50_114
; %bb.124:                              ;   in Loop: Header=BB50_115 Depth=2
	v_mad_u64_u32 v[8:9], s[24:25], v12, 28, v[4:5]
	ds_add_f32 v8, v6 offset:1048
	ds_add_f32 v8, v5 offset:1052
	s_andn2_b64 s[22:23], s[22:23], exec
	s_branch .LBB50_114
.LBB50_125:
	s_or_b64 exec, exec, s[4:5]
.LBB50_126:
	s_waitcnt lgkmcnt(0)
	s_barrier
	s_and_saveexec_b64 s[4:5], s[0:1]
	s_cbranch_execz .LBB50_131
; %bb.127:
	ds_read_b32 v2, v15
	s_mov_b32 s4, 0
	s_waitcnt lgkmcnt(0)
	v_cmp_gt_i32_e32 vcc, s56, v2
	s_and_b64 exec, exec, vcc
	s_cbranch_execz .LBB50_131
; %bb.128:
	s_lshl_b64 s[0:1], s[6:7], 2
	s_add_u32 s0, s12, s0
	s_addc_u32 s1, s13, s1
	s_load_dword s0, s[0:1], 0x0
	v_mov_b32_e32 v1, v2
	v_mov_b32_e32 v3, 0
	s_waitcnt lgkmcnt(0)
	s_sub_i32 s0, s0, s38
	v_mov_b32_e32 v4, s0
.LBB50_129:                             ; =>This Inner Loop Header: Depth=1
	s_add_i32 s0, s4, 0
	v_mov_b32_e32 v5, s0
	ds_read2_b32 v[6:7], v5 offset1:1
	ds_read2_b32 v[8:9], v5 offset0:2 offset1:3
	ds_read2_b32 v[10:11], v5 offset0:4 offset1:5
	;; [unrolled: 1-line block ×15, first 2 shown]
	s_waitcnt lgkmcnt(14)
	v_cmp_gt_i32_e32 vcc, v1, v7
	s_waitcnt lgkmcnt(13)
	v_cmp_gt_i32_e64 s[0:1], v2, v10
	v_cndmask_b32_e64 v5, 0, 1, vcc
	v_cmp_gt_i32_e32 vcc, v2, v6
	v_cndmask_b32_e64 v7, 0, 1, s[0:1]
	v_cmp_gt_i32_e64 s[0:1], v1, v11
	v_cndmask_b32_e64 v6, 0, 1, vcc
	v_cmp_gt_i32_e32 vcc, v1, v9
	v_cndmask_b32_e64 v9, 0, 1, s[0:1]
	s_waitcnt lgkmcnt(11)
	v_cmp_gt_i32_e64 s[0:1], v1, v17
	v_cndmask_b32_e64 v10, 0, 1, s[0:1]
	v_cmp_gt_i32_e64 s[0:1], v2, v16
	v_cndmask_b32_e64 v11, 0, 1, s[0:1]
	s_waitcnt lgkmcnt(9)
	v_cmp_gt_i32_e64 s[0:1], v2, v20
	v_cndmask_b32_e64 v14, 0, 1, s[0:1]
	v_cmp_gt_i32_e64 s[0:1], v1, v21
	;; [unrolled: 5-line block ×6, first 2 shown]
	v_cndmask_b32_e64 v32, 0, 1, s[0:1]
	v_cmp_gt_i32_e64 s[0:1], v2, v8
	v_addc_co_u32_e64 v4, s[0:1], v4, v6, s[0:1]
	v_addc_co_u32_e32 v3, vcc, v3, v5, vcc
	v_cmp_gt_i32_e32 vcc, v2, v12
	v_cmp_gt_i32_e64 s[0:1], v1, v13
	v_addc_co_u32_e64 v3, s[0:1], v3, v9, s[0:1]
	v_addc_co_u32_e32 v4, vcc, v4, v7, vcc
	v_cmp_gt_i32_e32 vcc, v1, v19
	v_cmp_gt_i32_e64 s[0:1], v2, v18
	v_addc_co_u32_e64 v4, s[0:1], v4, v11, s[0:1]
	v_addc_co_u32_e32 v3, vcc, v3, v10, vcc
	v_cmp_gt_i32_e32 vcc, v2, v22
	v_cmp_gt_i32_e64 s[0:1], v1, v23
	v_addc_co_u32_e64 v3, s[0:1], v3, v16, s[0:1]
	v_addc_co_u32_e32 v4, vcc, v4, v14, vcc
	v_cmp_gt_i32_e32 vcc, v1, v27
	v_cmp_gt_i32_e64 s[0:1], v2, v26
	v_addc_co_u32_e64 v4, s[0:1], v4, v20, s[0:1]
	v_addc_co_u32_e32 v3, vcc, v3, v17, vcc
	v_cmp_gt_i32_e32 vcc, v2, v30
	v_cmp_gt_i32_e64 s[0:1], v1, v31
	v_addc_co_u32_e64 v3, s[0:1], v3, v24, s[0:1]
	v_addc_co_u32_e32 v4, vcc, v4, v21, vcc
	v_cmp_gt_i32_e32 vcc, v1, v35
	v_cmp_gt_i32_e64 s[0:1], v2, v34
	v_addc_co_u32_e64 v4, s[0:1], v4, v28, s[0:1]
	v_addc_co_u32_e32 v3, vcc, v3, v25, vcc
	s_addk_i32 s4, 0x80
	s_waitcnt lgkmcnt(0)
	v_cmp_gt_i32_e32 vcc, v2, v38
	v_cmp_gt_i32_e64 s[0:1], v1, v39
	s_cmpk_lg_i32 s4, 0x400
	v_addc_co_u32_e64 v3, s[0:1], v3, v32, s[0:1]
	v_addc_co_u32_e32 v4, vcc, v4, v29, vcc
	s_cbranch_scc1 .LBB50_129
; %bb.130:
	v_add_u32_e32 v4, v4, v3
	v_ashrrev_i32_e32 v5, 31, v4
	v_add_u32_e32 v1, s38, v2
	v_lshlrev_b64 v[2:3], 2, v[4:5]
	v_mov_b32_e32 v5, s15
	v_add_co_u32_e32 v2, vcc, s14, v2
	s_add_i32 s1, 0, 0x400
	v_addc_co_u32_e32 v3, vcc, v5, v3, vcc
	s_movk_i32 s0, 0x400
	s_cmp_eq_u32 s33, 0
	global_store_dword v[2:3], v1, off
	v_mul_u32_u24_e32 v2, 28, v0
	v_lshlrev_b32_e32 v1, 2, v0
	v_add3_u32 v5, v15, v2, s0
	v_lshl_add_u32 v0, v0, 5, s1
	s_cselect_b32 s0, 1, 2
	s_cselect_b32 s1, 2, 1
	v_lshlrev_b32_e32 v2, 2, v4
	v_or_b32_e32 v4, s0, v1
	v_or_b32_e32 v1, s1, v1
	v_lshl_add_u32 v4, v4, 3, 0
	v_lshl_add_u32 v1, v1, 3, 0
	v_ashrrev_i32_e32 v3, 31, v2
	v_add_u32_e32 v4, 0x400, v4
	v_add_u32_e32 v1, 0x400, v1
	v_lshlrev_b64 v[10:11], 3, v[2:3]
	ds_read2_b32 v[2:3], v5 offset1:1
	ds_read2_b32 v[6:7], v1 offset1:1
	;; [unrolled: 1-line block ×3, first 2 shown]
	ds_read2_b32 v[8:9], v0 offset0:6 offset1:7
	v_mov_b32_e32 v12, s3
	v_add_co_u32_e32 v0, vcc, s2, v10
	v_addc_co_u32_e32 v1, vcc, v12, v11, vcc
	s_waitcnt lgkmcnt(1)
	global_store_dwordx4 v[0:1], v[2:5], off
	s_waitcnt lgkmcnt(0)
	global_store_dwordx4 v[0:1], v[6:9], off offset:16
.LBB50_131:
	s_endpgm
	.section	.rodata,"a",@progbits
	.p2align	6, 0x0
	.amdhsa_kernel _ZN9rocsparseL30bsrgemm_fill_block_per_row_2x2ILj256ELj16ELj256ELj137Eii21rocsparse_complex_numIfEEEv20rocsparse_direction_T4_S4_PKS4_S6_NS_24const_host_device_scalarIT5_EEPKT3_S6_PKS8_SC_S6_SE_S9_SC_S6_SE_SC_PS4_PS8_21rocsparse_index_base_SH_SH_SH_bbb
		.amdhsa_group_segment_fixed_size 0
		.amdhsa_private_segment_fixed_size 0
		.amdhsa_kernarg_size 164
		.amdhsa_user_sgpr_count 6
		.amdhsa_user_sgpr_private_segment_buffer 1
		.amdhsa_user_sgpr_dispatch_ptr 0
		.amdhsa_user_sgpr_queue_ptr 0
		.amdhsa_user_sgpr_kernarg_segment_ptr 1
		.amdhsa_user_sgpr_dispatch_id 0
		.amdhsa_user_sgpr_flat_scratch_init 0
		.amdhsa_user_sgpr_kernarg_preload_length 0
		.amdhsa_user_sgpr_kernarg_preload_offset 0
		.amdhsa_user_sgpr_private_segment_size 0
		.amdhsa_uses_dynamic_stack 0
		.amdhsa_system_sgpr_private_segment_wavefront_offset 0
		.amdhsa_system_sgpr_workgroup_id_x 1
		.amdhsa_system_sgpr_workgroup_id_y 0
		.amdhsa_system_sgpr_workgroup_id_z 0
		.amdhsa_system_sgpr_workgroup_info 0
		.amdhsa_system_vgpr_workitem_id 0
		.amdhsa_next_free_vgpr 40
		.amdhsa_next_free_sgpr 62
		.amdhsa_accum_offset 40
		.amdhsa_reserve_vcc 1
		.amdhsa_reserve_flat_scratch 0
		.amdhsa_float_round_mode_32 0
		.amdhsa_float_round_mode_16_64 0
		.amdhsa_float_denorm_mode_32 3
		.amdhsa_float_denorm_mode_16_64 3
		.amdhsa_dx10_clamp 1
		.amdhsa_ieee_mode 1
		.amdhsa_fp16_overflow 0
		.amdhsa_tg_split 0
		.amdhsa_exception_fp_ieee_invalid_op 0
		.amdhsa_exception_fp_denorm_src 0
		.amdhsa_exception_fp_ieee_div_zero 0
		.amdhsa_exception_fp_ieee_overflow 0
		.amdhsa_exception_fp_ieee_underflow 0
		.amdhsa_exception_fp_ieee_inexact 0
		.amdhsa_exception_int_div_zero 0
	.end_amdhsa_kernel
	.section	.text._ZN9rocsparseL30bsrgemm_fill_block_per_row_2x2ILj256ELj16ELj256ELj137Eii21rocsparse_complex_numIfEEEv20rocsparse_direction_T4_S4_PKS4_S6_NS_24const_host_device_scalarIT5_EEPKT3_S6_PKS8_SC_S6_SE_S9_SC_S6_SE_SC_PS4_PS8_21rocsparse_index_base_SH_SH_SH_bbb,"axG",@progbits,_ZN9rocsparseL30bsrgemm_fill_block_per_row_2x2ILj256ELj16ELj256ELj137Eii21rocsparse_complex_numIfEEEv20rocsparse_direction_T4_S4_PKS4_S6_NS_24const_host_device_scalarIT5_EEPKT3_S6_PKS8_SC_S6_SE_S9_SC_S6_SE_SC_PS4_PS8_21rocsparse_index_base_SH_SH_SH_bbb,comdat
.Lfunc_end50:
	.size	_ZN9rocsparseL30bsrgemm_fill_block_per_row_2x2ILj256ELj16ELj256ELj137Eii21rocsparse_complex_numIfEEEv20rocsparse_direction_T4_S4_PKS4_S6_NS_24const_host_device_scalarIT5_EEPKT3_S6_PKS8_SC_S6_SE_S9_SC_S6_SE_SC_PS4_PS8_21rocsparse_index_base_SH_SH_SH_bbb, .Lfunc_end50-_ZN9rocsparseL30bsrgemm_fill_block_per_row_2x2ILj256ELj16ELj256ELj137Eii21rocsparse_complex_numIfEEEv20rocsparse_direction_T4_S4_PKS4_S6_NS_24const_host_device_scalarIT5_EEPKT3_S6_PKS8_SC_S6_SE_S9_SC_S6_SE_SC_PS4_PS8_21rocsparse_index_base_SH_SH_SH_bbb
                                        ; -- End function
	.section	.AMDGPU.csdata,"",@progbits
; Kernel info:
; codeLenInByte = 4412
; NumSgprs: 66
; NumVgprs: 40
; NumAgprs: 0
; TotalNumVgprs: 40
; ScratchSize: 0
; MemoryBound: 0
; FloatMode: 240
; IeeeMode: 1
; LDSByteSize: 0 bytes/workgroup (compile time only)
; SGPRBlocks: 8
; VGPRBlocks: 4
; NumSGPRsForWavesPerEU: 66
; NumVGPRsForWavesPerEU: 40
; AccumOffset: 40
; Occupancy: 8
; WaveLimiterHint : 1
; COMPUTE_PGM_RSRC2:SCRATCH_EN: 0
; COMPUTE_PGM_RSRC2:USER_SGPR: 6
; COMPUTE_PGM_RSRC2:TRAP_HANDLER: 0
; COMPUTE_PGM_RSRC2:TGID_X_EN: 1
; COMPUTE_PGM_RSRC2:TGID_Y_EN: 0
; COMPUTE_PGM_RSRC2:TGID_Z_EN: 0
; COMPUTE_PGM_RSRC2:TIDIG_COMP_CNT: 0
; COMPUTE_PGM_RSRC3_GFX90A:ACCUM_OFFSET: 9
; COMPUTE_PGM_RSRC3_GFX90A:TG_SPLIT: 0
	.section	.text._ZN9rocsparseL30bsrgemm_fill_block_per_row_2x2ILj256ELj16ELj512ELj137Eii21rocsparse_complex_numIfEEEv20rocsparse_direction_T4_S4_PKS4_S6_NS_24const_host_device_scalarIT5_EEPKT3_S6_PKS8_SC_S6_SE_S9_SC_S6_SE_SC_PS4_PS8_21rocsparse_index_base_SH_SH_SH_bbb,"axG",@progbits,_ZN9rocsparseL30bsrgemm_fill_block_per_row_2x2ILj256ELj16ELj512ELj137Eii21rocsparse_complex_numIfEEEv20rocsparse_direction_T4_S4_PKS4_S6_NS_24const_host_device_scalarIT5_EEPKT3_S6_PKS8_SC_S6_SE_S9_SC_S6_SE_SC_PS4_PS8_21rocsparse_index_base_SH_SH_SH_bbb,comdat
	.globl	_ZN9rocsparseL30bsrgemm_fill_block_per_row_2x2ILj256ELj16ELj512ELj137Eii21rocsparse_complex_numIfEEEv20rocsparse_direction_T4_S4_PKS4_S6_NS_24const_host_device_scalarIT5_EEPKT3_S6_PKS8_SC_S6_SE_S9_SC_S6_SE_SC_PS4_PS8_21rocsparse_index_base_SH_SH_SH_bbb ; -- Begin function _ZN9rocsparseL30bsrgemm_fill_block_per_row_2x2ILj256ELj16ELj512ELj137Eii21rocsparse_complex_numIfEEEv20rocsparse_direction_T4_S4_PKS4_S6_NS_24const_host_device_scalarIT5_EEPKT3_S6_PKS8_SC_S6_SE_S9_SC_S6_SE_SC_PS4_PS8_21rocsparse_index_base_SH_SH_SH_bbb
	.p2align	8
	.type	_ZN9rocsparseL30bsrgemm_fill_block_per_row_2x2ILj256ELj16ELj512ELj137Eii21rocsparse_complex_numIfEEEv20rocsparse_direction_T4_S4_PKS4_S6_NS_24const_host_device_scalarIT5_EEPKT3_S6_PKS8_SC_S6_SE_S9_SC_S6_SE_SC_PS4_PS8_21rocsparse_index_base_SH_SH_SH_bbb,@function
_ZN9rocsparseL30bsrgemm_fill_block_per_row_2x2ILj256ELj16ELj512ELj137Eii21rocsparse_complex_numIfEEEv20rocsparse_direction_T4_S4_PKS4_S6_NS_24const_host_device_scalarIT5_EEPKT3_S6_PKS8_SC_S6_SE_S9_SC_S6_SE_SC_PS4_PS8_21rocsparse_index_base_SH_SH_SH_bbb: ; @_ZN9rocsparseL30bsrgemm_fill_block_per_row_2x2ILj256ELj16ELj512ELj137Eii21rocsparse_complex_numIfEEEv20rocsparse_direction_T4_S4_PKS4_S6_NS_24const_host_device_scalarIT5_EEPKT3_S6_PKS8_SC_S6_SE_S9_SC_S6_SE_SC_PS4_PS8_21rocsparse_index_base_SH_SH_SH_bbb
; %bb.0:
	s_load_dwordx8 s[8:15], s[4:5], 0x68
	s_load_dwordx8 s[16:23], s[4:5], 0x48
	s_load_dword s7, s[4:5], 0xa0
	s_load_dwordx4 s[40:43], s[4:5], 0x10
	s_load_dwordx8 s[24:31], s[4:5], 0x28
	s_load_dwordx2 s[2:3], s[4:5], 0x88
	s_load_dwordx4 s[36:39], s[4:5], 0x90
	s_waitcnt lgkmcnt(0)
	s_bitcmp1_b32 s7, 0
	s_cselect_b64 s[46:47], -1, 0
	s_bitcmp1_b32 s7, 16
	s_cselect_b64 s[0:1], -1, 0
	s_xor_b64 s[0:1], s[0:1], -1
	v_cndmask_b32_e64 v1, 0, 1, s[0:1]
	s_mov_b32 s35, 0
	s_bitcmp0_b32 s7, 0
	v_cmp_ne_u32_e64 s[0:1], 1, v1
	s_mov_b32 s58, 0
	s_cbranch_scc1 .LBB51_5
; %bb.1:
	s_load_dwordx2 s[34:35], s[4:5], 0x20
	s_and_b64 vcc, exec, s[0:1]
	s_waitcnt lgkmcnt(0)
	s_mov_b32 s58, s34
	s_cbranch_vccnz .LBB51_3
; %bb.2:
	s_load_dword s58, s[34:35], 0x0
.LBB51_3:
	s_and_b64 vcc, exec, s[0:1]
	s_cbranch_vccnz .LBB51_5
; %bb.4:
	s_load_dword s35, s[34:35], 0x4
.LBB51_5:
	s_bitcmp1_b32 s7, 8
	s_cselect_b64 s[44:45], -1, 0
	s_bfe_u32 s7, s7, 0x10008
	s_mov_b32 s56, 0
	s_cmp_eq_u32 s7, 0
	s_mov_b32 s34, 0
	s_cbranch_scc1 .LBB51_11
; %bb.6:
	s_and_b64 vcc, exec, s[0:1]
	s_mov_b32 s34, s20
	s_cbranch_vccnz .LBB51_8
; %bb.7:
	s_load_dword s34, s[20:21], 0x0
.LBB51_8:
	s_and_b64 vcc, exec, s[0:1]
	s_cbranch_vccnz .LBB51_10
; %bb.9:
	s_load_dword s21, s[20:21], 0x4
.LBB51_10:
	s_waitcnt lgkmcnt(0)
	s_mov_b32 s56, s21
.LBB51_11:
	s_load_dword s33, s[4:5], 0x8
	s_movk_i32 s0, 0x200
	v_cmp_gt_u32_e64 s[0:1], s0, v0
	s_and_saveexec_b64 s[20:21], s[0:1]
	s_cbranch_execz .LBB51_18
; %bb.12:
	s_mov_b32 s7, 0
	v_lshl_add_u32 v1, v0, 2, 0
	s_mov_b64 s[48:49], 0
	s_branch .LBB51_14
.LBB51_13:                              ;   in Loop: Header=BB51_14 Depth=1
	s_or_b64 exec, exec, s[52:53]
	s_add_i32 s7, s7, 2
	v_cmp_eq_u32_e64 s[50:51], 2, s7
	s_or_b64 s[48:49], s[50:51], s[48:49]
	v_add_u32_e32 v1, 0x800, v1
	s_andn2_b64 exec, exec, s[48:49]
	s_cbranch_execz .LBB51_18
.LBB51_14:                              ; =>This Inner Loop Header: Depth=1
	s_or_b32 s50, s7, 1
	v_cmp_le_u32_e64 s[50:51], s50, 1
	v_cmp_le_u32_e64 s[54:55], s7, 1
	s_and_saveexec_b64 s[52:53], s[54:55]
	s_cbranch_execz .LBB51_16
; %bb.15:                               ;   in Loop: Header=BB51_14 Depth=1
	s_waitcnt lgkmcnt(0)
	v_mov_b32_e32 v2, s33
	ds_write_b32 v1, v2
.LBB51_16:                              ;   in Loop: Header=BB51_14 Depth=1
	s_or_b64 exec, exec, s[52:53]
	s_and_saveexec_b64 s[52:53], s[50:51]
	s_cbranch_execz .LBB51_13
; %bb.17:                               ;   in Loop: Header=BB51_14 Depth=1
	s_waitcnt lgkmcnt(0)
	v_mov_b32_e32 v2, s33
	ds_write_b32 v1, v2 offset:1024
	s_branch .LBB51_13
.LBB51_18:
	s_or_b64 exec, exec, s[20:21]
	v_lshl_add_u32 v1, v0, 3, 0
	v_add_u32_e32 v1, 0x800, v1
	v_or_b32_e32 v2, 0xffffff00, v0
	s_mov_b64 s[20:21], 0
	v_mov_b32_e32 v3, 0
	s_movk_i32 s7, 0x6ff
.LBB51_19:                              ; =>This Inner Loop Header: Depth=1
	v_add_u32_e32 v2, 0x100, v2
	v_cmp_lt_u32_e32 vcc, s7, v2
	ds_write2_b32 v1, v3, v3 offset1:1
	s_or_b64 s[20:21], vcc, s[20:21]
	v_add_u32_e32 v1, 0x800, v1
	s_andn2_b64 exec, exec, s[20:21]
	s_cbranch_execnz .LBB51_19
; %bb.20:
	s_or_b64 exec, exec, s[20:21]
	s_cmp_lg_u64 s[42:43], 0
	s_waitcnt lgkmcnt(0)
	s_barrier
	s_cbranch_scc0 .LBB51_22
; %bb.21:
	s_load_dword s7, s[40:41], 0x0
	s_waitcnt lgkmcnt(0)
	s_add_i32 s6, s7, s6
	s_mov_b32 s7, 0
	s_lshl_b64 s[6:7], s[6:7], 2
	s_add_u32 s6, s42, s6
	s_addc_u32 s7, s43, s7
	s_load_dword s6, s[6:7], 0x0
.LBB51_22:
	s_nop 0
	s_load_dword s57, s[4:5], 0x0
	s_andn2_b64 vcc, exec, s[46:47]
	s_waitcnt lgkmcnt(0)
	s_ashr_i32 s7, s6, 31
	s_cbranch_vccnz .LBB51_78
; %bb.23:
	s_lshl_b64 s[4:5], s[6:7], 2
	s_add_u32 s4, s24, s4
	s_addc_u32 s5, s25, s5
	s_load_dwordx2 s[4:5], s[4:5], 0x0
	v_lshrrev_b32_e32 v1, 4, v0
	v_subrev_u32_e32 v1, s36, v1
	s_waitcnt lgkmcnt(0)
	s_sub_i32 s59, s5, s36
	v_add_u32_e32 v2, s4, v1
	v_cmp_gt_i32_e32 vcc, s59, v2
	s_and_saveexec_b64 s[4:5], vcc
	s_cbranch_execz .LBB51_77
; %bb.24:
	v_and_b32_e32 v1, 15, v0
	s_cmp_eq_u32 s57, 0
	v_subrev_u32_e32 v1, s37, v1
	s_cselect_b32 s60, 2, 1
	s_cselect_b32 s61, 1, 2
	s_mov_b64 s[20:21], 0
	v_mov_b32_e32 v15, s27
	v_mov_b32_e32 v16, s31
	s_movk_i32 s27, 0x89
	s_branch .LBB51_26
.LBB51_25:                              ;   in Loop: Header=BB51_26 Depth=1
	s_or_b64 exec, exec, s[24:25]
	v_add_u32_e32 v2, 16, v2
	v_cmp_le_i32_e32 vcc, s59, v2
	s_or_b64 s[20:21], vcc, s[20:21]
	s_andn2_b64 exec, exec, s[20:21]
	s_cbranch_execz .LBB51_77
.LBB51_26:                              ; =>This Loop Header: Depth=1
                                        ;     Child Loop BB51_29 Depth 2
                                        ;       Child Loop BB51_31 Depth 3
                                        ;       Child Loop BB51_43 Depth 3
	;; [unrolled: 1-line block ×4, first 2 shown]
	v_ashrrev_i32_e32 v3, 31, v2
	v_lshlrev_b64 v[4:5], 2, v[2:3]
	v_add_co_u32_e32 v4, vcc, s26, v4
	v_addc_co_u32_e32 v5, vcc, v15, v5, vcc
	global_load_dword v3, v[4:5], off
	s_waitcnt vmcnt(0)
	v_subrev_u32_e32 v4, s36, v3
	v_ashrrev_i32_e32 v5, 31, v4
	v_lshlrev_b64 v[4:5], 2, v[4:5]
	v_add_co_u32_e32 v4, vcc, s30, v4
	v_addc_co_u32_e32 v5, vcc, v16, v5, vcc
	global_load_dwordx2 v[4:5], v[4:5], off
	s_waitcnt vmcnt(0)
	v_subrev_u32_e32 v3, s37, v5
	v_add_u32_e32 v4, v4, v1
	v_cmp_lt_i32_e32 vcc, v4, v3
	s_and_saveexec_b64 s[24:25], vcc
	s_cbranch_execz .LBB51_25
; %bb.27:                               ;   in Loop: Header=BB51_26 Depth=1
	v_lshlrev_b32_e32 v6, 2, v2
	v_ashrrev_i32_e32 v7, 31, v6
	v_lshlrev_b64 v[8:9], 3, v[6:7]
	v_or_b32_e32 v12, s60, v6
	v_mov_b32_e32 v5, s29
	v_add_co_u32_e32 v8, vcc, s28, v8
	v_ashrrev_i32_e32 v13, 31, v12
	v_addc_co_u32_e32 v9, vcc, v5, v9, vcc
	v_lshlrev_b64 v[12:13], 3, v[12:13]
	v_or_b32_e32 v6, s61, v6
	v_add_co_u32_e32 v12, vcc, s28, v12
	v_ashrrev_i32_e32 v7, 31, v6
	v_addc_co_u32_e32 v13, vcc, v5, v13, vcc
	v_lshlrev_b64 v[6:7], 3, v[6:7]
	v_add_co_u32_e32 v6, vcc, s28, v6
	global_load_dwordx2 v[10:11], v[8:9], off
	v_addc_co_u32_e32 v7, vcc, v5, v7, vcc
	global_load_dwordx2 v[12:13], v[12:13], off
	s_nop 0
	global_load_dwordx2 v[26:27], v[6:7], off
	global_load_dwordx2 v[28:29], v[8:9], off offset:24
	s_mov_b64 s[40:41], 0
	s_waitcnt vmcnt(3)
	v_mul_f32_e64 v17, v11, -s35
	v_mul_f32_e32 v18, s58, v11
	s_waitcnt vmcnt(2)
	v_mul_f32_e64 v19, v13, -s35
	v_mul_f32_e32 v20, s58, v13
	s_waitcnt vmcnt(0)
	v_mul_f32_e32 v21, s58, v29
	v_mul_f32_e64 v22, v29, -s35
	v_mul_f32_e32 v23, s58, v27
	v_mul_f32_e64 v24, v27, -s35
	v_fmac_f32_e32 v17, s58, v10
	v_fmac_f32_e32 v18, s35, v10
	;; [unrolled: 1-line block ×8, first 2 shown]
	s_branch .LBB51_29
.LBB51_28:                              ;   in Loop: Header=BB51_29 Depth=2
	s_or_b64 exec, exec, s[42:43]
	v_add_u32_e32 v4, 16, v4
	v_cmp_ge_i32_e32 vcc, v4, v3
	s_or_b64 s[40:41], vcc, s[40:41]
	s_andn2_b64 exec, exec, s[40:41]
	s_cbranch_execz .LBB51_25
.LBB51_29:                              ;   Parent Loop BB51_26 Depth=1
                                        ; =>  This Loop Header: Depth=2
                                        ;       Child Loop BB51_31 Depth 3
                                        ;       Child Loop BB51_43 Depth 3
                                        ;       Child Loop BB51_55 Depth 3
                                        ;       Child Loop BB51_67 Depth 3
	v_ashrrev_i32_e32 v5, 31, v4
	v_lshlrev_b64 v[6:7], 2, v[4:5]
	v_mov_b32_e32 v5, s17
	v_add_co_u32_e32 v6, vcc, s16, v6
	v_addc_co_u32_e32 v7, vcc, v5, v7, vcc
	global_load_dword v5, v[6:7], off
	v_lshlrev_b32_e32 v6, 2, v4
	v_or_b32_e32 v10, s60, v6
	v_ashrrev_i32_e32 v11, 31, v10
	v_lshlrev_b64 v[10:11], 3, v[10:11]
	v_ashrrev_i32_e32 v7, 31, v6
	v_mov_b32_e32 v14, s19
	v_add_co_u32_e32 v10, vcc, s18, v10
	v_or_b32_e32 v8, s61, v6
	v_lshlrev_b64 v[6:7], 3, v[6:7]
	v_addc_co_u32_e32 v11, vcc, v14, v11, vcc
	global_load_dwordx2 v[12:13], v[10:11], off
	v_add_co_u32_e32 v26, vcc, s18, v6
	v_ashrrev_i32_e32 v9, 31, v8
	v_addc_co_u32_e32 v27, vcc, v14, v7, vcc
	v_lshlrev_b64 v[6:7], 3, v[8:9]
	global_load_dwordx2 v[10:11], v[26:27], off
	v_add_co_u32_e32 v6, vcc, s18, v6
	v_addc_co_u32_e32 v7, vcc, v14, v7, vcc
	global_load_dwordx2 v[6:7], v[6:7], off
	s_nop 0
	global_load_dwordx2 v[8:9], v[26:27], off offset:24
	s_mov_b64 s[42:43], 0
	s_waitcnt vmcnt(4)
	v_subrev_u32_e32 v5, s37, v5
	v_mul_lo_u32 v14, v5, s27
	v_and_b32_e32 v25, 0x1ff, v14
	v_mov_b32_e32 v28, v25
	s_waitcnt vmcnt(3)
	v_mul_f32_e64 v27, v13, -v23
	v_mul_f32_e32 v26, v24, v13
	v_fmac_f32_e32 v27, v24, v12
	v_fmac_f32_e32 v26, v23, v12
	s_waitcnt vmcnt(2)
	v_fmac_f32_e32 v27, v17, v10
	v_fmac_f32_e32 v26, v18, v10
	v_fma_f32 v27, -v18, v11, v27
	v_fmac_f32_e32 v26, v17, v11
	s_branch .LBB51_31
.LBB51_30:                              ;   in Loop: Header=BB51_31 Depth=3
	s_or_b64 exec, exec, s[46:47]
	s_xor_b64 s[46:47], s[48:49], -1
	s_and_b64 s[46:47], exec, s[46:47]
	s_or_b64 s[42:43], s[46:47], s[42:43]
	s_andn2_b64 exec, exec, s[42:43]
	s_cbranch_execz .LBB51_41
.LBB51_31:                              ;   Parent Loop BB51_26 Depth=1
                                        ;     Parent Loop BB51_29 Depth=2
                                        ; =>    This Inner Loop Header: Depth=3
	v_lshl_add_u32 v14, v28, 2, 0
	ds_read_b32 v29, v14
                                        ; implicit-def: $sgpr48_sgpr49
	s_waitcnt lgkmcnt(0)
	v_cmp_ne_u32_e32 vcc, v29, v5
	s_and_saveexec_b64 s[46:47], vcc
	s_xor_b64 s[46:47], exec, s[46:47]
	s_cbranch_execz .LBB51_39
; %bb.32:                               ;   in Loop: Header=BB51_31 Depth=3
	v_cmp_ne_u32_e32 vcc, s33, v29
                                        ; implicit-def: $sgpr48_sgpr49
	s_and_saveexec_b64 s[50:51], vcc
	s_xor_b64 s[50:51], exec, s[50:51]
; %bb.33:                               ;   in Loop: Header=BB51_31 Depth=3
	v_add_u32_e32 v14, 1, v28
	v_and_b32_e32 v28, 0x1ff, v14
	s_mov_b64 s[48:49], -1
                                        ; implicit-def: $vgpr14
; %bb.34:                               ;   in Loop: Header=BB51_31 Depth=3
	s_andn2_saveexec_b64 s[50:51], s[50:51]
	s_cbranch_execz .LBB51_38
; %bb.35:                               ;   in Loop: Header=BB51_31 Depth=3
	v_mov_b32_e32 v29, s33
	ds_cmpst_rtn_b32 v29, v14, v29, v5
	s_mov_b64 s[54:55], -1
	s_waitcnt lgkmcnt(0)
	v_cmp_eq_u32_e32 vcc, s33, v29
	s_and_saveexec_b64 s[52:53], vcc
	s_cbranch_execz .LBB51_37
; %bb.36:                               ;   in Loop: Header=BB51_31 Depth=3
	v_mad_u64_u32 v[30:31], s[54:55], v28, 28, v[14:15]
	ds_add_f32 v30, v27 offset:2048
	ds_add_f32 v30, v26 offset:2052
	s_xor_b64 s[54:55], exec, -1
.LBB51_37:                              ;   in Loop: Header=BB51_31 Depth=3
	s_or_b64 exec, exec, s[52:53]
	s_andn2_b64 s[48:49], s[48:49], exec
	s_and_b64 s[52:53], s[54:55], exec
	s_or_b64 s[48:49], s[48:49], s[52:53]
.LBB51_38:                              ;   in Loop: Header=BB51_31 Depth=3
	s_or_b64 exec, exec, s[50:51]
	s_and_b64 s[48:49], s[48:49], exec
                                        ; implicit-def: $vgpr14
.LBB51_39:                              ;   in Loop: Header=BB51_31 Depth=3
	s_andn2_saveexec_b64 s[46:47], s[46:47]
	s_cbranch_execz .LBB51_30
; %bb.40:                               ;   in Loop: Header=BB51_31 Depth=3
	v_mad_u64_u32 v[30:31], s[50:51], v28, 28, v[14:15]
	ds_add_f32 v30, v27 offset:2048
	ds_add_f32 v30, v26 offset:2052
	s_andn2_b64 s[48:49], s[48:49], exec
	s_branch .LBB51_30
.LBB51_41:                              ;   in Loop: Header=BB51_29 Depth=2
	s_or_b64 exec, exec, s[42:43]
	s_waitcnt vmcnt(0)
	v_mul_f32_e64 v14, v9, -v23
	v_mul_f32_e32 v26, v24, v9
	v_fmac_f32_e32 v14, v24, v8
	v_fmac_f32_e32 v26, v23, v8
	;; [unrolled: 1-line block ×4, first 2 shown]
	v_fma_f32 v27, -v18, v7, v14
	v_fmac_f32_e32 v26, v17, v7
	s_mov_b64 s[42:43], 0
	v_mov_b32_e32 v28, v25
	s_branch .LBB51_43
.LBB51_42:                              ;   in Loop: Header=BB51_43 Depth=3
	s_or_b64 exec, exec, s[46:47]
	s_xor_b64 s[46:47], s[48:49], -1
	s_and_b64 s[46:47], exec, s[46:47]
	s_or_b64 s[42:43], s[46:47], s[42:43]
	s_andn2_b64 exec, exec, s[42:43]
	s_cbranch_execz .LBB51_53
.LBB51_43:                              ;   Parent Loop BB51_26 Depth=1
                                        ;     Parent Loop BB51_29 Depth=2
                                        ; =>    This Inner Loop Header: Depth=3
	v_lshl_add_u32 v14, v28, 2, 0
	ds_read_b32 v29, v14
                                        ; implicit-def: $sgpr48_sgpr49
	s_waitcnt lgkmcnt(0)
	v_cmp_ne_u32_e32 vcc, v29, v5
	s_and_saveexec_b64 s[46:47], vcc
	s_xor_b64 s[46:47], exec, s[46:47]
	s_cbranch_execz .LBB51_51
; %bb.44:                               ;   in Loop: Header=BB51_43 Depth=3
	v_cmp_ne_u32_e32 vcc, s33, v29
                                        ; implicit-def: $sgpr48_sgpr49
	s_and_saveexec_b64 s[50:51], vcc
	s_xor_b64 s[50:51], exec, s[50:51]
; %bb.45:                               ;   in Loop: Header=BB51_43 Depth=3
	v_add_u32_e32 v14, 1, v28
	v_and_b32_e32 v28, 0x1ff, v14
	s_mov_b64 s[48:49], -1
                                        ; implicit-def: $vgpr14
; %bb.46:                               ;   in Loop: Header=BB51_43 Depth=3
	s_andn2_saveexec_b64 s[50:51], s[50:51]
	s_cbranch_execz .LBB51_50
; %bb.47:                               ;   in Loop: Header=BB51_43 Depth=3
	v_mov_b32_e32 v29, s33
	ds_cmpst_rtn_b32 v29, v14, v29, v5
	s_mov_b64 s[54:55], -1
	s_waitcnt lgkmcnt(0)
	v_cmp_eq_u32_e32 vcc, s33, v29
	s_and_saveexec_b64 s[52:53], vcc
	s_cbranch_execz .LBB51_49
; %bb.48:                               ;   in Loop: Header=BB51_43 Depth=3
	v_mad_u64_u32 v[30:31], s[54:55], v28, 28, v[14:15]
	ds_add_f32 v30, v27 offset:2056
	ds_add_f32 v30, v26 offset:2060
	s_xor_b64 s[54:55], exec, -1
.LBB51_49:                              ;   in Loop: Header=BB51_43 Depth=3
	s_or_b64 exec, exec, s[52:53]
	s_andn2_b64 s[48:49], s[48:49], exec
	s_and_b64 s[52:53], s[54:55], exec
	s_or_b64 s[48:49], s[48:49], s[52:53]
.LBB51_50:                              ;   in Loop: Header=BB51_43 Depth=3
	s_or_b64 exec, exec, s[50:51]
	s_and_b64 s[48:49], s[48:49], exec
                                        ; implicit-def: $vgpr14
.LBB51_51:                              ;   in Loop: Header=BB51_43 Depth=3
	s_andn2_saveexec_b64 s[46:47], s[46:47]
	s_cbranch_execz .LBB51_42
; %bb.52:                               ;   in Loop: Header=BB51_43 Depth=3
	v_mad_u64_u32 v[30:31], s[50:51], v28, 28, v[14:15]
	ds_add_f32 v30, v27 offset:2056
	ds_add_f32 v30, v26 offset:2060
	s_andn2_b64 s[48:49], s[48:49], exec
	s_branch .LBB51_42
.LBB51_53:                              ;   in Loop: Header=BB51_29 Depth=2
	s_or_b64 exec, exec, s[42:43]
	v_mul_f32_e64 v14, v13, -v21
	v_mul_f32_e32 v13, v22, v13
	v_fmac_f32_e32 v14, v22, v12
	v_fmac_f32_e32 v13, v21, v12
	;; [unrolled: 1-line block ×4, first 2 shown]
	v_fma_f32 v12, -v20, v11, v14
	v_fmac_f32_e32 v13, v19, v11
	s_mov_b64 s[42:43], 0
	v_mov_b32_e32 v11, v25
	s_branch .LBB51_55
.LBB51_54:                              ;   in Loop: Header=BB51_55 Depth=3
	s_or_b64 exec, exec, s[46:47]
	s_xor_b64 s[46:47], s[48:49], -1
	s_and_b64 s[46:47], exec, s[46:47]
	s_or_b64 s[42:43], s[46:47], s[42:43]
	s_andn2_b64 exec, exec, s[42:43]
	s_cbranch_execz .LBB51_65
.LBB51_55:                              ;   Parent Loop BB51_26 Depth=1
                                        ;     Parent Loop BB51_29 Depth=2
                                        ; =>    This Inner Loop Header: Depth=3
	v_lshl_add_u32 v10, v11, 2, 0
	ds_read_b32 v14, v10
                                        ; implicit-def: $sgpr48_sgpr49
	s_waitcnt lgkmcnt(0)
	v_cmp_ne_u32_e32 vcc, v14, v5
	s_and_saveexec_b64 s[46:47], vcc
	s_xor_b64 s[46:47], exec, s[46:47]
	s_cbranch_execz .LBB51_63
; %bb.56:                               ;   in Loop: Header=BB51_55 Depth=3
	v_cmp_ne_u32_e32 vcc, s33, v14
                                        ; implicit-def: $sgpr48_sgpr49
	s_and_saveexec_b64 s[50:51], vcc
	s_xor_b64 s[50:51], exec, s[50:51]
; %bb.57:                               ;   in Loop: Header=BB51_55 Depth=3
	v_add_u32_e32 v10, 1, v11
	v_and_b32_e32 v11, 0x1ff, v10
	s_mov_b64 s[48:49], -1
                                        ; implicit-def: $vgpr10
; %bb.58:                               ;   in Loop: Header=BB51_55 Depth=3
	s_andn2_saveexec_b64 s[50:51], s[50:51]
	s_cbranch_execz .LBB51_62
; %bb.59:                               ;   in Loop: Header=BB51_55 Depth=3
	v_mov_b32_e32 v14, s33
	ds_cmpst_rtn_b32 v14, v10, v14, v5
	s_mov_b64 s[54:55], -1
	s_waitcnt lgkmcnt(0)
	v_cmp_eq_u32_e32 vcc, s33, v14
	s_and_saveexec_b64 s[52:53], vcc
	s_cbranch_execz .LBB51_61
; %bb.60:                               ;   in Loop: Header=BB51_55 Depth=3
	v_mad_u64_u32 v[26:27], s[54:55], v11, 28, v[10:11]
	ds_add_f32 v26, v12 offset:2064
	ds_add_f32 v26, v13 offset:2068
	s_xor_b64 s[54:55], exec, -1
.LBB51_61:                              ;   in Loop: Header=BB51_55 Depth=3
	s_or_b64 exec, exec, s[52:53]
	s_andn2_b64 s[48:49], s[48:49], exec
	s_and_b64 s[52:53], s[54:55], exec
	s_or_b64 s[48:49], s[48:49], s[52:53]
.LBB51_62:                              ;   in Loop: Header=BB51_55 Depth=3
	s_or_b64 exec, exec, s[50:51]
	s_and_b64 s[48:49], s[48:49], exec
                                        ; implicit-def: $vgpr10
.LBB51_63:                              ;   in Loop: Header=BB51_55 Depth=3
	s_andn2_saveexec_b64 s[46:47], s[46:47]
	s_cbranch_execz .LBB51_54
; %bb.64:                               ;   in Loop: Header=BB51_55 Depth=3
	v_mad_u64_u32 v[26:27], s[50:51], v11, 28, v[10:11]
	ds_add_f32 v26, v12 offset:2064
	ds_add_f32 v26, v13 offset:2068
	s_andn2_b64 s[48:49], s[48:49], exec
	s_branch .LBB51_54
.LBB51_65:                              ;   in Loop: Header=BB51_29 Depth=2
	s_or_b64 exec, exec, s[42:43]
	v_mul_f32_e64 v10, v9, -v21
	v_mul_f32_e32 v9, v22, v9
	v_fmac_f32_e32 v10, v22, v8
	v_fmac_f32_e32 v9, v21, v8
	v_fmac_f32_e32 v10, v19, v6
	v_fmac_f32_e32 v9, v20, v6
	v_fma_f32 v8, -v20, v7, v10
	v_fmac_f32_e32 v9, v19, v7
	s_mov_b64 s[42:43], 0
	s_branch .LBB51_67
.LBB51_66:                              ;   in Loop: Header=BB51_67 Depth=3
	s_or_b64 exec, exec, s[46:47]
	s_xor_b64 s[46:47], s[48:49], -1
	s_and_b64 s[46:47], exec, s[46:47]
	s_or_b64 s[42:43], s[46:47], s[42:43]
	s_andn2_b64 exec, exec, s[42:43]
	s_cbranch_execz .LBB51_28
.LBB51_67:                              ;   Parent Loop BB51_26 Depth=1
                                        ;     Parent Loop BB51_29 Depth=2
                                        ; =>    This Inner Loop Header: Depth=3
	v_lshl_add_u32 v6, v25, 2, 0
	ds_read_b32 v7, v6
                                        ; implicit-def: $sgpr48_sgpr49
	s_waitcnt lgkmcnt(0)
	v_cmp_ne_u32_e32 vcc, v7, v5
	s_and_saveexec_b64 s[46:47], vcc
	s_xor_b64 s[46:47], exec, s[46:47]
	s_cbranch_execz .LBB51_75
; %bb.68:                               ;   in Loop: Header=BB51_67 Depth=3
	v_cmp_ne_u32_e32 vcc, s33, v7
                                        ; implicit-def: $sgpr48_sgpr49
	s_and_saveexec_b64 s[50:51], vcc
	s_xor_b64 s[50:51], exec, s[50:51]
; %bb.69:                               ;   in Loop: Header=BB51_67 Depth=3
	v_add_u32_e32 v6, 1, v25
	v_and_b32_e32 v25, 0x1ff, v6
	s_mov_b64 s[48:49], -1
                                        ; implicit-def: $vgpr6
; %bb.70:                               ;   in Loop: Header=BB51_67 Depth=3
	s_andn2_saveexec_b64 s[50:51], s[50:51]
	s_cbranch_execz .LBB51_74
; %bb.71:                               ;   in Loop: Header=BB51_67 Depth=3
	v_mov_b32_e32 v7, s33
	ds_cmpst_rtn_b32 v7, v6, v7, v5
	s_mov_b64 s[54:55], -1
	s_waitcnt lgkmcnt(0)
	v_cmp_eq_u32_e32 vcc, s33, v7
	s_and_saveexec_b64 s[52:53], vcc
	s_cbranch_execz .LBB51_73
; %bb.72:                               ;   in Loop: Header=BB51_67 Depth=3
	v_mad_u64_u32 v[6:7], s[54:55], v25, 28, v[6:7]
	ds_add_f32 v6, v8 offset:2072
	ds_add_f32 v6, v9 offset:2076
	s_xor_b64 s[54:55], exec, -1
.LBB51_73:                              ;   in Loop: Header=BB51_67 Depth=3
	s_or_b64 exec, exec, s[52:53]
	s_andn2_b64 s[48:49], s[48:49], exec
	s_and_b64 s[52:53], s[54:55], exec
	s_or_b64 s[48:49], s[48:49], s[52:53]
.LBB51_74:                              ;   in Loop: Header=BB51_67 Depth=3
	s_or_b64 exec, exec, s[50:51]
	s_and_b64 s[48:49], s[48:49], exec
                                        ; implicit-def: $vgpr6
.LBB51_75:                              ;   in Loop: Header=BB51_67 Depth=3
	s_andn2_saveexec_b64 s[46:47], s[46:47]
	s_cbranch_execz .LBB51_66
; %bb.76:                               ;   in Loop: Header=BB51_67 Depth=3
	v_mad_u64_u32 v[6:7], s[50:51], v25, 28, v[6:7]
	ds_add_f32 v6, v8 offset:2072
	ds_add_f32 v6, v9 offset:2076
	s_andn2_b64 s[48:49], s[48:49], exec
	s_branch .LBB51_66
.LBB51_77:
	s_or_b64 exec, exec, s[4:5]
.LBB51_78:
	s_andn2_b64 vcc, exec, s[44:45]
	s_waitcnt lgkmcnt(0)
	s_barrier
	s_cbranch_vccnz .LBB51_131
; %bb.79:
	s_lshl_b64 s[4:5], s[6:7], 2
	s_add_u32 s4, s22, s4
	s_addc_u32 s5, s23, s5
	s_load_dwordx2 s[4:5], s[4:5], 0x0
	v_subrev_u32_e32 v1, s39, v0
	s_waitcnt lgkmcnt(0)
	s_sub_i32 s30, s5, s39
	v_add_u32_e32 v2, s4, v1
	v_cmp_gt_i32_e32 vcc, s30, v2
	s_and_saveexec_b64 s[4:5], vcc
	s_cbranch_execz .LBB51_130
; %bb.80:
	s_cmp_eq_u32 s57, 0
	s_cselect_b32 s31, 1, 2
	s_cselect_b32 s35, 2, 1
	s_mov_b64 s[16:17], 0
	v_mov_b32_e32 v1, s11
	v_mov_b32_e32 v11, s9
	s_movk_i32 s9, 0x89
	s_branch .LBB51_82
.LBB51_81:                              ;   in Loop: Header=BB51_82 Depth=1
	s_or_b64 exec, exec, s[18:19]
	v_add_u32_e32 v2, 0x100, v2
	v_cmp_le_i32_e32 vcc, s30, v2
	s_or_b64 s[16:17], vcc, s[16:17]
	s_andn2_b64 exec, exec, s[16:17]
	s_cbranch_execz .LBB51_130
.LBB51_82:                              ; =>This Loop Header: Depth=1
                                        ;     Child Loop BB51_84 Depth 2
                                        ;     Child Loop BB51_96 Depth 2
	;; [unrolled: 1-line block ×4, first 2 shown]
	v_lshlrev_b32_e32 v4, 2, v2
	v_ashrrev_i32_e32 v5, 31, v4
	v_lshlrev_b64 v[6:7], 3, v[4:5]
	v_add_co_u32_e32 v12, vcc, s10, v6
	v_or_b32_e32 v6, s31, v4
	v_addc_co_u32_e32 v13, vcc, v1, v7, vcc
	v_ashrrev_i32_e32 v7, 31, v6
	v_lshlrev_b64 v[6:7], 3, v[6:7]
	v_ashrrev_i32_e32 v3, 31, v2
	v_add_co_u32_e32 v14, vcc, s10, v6
	v_addc_co_u32_e32 v15, vcc, v1, v7, vcc
	v_lshlrev_b64 v[6:7], 2, v[2:3]
	v_add_co_u32_e32 v6, vcc, s8, v6
	v_or_b32_e32 v4, s35, v4
	v_addc_co_u32_e32 v7, vcc, v11, v7, vcc
	global_load_dword v3, v[6:7], off
	v_ashrrev_i32_e32 v5, 31, v4
	v_lshlrev_b64 v[4:5], 3, v[4:5]
	global_load_dwordx2 v[16:17], v[12:13], off
	v_add_co_u32_e32 v18, vcc, s10, v4
	v_addc_co_u32_e32 v19, vcc, v1, v5, vcc
	global_load_dwordx2 v[4:5], v[12:13], off offset:24
	global_load_dwordx2 v[8:9], v[14:15], off
	global_load_dwordx2 v[6:7], v[18:19], off
	s_mov_b64 s[18:19], 0
	s_waitcnt vmcnt(4)
	v_subrev_u32_e32 v3, s39, v3
	v_mul_lo_u32 v10, v3, s9
	v_and_b32_e32 v12, 0x1ff, v10
	s_waitcnt vmcnt(3)
	v_mul_f32_e64 v13, v17, -s56
	v_mul_f32_e32 v14, s34, v17
	v_fmac_f32_e32 v13, s34, v16
	v_fmac_f32_e32 v14, s56, v16
	v_mov_b32_e32 v15, v12
	s_branch .LBB51_84
.LBB51_83:                              ;   in Loop: Header=BB51_84 Depth=2
	s_or_b64 exec, exec, s[20:21]
	s_xor_b64 s[20:21], s[22:23], -1
	s_and_b64 s[20:21], exec, s[20:21]
	s_or_b64 s[18:19], s[20:21], s[18:19]
	s_andn2_b64 exec, exec, s[18:19]
	s_cbranch_execz .LBB51_94
.LBB51_84:                              ;   Parent Loop BB51_82 Depth=1
                                        ; =>  This Inner Loop Header: Depth=2
	v_lshl_add_u32 v10, v15, 2, 0
	ds_read_b32 v16, v10
                                        ; implicit-def: $sgpr22_sgpr23
	s_waitcnt lgkmcnt(0)
	v_cmp_ne_u32_e32 vcc, v16, v3
	s_and_saveexec_b64 s[20:21], vcc
	s_xor_b64 s[20:21], exec, s[20:21]
	s_cbranch_execz .LBB51_92
; %bb.85:                               ;   in Loop: Header=BB51_84 Depth=2
	v_cmp_ne_u32_e32 vcc, s33, v16
                                        ; implicit-def: $sgpr22_sgpr23
	s_and_saveexec_b64 s[24:25], vcc
	s_xor_b64 s[24:25], exec, s[24:25]
; %bb.86:                               ;   in Loop: Header=BB51_84 Depth=2
	v_add_u32_e32 v10, 1, v15
	v_and_b32_e32 v15, 0x1ff, v10
	s_mov_b64 s[22:23], -1
                                        ; implicit-def: $vgpr10
; %bb.87:                               ;   in Loop: Header=BB51_84 Depth=2
	s_andn2_saveexec_b64 s[24:25], s[24:25]
	s_cbranch_execz .LBB51_91
; %bb.88:                               ;   in Loop: Header=BB51_84 Depth=2
	v_mov_b32_e32 v16, s33
	ds_cmpst_rtn_b32 v16, v10, v16, v3
	s_mov_b64 s[28:29], -1
	s_waitcnt lgkmcnt(0)
	v_cmp_eq_u32_e32 vcc, s33, v16
	s_and_saveexec_b64 s[26:27], vcc
	s_cbranch_execz .LBB51_90
; %bb.89:                               ;   in Loop: Header=BB51_84 Depth=2
	v_mad_u64_u32 v[16:17], s[28:29], v15, 28, v[10:11]
	ds_add_f32 v16, v13 offset:2048
	ds_add_f32 v16, v14 offset:2052
	s_xor_b64 s[28:29], exec, -1
.LBB51_90:                              ;   in Loop: Header=BB51_84 Depth=2
	s_or_b64 exec, exec, s[26:27]
	s_andn2_b64 s[22:23], s[22:23], exec
	s_and_b64 s[26:27], s[28:29], exec
	s_or_b64 s[22:23], s[22:23], s[26:27]
.LBB51_91:                              ;   in Loop: Header=BB51_84 Depth=2
	s_or_b64 exec, exec, s[24:25]
	s_and_b64 s[22:23], s[22:23], exec
                                        ; implicit-def: $vgpr10
.LBB51_92:                              ;   in Loop: Header=BB51_84 Depth=2
	s_andn2_saveexec_b64 s[20:21], s[20:21]
	s_cbranch_execz .LBB51_83
; %bb.93:                               ;   in Loop: Header=BB51_84 Depth=2
	v_mad_u64_u32 v[16:17], s[24:25], v15, 28, v[10:11]
	ds_add_f32 v16, v13 offset:2048
	ds_add_f32 v16, v14 offset:2052
	s_andn2_b64 s[22:23], s[22:23], exec
	s_branch .LBB51_83
.LBB51_94:                              ;   in Loop: Header=BB51_82 Depth=1
	s_or_b64 exec, exec, s[18:19]
	s_waitcnt vmcnt(1)
	v_mul_f32_e64 v10, v9, -s56
	v_mul_f32_e32 v9, s34, v9
	v_fmac_f32_e32 v10, s34, v8
	v_fmac_f32_e32 v9, s56, v8
	s_mov_b64 s[18:19], 0
	v_mov_b32_e32 v13, v12
	s_branch .LBB51_96
.LBB51_95:                              ;   in Loop: Header=BB51_96 Depth=2
	s_or_b64 exec, exec, s[20:21]
	s_xor_b64 s[20:21], s[22:23], -1
	s_and_b64 s[20:21], exec, s[20:21]
	s_or_b64 s[18:19], s[20:21], s[18:19]
	s_andn2_b64 exec, exec, s[18:19]
	s_cbranch_execz .LBB51_106
.LBB51_96:                              ;   Parent Loop BB51_82 Depth=1
                                        ; =>  This Inner Loop Header: Depth=2
	v_lshl_add_u32 v8, v13, 2, 0
	ds_read_b32 v14, v8
                                        ; implicit-def: $sgpr22_sgpr23
	s_waitcnt lgkmcnt(0)
	v_cmp_ne_u32_e32 vcc, v14, v3
	s_and_saveexec_b64 s[20:21], vcc
	s_xor_b64 s[20:21], exec, s[20:21]
	s_cbranch_execz .LBB51_104
; %bb.97:                               ;   in Loop: Header=BB51_96 Depth=2
	v_cmp_ne_u32_e32 vcc, s33, v14
                                        ; implicit-def: $sgpr22_sgpr23
	s_and_saveexec_b64 s[24:25], vcc
	s_xor_b64 s[24:25], exec, s[24:25]
; %bb.98:                               ;   in Loop: Header=BB51_96 Depth=2
	v_add_u32_e32 v8, 1, v13
	v_and_b32_e32 v13, 0x1ff, v8
	s_mov_b64 s[22:23], -1
                                        ; implicit-def: $vgpr8
; %bb.99:                               ;   in Loop: Header=BB51_96 Depth=2
	s_andn2_saveexec_b64 s[24:25], s[24:25]
	s_cbranch_execz .LBB51_103
; %bb.100:                              ;   in Loop: Header=BB51_96 Depth=2
	v_mov_b32_e32 v14, s33
	ds_cmpst_rtn_b32 v14, v8, v14, v3
	s_mov_b64 s[28:29], -1
	s_waitcnt lgkmcnt(0)
	v_cmp_eq_u32_e32 vcc, s33, v14
	s_and_saveexec_b64 s[26:27], vcc
	s_cbranch_execz .LBB51_102
; %bb.101:                              ;   in Loop: Header=BB51_96 Depth=2
	v_mad_u64_u32 v[14:15], s[28:29], v13, 28, v[8:9]
	ds_add_f32 v14, v10 offset:2056
	ds_add_f32 v14, v9 offset:2060
	s_xor_b64 s[28:29], exec, -1
.LBB51_102:                             ;   in Loop: Header=BB51_96 Depth=2
	s_or_b64 exec, exec, s[26:27]
	s_andn2_b64 s[22:23], s[22:23], exec
	s_and_b64 s[26:27], s[28:29], exec
	s_or_b64 s[22:23], s[22:23], s[26:27]
.LBB51_103:                             ;   in Loop: Header=BB51_96 Depth=2
	s_or_b64 exec, exec, s[24:25]
	s_and_b64 s[22:23], s[22:23], exec
                                        ; implicit-def: $vgpr8
.LBB51_104:                             ;   in Loop: Header=BB51_96 Depth=2
	s_andn2_saveexec_b64 s[20:21], s[20:21]
	s_cbranch_execz .LBB51_95
; %bb.105:                              ;   in Loop: Header=BB51_96 Depth=2
	v_mad_u64_u32 v[14:15], s[24:25], v13, 28, v[8:9]
	ds_add_f32 v14, v10 offset:2056
	ds_add_f32 v14, v9 offset:2060
	s_andn2_b64 s[22:23], s[22:23], exec
	s_branch .LBB51_95
.LBB51_106:                             ;   in Loop: Header=BB51_82 Depth=1
	s_or_b64 exec, exec, s[18:19]
	s_waitcnt vmcnt(0)
	v_mul_f32_e64 v8, v7, -s56
	v_mul_f32_e32 v7, s34, v7
	v_fmac_f32_e32 v8, s34, v6
	v_fmac_f32_e32 v7, s56, v6
	s_mov_b64 s[18:19], 0
	v_mov_b32_e32 v9, v12
	s_branch .LBB51_108
.LBB51_107:                             ;   in Loop: Header=BB51_108 Depth=2
	s_or_b64 exec, exec, s[20:21]
	s_xor_b64 s[20:21], s[22:23], -1
	s_and_b64 s[20:21], exec, s[20:21]
	s_or_b64 s[18:19], s[20:21], s[18:19]
	s_andn2_b64 exec, exec, s[18:19]
	s_cbranch_execz .LBB51_118
.LBB51_108:                             ;   Parent Loop BB51_82 Depth=1
                                        ; =>  This Inner Loop Header: Depth=2
	v_lshl_add_u32 v6, v9, 2, 0
	ds_read_b32 v10, v6
                                        ; implicit-def: $sgpr22_sgpr23
	s_waitcnt lgkmcnt(0)
	v_cmp_ne_u32_e32 vcc, v10, v3
	s_and_saveexec_b64 s[20:21], vcc
	s_xor_b64 s[20:21], exec, s[20:21]
	s_cbranch_execz .LBB51_116
; %bb.109:                              ;   in Loop: Header=BB51_108 Depth=2
	v_cmp_ne_u32_e32 vcc, s33, v10
                                        ; implicit-def: $sgpr22_sgpr23
	s_and_saveexec_b64 s[24:25], vcc
	s_xor_b64 s[24:25], exec, s[24:25]
; %bb.110:                              ;   in Loop: Header=BB51_108 Depth=2
	v_add_u32_e32 v6, 1, v9
	v_and_b32_e32 v9, 0x1ff, v6
	s_mov_b64 s[22:23], -1
                                        ; implicit-def: $vgpr6
; %bb.111:                              ;   in Loop: Header=BB51_108 Depth=2
	s_andn2_saveexec_b64 s[24:25], s[24:25]
	s_cbranch_execz .LBB51_115
; %bb.112:                              ;   in Loop: Header=BB51_108 Depth=2
	v_mov_b32_e32 v10, s33
	ds_cmpst_rtn_b32 v10, v6, v10, v3
	s_mov_b64 s[28:29], -1
	s_waitcnt lgkmcnt(0)
	v_cmp_eq_u32_e32 vcc, s33, v10
	s_and_saveexec_b64 s[26:27], vcc
	s_cbranch_execz .LBB51_114
; %bb.113:                              ;   in Loop: Header=BB51_108 Depth=2
	v_mad_u64_u32 v[14:15], s[28:29], v9, 28, v[6:7]
	ds_add_f32 v14, v8 offset:2064
	ds_add_f32 v14, v7 offset:2068
	s_xor_b64 s[28:29], exec, -1
.LBB51_114:                             ;   in Loop: Header=BB51_108 Depth=2
	s_or_b64 exec, exec, s[26:27]
	s_andn2_b64 s[22:23], s[22:23], exec
	s_and_b64 s[26:27], s[28:29], exec
	s_or_b64 s[22:23], s[22:23], s[26:27]
.LBB51_115:                             ;   in Loop: Header=BB51_108 Depth=2
	s_or_b64 exec, exec, s[24:25]
	s_and_b64 s[22:23], s[22:23], exec
                                        ; implicit-def: $vgpr6
.LBB51_116:                             ;   in Loop: Header=BB51_108 Depth=2
	s_andn2_saveexec_b64 s[20:21], s[20:21]
	s_cbranch_execz .LBB51_107
; %bb.117:                              ;   in Loop: Header=BB51_108 Depth=2
	v_mad_u64_u32 v[14:15], s[24:25], v9, 28, v[6:7]
	ds_add_f32 v14, v8 offset:2064
	ds_add_f32 v14, v7 offset:2068
	s_andn2_b64 s[22:23], s[22:23], exec
	s_branch .LBB51_107
.LBB51_118:                             ;   in Loop: Header=BB51_82 Depth=1
	s_or_b64 exec, exec, s[18:19]
	v_mul_f32_e64 v6, v5, -s56
	v_mul_f32_e32 v5, s34, v5
	v_fmac_f32_e32 v6, s34, v4
	v_fmac_f32_e32 v5, s56, v4
	s_mov_b64 s[18:19], 0
	s_branch .LBB51_120
.LBB51_119:                             ;   in Loop: Header=BB51_120 Depth=2
	s_or_b64 exec, exec, s[20:21]
	s_xor_b64 s[20:21], s[22:23], -1
	s_and_b64 s[20:21], exec, s[20:21]
	s_or_b64 s[18:19], s[20:21], s[18:19]
	s_andn2_b64 exec, exec, s[18:19]
	s_cbranch_execz .LBB51_81
.LBB51_120:                             ;   Parent Loop BB51_82 Depth=1
                                        ; =>  This Inner Loop Header: Depth=2
	v_lshl_add_u32 v4, v12, 2, 0
	ds_read_b32 v7, v4
                                        ; implicit-def: $sgpr22_sgpr23
	s_waitcnt lgkmcnt(0)
	v_cmp_ne_u32_e32 vcc, v7, v3
	s_and_saveexec_b64 s[20:21], vcc
	s_xor_b64 s[20:21], exec, s[20:21]
	s_cbranch_execz .LBB51_128
; %bb.121:                              ;   in Loop: Header=BB51_120 Depth=2
	v_cmp_ne_u32_e32 vcc, s33, v7
                                        ; implicit-def: $sgpr22_sgpr23
	s_and_saveexec_b64 s[24:25], vcc
	s_xor_b64 s[24:25], exec, s[24:25]
; %bb.122:                              ;   in Loop: Header=BB51_120 Depth=2
	v_add_u32_e32 v4, 1, v12
	v_and_b32_e32 v12, 0x1ff, v4
	s_mov_b64 s[22:23], -1
                                        ; implicit-def: $vgpr4
; %bb.123:                              ;   in Loop: Header=BB51_120 Depth=2
	s_andn2_saveexec_b64 s[24:25], s[24:25]
	s_cbranch_execz .LBB51_127
; %bb.124:                              ;   in Loop: Header=BB51_120 Depth=2
	v_mov_b32_e32 v7, s33
	ds_cmpst_rtn_b32 v7, v4, v7, v3
	s_mov_b64 s[28:29], -1
	s_waitcnt lgkmcnt(0)
	v_cmp_eq_u32_e32 vcc, s33, v7
	s_and_saveexec_b64 s[26:27], vcc
	s_cbranch_execz .LBB51_126
; %bb.125:                              ;   in Loop: Header=BB51_120 Depth=2
	v_mad_u64_u32 v[8:9], s[28:29], v12, 28, v[4:5]
	ds_add_f32 v8, v6 offset:2072
	ds_add_f32 v8, v5 offset:2076
	s_xor_b64 s[28:29], exec, -1
.LBB51_126:                             ;   in Loop: Header=BB51_120 Depth=2
	s_or_b64 exec, exec, s[26:27]
	s_andn2_b64 s[22:23], s[22:23], exec
	s_and_b64 s[26:27], s[28:29], exec
	s_or_b64 s[22:23], s[22:23], s[26:27]
.LBB51_127:                             ;   in Loop: Header=BB51_120 Depth=2
	s_or_b64 exec, exec, s[24:25]
	s_and_b64 s[22:23], s[22:23], exec
                                        ; implicit-def: $vgpr4
.LBB51_128:                             ;   in Loop: Header=BB51_120 Depth=2
	s_andn2_saveexec_b64 s[20:21], s[20:21]
	s_cbranch_execz .LBB51_119
; %bb.129:                              ;   in Loop: Header=BB51_120 Depth=2
	v_mad_u64_u32 v[8:9], s[24:25], v12, 28, v[4:5]
	ds_add_f32 v8, v6 offset:2072
	ds_add_f32 v8, v5 offset:2076
	s_andn2_b64 s[22:23], s[22:23], exec
	s_branch .LBB51_119
.LBB51_130:
	s_or_b64 exec, exec, s[4:5]
.LBB51_131:
	s_waitcnt lgkmcnt(0)
	s_barrier
	s_and_saveexec_b64 s[4:5], s[0:1]
	s_cbranch_execz .LBB51_138
; %bb.132:
	s_lshl_b64 s[0:1], s[6:7], 2
	s_add_u32 s0, s12, s0
	s_addc_u32 s1, s13, s1
	s_load_dword s0, s[0:1], 0x0
	s_mov_b64 s[4:5], 0
	s_movk_i32 s8, 0x800
	s_movk_i32 s13, 0xff
	s_waitcnt lgkmcnt(0)
	s_sub_i32 s9, s0, s38
	s_cmp_eq_u32 s57, 0
	s_cselect_b32 s10, 1, 2
	s_cselect_b32 s11, 2, 1
	s_add_i32 s12, 0, 0x800
	s_branch .LBB51_134
.LBB51_133:                             ;   in Loop: Header=BB51_134 Depth=1
	s_or_b64 exec, exec, s[6:7]
	v_add_u32_e32 v1, 0x100, v0
	v_cmp_lt_u32_e32 vcc, s13, v0
	s_or_b64 s[4:5], vcc, s[4:5]
	v_mov_b32_e32 v0, v1
	s_andn2_b64 exec, exec, s[4:5]
	s_cbranch_execz .LBB51_138
.LBB51_134:                             ; =>This Loop Header: Depth=1
                                        ;     Child Loop BB51_136 Depth 2
	v_lshl_add_u32 v3, v0, 2, 0
	ds_read_b32 v2, v3
	s_waitcnt lgkmcnt(0)
	v_cmp_gt_i32_e32 vcc, s33, v2
	s_and_saveexec_b64 s[6:7], vcc
	s_cbranch_execz .LBB51_133
; %bb.135:                              ;   in Loop: Header=BB51_134 Depth=1
	v_mov_b32_e32 v1, v2
	s_mov_b32 s16, 0
	v_mov_b32_e32 v5, s9
	v_mov_b32_e32 v4, 0
.LBB51_136:                             ;   Parent Loop BB51_134 Depth=1
                                        ; =>  This Inner Loop Header: Depth=2
	s_add_i32 s0, s16, 0
	v_mov_b32_e32 v36, s0
	ds_read2_b32 v[6:7], v36 offset1:1
	ds_read2_b32 v[8:9], v36 offset0:2 offset1:3
	ds_read2_b32 v[10:11], v36 offset0:4 offset1:5
	;; [unrolled: 1-line block ×15, first 2 shown]
	s_waitcnt lgkmcnt(14)
	v_cmp_gt_i32_e32 vcc, v1, v7
	v_cndmask_b32_e64 v7, 0, 1, vcc
	v_cmp_gt_i32_e32 vcc, v2, v6
	s_waitcnt lgkmcnt(13)
	v_cmp_gt_i32_e64 s[0:1], v2, v10
	v_cndmask_b32_e64 v6, 0, 1, vcc
	v_cmp_gt_i32_e32 vcc, v1, v9
	v_cndmask_b32_e64 v9, 0, 1, s[0:1]
	v_cmp_gt_i32_e64 s[0:1], v1, v11
	v_cndmask_b32_e64 v10, 0, 1, s[0:1]
	s_waitcnt lgkmcnt(11)
	v_cmp_gt_i32_e64 s[0:1], v1, v15
	v_cndmask_b32_e64 v11, 0, 1, s[0:1]
	v_cmp_gt_i32_e64 s[0:1], v2, v14
	v_cndmask_b32_e64 v14, 0, 1, s[0:1]
	s_waitcnt lgkmcnt(9)
	v_cmp_gt_i32_e64 s[0:1], v2, v18
	;; [unrolled: 5-line block ×6, first 2 shown]
	v_cndmask_b32_e64 v31, 0, 1, s[0:1]
	v_cmp_gt_i32_e64 s[0:1], v1, v35
	v_cndmask_b32_e64 v34, 0, 1, s[0:1]
	v_cmp_gt_i32_e64 s[0:1], v2, v8
	v_addc_co_u32_e64 v5, s[0:1], v5, v6, s[0:1]
	v_addc_co_u32_e32 v4, vcc, v4, v7, vcc
	v_cmp_gt_i32_e32 vcc, v2, v12
	v_cmp_gt_i32_e64 s[0:1], v1, v13
	v_addc_co_u32_e64 v4, s[0:1], v4, v10, s[0:1]
	v_addc_co_u32_e32 v5, vcc, v5, v9, vcc
	v_cmp_gt_i32_e32 vcc, v1, v17
	;; [unrolled: 4-line block ×6, first 2 shown]
	v_cmp_gt_i32_e64 s[0:1], v2, v32
	v_addc_co_u32_e64 v5, s[0:1], v5, v30, s[0:1]
	v_addc_co_u32_e32 v4, vcc, v4, v27, vcc
	s_addk_i32 s16, 0x80
	s_waitcnt lgkmcnt(0)
	v_cmp_gt_i32_e32 vcc, v2, v36
	v_cmp_gt_i32_e64 s[0:1], v1, v37
	s_cmpk_lg_i32 s16, 0x800
	v_addc_co_u32_e64 v4, s[0:1], v4, v34, s[0:1]
	v_addc_co_u32_e32 v5, vcc, v5, v31, vcc
	s_cbranch_scc1 .LBB51_136
; %bb.137:                              ;   in Loop: Header=BB51_134 Depth=1
	v_add_u32_e32 v4, v5, v4
	v_ashrrev_i32_e32 v5, 31, v4
	v_lshlrev_b64 v[6:7], 2, v[4:5]
	v_add_u32_e32 v1, s38, v2
	v_mov_b32_e32 v2, s15
	v_add_co_u32_e32 v6, vcc, s14, v6
	v_addc_co_u32_e32 v7, vcc, v2, v7, vcc
	global_store_dword v[6:7], v1, off
	v_lshlrev_b32_e32 v1, 2, v0
	v_mul_lo_u32 v2, v0, 28
	v_add3_u32 v5, v3, v2, s8
	v_lshlrev_b32_e32 v2, 2, v4
	v_or_b32_e32 v4, s10, v1
	v_or_b32_e32 v1, s11, v1
	v_ashrrev_i32_e32 v3, 31, v2
	v_lshl_add_u32 v8, v0, 5, s12
	v_lshl_add_u32 v4, v4, 3, s12
	;; [unrolled: 1-line block ×3, first 2 shown]
	v_lshlrev_b64 v[10:11], 3, v[2:3]
	ds_read2_b32 v[2:3], v5 offset1:1
	ds_read2_b32 v[6:7], v1 offset1:1
	;; [unrolled: 1-line block ×3, first 2 shown]
	ds_read2_b32 v[8:9], v8 offset0:6 offset1:7
	v_mov_b32_e32 v12, s3
	v_add_co_u32_e32 v10, vcc, s2, v10
	v_addc_co_u32_e32 v11, vcc, v12, v11, vcc
	s_waitcnt lgkmcnt(1)
	global_store_dwordx4 v[10:11], v[2:5], off
	s_waitcnt lgkmcnt(0)
	global_store_dwordx4 v[10:11], v[6:9], off offset:16
	s_branch .LBB51_133
.LBB51_138:
	s_endpgm
	.section	.rodata,"a",@progbits
	.p2align	6, 0x0
	.amdhsa_kernel _ZN9rocsparseL30bsrgemm_fill_block_per_row_2x2ILj256ELj16ELj512ELj137Eii21rocsparse_complex_numIfEEEv20rocsparse_direction_T4_S4_PKS4_S6_NS_24const_host_device_scalarIT5_EEPKT3_S6_PKS8_SC_S6_SE_S9_SC_S6_SE_SC_PS4_PS8_21rocsparse_index_base_SH_SH_SH_bbb
		.amdhsa_group_segment_fixed_size 0
		.amdhsa_private_segment_fixed_size 0
		.amdhsa_kernarg_size 164
		.amdhsa_user_sgpr_count 6
		.amdhsa_user_sgpr_private_segment_buffer 1
		.amdhsa_user_sgpr_dispatch_ptr 0
		.amdhsa_user_sgpr_queue_ptr 0
		.amdhsa_user_sgpr_kernarg_segment_ptr 1
		.amdhsa_user_sgpr_dispatch_id 0
		.amdhsa_user_sgpr_flat_scratch_init 0
		.amdhsa_user_sgpr_kernarg_preload_length 0
		.amdhsa_user_sgpr_kernarg_preload_offset 0
		.amdhsa_user_sgpr_private_segment_size 0
		.amdhsa_uses_dynamic_stack 0
		.amdhsa_system_sgpr_private_segment_wavefront_offset 0
		.amdhsa_system_sgpr_workgroup_id_x 1
		.amdhsa_system_sgpr_workgroup_id_y 0
		.amdhsa_system_sgpr_workgroup_id_z 0
		.amdhsa_system_sgpr_workgroup_info 0
		.amdhsa_system_vgpr_workitem_id 0
		.amdhsa_next_free_vgpr 38
		.amdhsa_next_free_sgpr 62
		.amdhsa_accum_offset 40
		.amdhsa_reserve_vcc 1
		.amdhsa_reserve_flat_scratch 0
		.amdhsa_float_round_mode_32 0
		.amdhsa_float_round_mode_16_64 0
		.amdhsa_float_denorm_mode_32 3
		.amdhsa_float_denorm_mode_16_64 3
		.amdhsa_dx10_clamp 1
		.amdhsa_ieee_mode 1
		.amdhsa_fp16_overflow 0
		.amdhsa_tg_split 0
		.amdhsa_exception_fp_ieee_invalid_op 0
		.amdhsa_exception_fp_denorm_src 0
		.amdhsa_exception_fp_ieee_div_zero 0
		.amdhsa_exception_fp_ieee_overflow 0
		.amdhsa_exception_fp_ieee_underflow 0
		.amdhsa_exception_fp_ieee_inexact 0
		.amdhsa_exception_int_div_zero 0
	.end_amdhsa_kernel
	.section	.text._ZN9rocsparseL30bsrgemm_fill_block_per_row_2x2ILj256ELj16ELj512ELj137Eii21rocsparse_complex_numIfEEEv20rocsparse_direction_T4_S4_PKS4_S6_NS_24const_host_device_scalarIT5_EEPKT3_S6_PKS8_SC_S6_SE_S9_SC_S6_SE_SC_PS4_PS8_21rocsparse_index_base_SH_SH_SH_bbb,"axG",@progbits,_ZN9rocsparseL30bsrgemm_fill_block_per_row_2x2ILj256ELj16ELj512ELj137Eii21rocsparse_complex_numIfEEEv20rocsparse_direction_T4_S4_PKS4_S6_NS_24const_host_device_scalarIT5_EEPKT3_S6_PKS8_SC_S6_SE_S9_SC_S6_SE_SC_PS4_PS8_21rocsparse_index_base_SH_SH_SH_bbb,comdat
.Lfunc_end51:
	.size	_ZN9rocsparseL30bsrgemm_fill_block_per_row_2x2ILj256ELj16ELj512ELj137Eii21rocsparse_complex_numIfEEEv20rocsparse_direction_T4_S4_PKS4_S6_NS_24const_host_device_scalarIT5_EEPKT3_S6_PKS8_SC_S6_SE_S9_SC_S6_SE_SC_PS4_PS8_21rocsparse_index_base_SH_SH_SH_bbb, .Lfunc_end51-_ZN9rocsparseL30bsrgemm_fill_block_per_row_2x2ILj256ELj16ELj512ELj137Eii21rocsparse_complex_numIfEEEv20rocsparse_direction_T4_S4_PKS4_S6_NS_24const_host_device_scalarIT5_EEPKT3_S6_PKS8_SC_S6_SE_S9_SC_S6_SE_SC_PS4_PS8_21rocsparse_index_base_SH_SH_SH_bbb
                                        ; -- End function
	.section	.AMDGPU.csdata,"",@progbits
; Kernel info:
; codeLenInByte = 4564
; NumSgprs: 66
; NumVgprs: 38
; NumAgprs: 0
; TotalNumVgprs: 38
; ScratchSize: 0
; MemoryBound: 0
; FloatMode: 240
; IeeeMode: 1
; LDSByteSize: 0 bytes/workgroup (compile time only)
; SGPRBlocks: 8
; VGPRBlocks: 4
; NumSGPRsForWavesPerEU: 66
; NumVGPRsForWavesPerEU: 38
; AccumOffset: 40
; Occupancy: 8
; WaveLimiterHint : 1
; COMPUTE_PGM_RSRC2:SCRATCH_EN: 0
; COMPUTE_PGM_RSRC2:USER_SGPR: 6
; COMPUTE_PGM_RSRC2:TRAP_HANDLER: 0
; COMPUTE_PGM_RSRC2:TGID_X_EN: 1
; COMPUTE_PGM_RSRC2:TGID_Y_EN: 0
; COMPUTE_PGM_RSRC2:TGID_Z_EN: 0
; COMPUTE_PGM_RSRC2:TIDIG_COMP_CNT: 0
; COMPUTE_PGM_RSRC3_GFX90A:ACCUM_OFFSET: 9
; COMPUTE_PGM_RSRC3_GFX90A:TG_SPLIT: 0
	.section	.text._ZN9rocsparseL38bsrgemm_block_per_row_atomic_multipassILj256ELj256ELj2Eii21rocsparse_complex_numIfEEEv20rocsparse_direction_T3_S4_PKS4_S6_NS_24const_host_device_scalarIT4_EEPKT2_S6_PKS8_SC_S6_SE_S9_SC_S6_SE_SC_PS4_PS8_PSA_21rocsparse_index_base_SI_SI_SI_bbb,"axG",@progbits,_ZN9rocsparseL38bsrgemm_block_per_row_atomic_multipassILj256ELj256ELj2Eii21rocsparse_complex_numIfEEEv20rocsparse_direction_T3_S4_PKS4_S6_NS_24const_host_device_scalarIT4_EEPKT2_S6_PKS8_SC_S6_SE_S9_SC_S6_SE_SC_PS4_PS8_PSA_21rocsparse_index_base_SI_SI_SI_bbb,comdat
	.globl	_ZN9rocsparseL38bsrgemm_block_per_row_atomic_multipassILj256ELj256ELj2Eii21rocsparse_complex_numIfEEEv20rocsparse_direction_T3_S4_PKS4_S6_NS_24const_host_device_scalarIT4_EEPKT2_S6_PKS8_SC_S6_SE_S9_SC_S6_SE_SC_PS4_PS8_PSA_21rocsparse_index_base_SI_SI_SI_bbb ; -- Begin function _ZN9rocsparseL38bsrgemm_block_per_row_atomic_multipassILj256ELj256ELj2Eii21rocsparse_complex_numIfEEEv20rocsparse_direction_T3_S4_PKS4_S6_NS_24const_host_device_scalarIT4_EEPKT2_S6_PKS8_SC_S6_SE_S9_SC_S6_SE_SC_PS4_PS8_PSA_21rocsparse_index_base_SI_SI_SI_bbb
	.p2align	8
	.type	_ZN9rocsparseL38bsrgemm_block_per_row_atomic_multipassILj256ELj256ELj2Eii21rocsparse_complex_numIfEEEv20rocsparse_direction_T3_S4_PKS4_S6_NS_24const_host_device_scalarIT4_EEPKT2_S6_PKS8_SC_S6_SE_S9_SC_S6_SE_SC_PS4_PS8_PSA_21rocsparse_index_base_SI_SI_SI_bbb,@function
_ZN9rocsparseL38bsrgemm_block_per_row_atomic_multipassILj256ELj256ELj2Eii21rocsparse_complex_numIfEEEv20rocsparse_direction_T3_S4_PKS4_S6_NS_24const_host_device_scalarIT4_EEPKT2_S6_PKS8_SC_S6_SE_S9_SC_S6_SE_SC_PS4_PS8_PSA_21rocsparse_index_base_SI_SI_SI_bbb: ; @_ZN9rocsparseL38bsrgemm_block_per_row_atomic_multipassILj256ELj256ELj2Eii21rocsparse_complex_numIfEEEv20rocsparse_direction_T3_S4_PKS4_S6_NS_24const_host_device_scalarIT4_EEPKT2_S6_PKS8_SC_S6_SE_S9_SC_S6_SE_SC_PS4_PS8_PSA_21rocsparse_index_base_SI_SI_SI_bbb
; %bb.0:
	s_load_dwordx8 s[36:43], s[4:5], 0x88
	s_load_dword s2, s[4:5], 0xa8
	s_load_dwordx8 s[44:51], s[4:5], 0x68
	s_load_dwordx8 s[52:59], s[4:5], 0x48
	s_load_dwordx4 s[8:11], s[4:5], 0x10
	s_load_dwordx8 s[60:67], s[4:5], 0x28
	s_waitcnt lgkmcnt(0)
	s_bitcmp1_b32 s2, 0
	s_cselect_b64 s[28:29], -1, 0
	s_bitcmp1_b32 s2, 16
	s_cselect_b64 s[0:1], -1, 0
	s_xor_b64 s[0:1], s[0:1], -1
	v_cndmask_b32_e64 v1, 0, 1, s[0:1]
	s_mov_b32 s73, 0
	s_bitcmp0_b32 s2, 0
	v_cmp_ne_u32_e64 s[0:1], 1, v1
	s_mov_b32 s33, 0
	s_cbranch_scc1 .LBB52_5
; %bb.1:
	s_load_dwordx2 s[72:73], s[4:5], 0x20
	s_and_b64 vcc, exec, s[0:1]
	s_waitcnt lgkmcnt(0)
	s_mov_b32 s33, s72
	s_cbranch_vccnz .LBB52_3
; %bb.2:
	s_load_dword s33, s[72:73], 0x0
.LBB52_3:
	s_and_b64 vcc, exec, s[0:1]
	s_cbranch_vccnz .LBB52_5
; %bb.4:
	s_load_dword s73, s[72:73], 0x4
.LBB52_5:
	s_bitcmp1_b32 s2, 8
	s_cselect_b64 s[12:13], -1, 0
                                        ; implicit-def: $vgpr46 : SGPR spill to VGPR lane
	s_bfe_u32 s2, s2, 0x10008
	s_mov_b32 s90, 0
	v_writelane_b32 v46, s12, 0
	s_cmp_eq_u32 s2, 0
	s_mov_b32 s72, 0
	v_writelane_b32 v46, s13, 1
	s_cbranch_scc1 .LBB52_11
; %bb.6:
	s_and_b64 vcc, exec, s[0:1]
	s_mov_b32 s72, s56
	s_cbranch_vccnz .LBB52_8
; %bb.7:
	s_load_dword s72, s[56:57], 0x0
.LBB52_8:
	s_and_b64 vcc, exec, s[0:1]
	s_cbranch_vccnz .LBB52_10
; %bb.9:
	s_load_dword s57, s[56:57], 0x4
.LBB52_10:
	s_waitcnt lgkmcnt(0)
	s_mov_b32 s90, s57
.LBB52_11:
	s_cmp_eq_u64 s[10:11], 0
	s_cbranch_scc1 .LBB52_13
; %bb.12:
	s_load_dword s0, s[8:9], 0x0
	s_mov_b32 s1, 0
	s_waitcnt lgkmcnt(0)
	s_add_i32 s0, s0, s6
	s_lshl_b64 s[0:1], s[0:1], 2
	s_add_u32 s0, s10, s0
	s_addc_u32 s1, s11, s1
	s_load_dword s6, s[0:1], 0x0
.LBB52_13:
	v_cndmask_b32_e64 v1, 0, 1, s[28:29]
	s_mov_b32 s91, 0
	v_cmp_ne_u32_e64 s[0:1], 1, v1
	s_andn2_b64 vcc, exec, s[28:29]
	s_mov_b32 s2, 0
	v_writelane_b32 v46, s2, 2
	s_cbranch_vccz .LBB52_16
; %bb.14:
	s_and_b64 vcc, exec, s[0:1]
	s_cbranch_vccz .LBB52_17
.LBB52_15:
	s_load_dwordx4 s[68:71], s[4:5], 0x0
	s_waitcnt lgkmcnt(0)
	s_cmp_lt_i32 s69, 1
	s_cbranch_scc0 .LBB52_18
	s_branch .LBB52_105
.LBB52_16:
	s_waitcnt lgkmcnt(0)
	s_ashr_i32 s7, s6, 31
	s_lshl_b64 s[2:3], s[6:7], 2
	s_add_u32 s2, s60, s2
	s_addc_u32 s3, s61, s3
	s_load_dword s2, s[2:3], 0x0
	s_waitcnt lgkmcnt(0)
	s_sub_i32 s2, s2, s40
	v_writelane_b32 v46, s2, 2
	s_and_b64 vcc, exec, s[0:1]
	s_cbranch_vccnz .LBB52_15
.LBB52_17:
	s_waitcnt lgkmcnt(0)
	s_ashr_i32 s7, s6, 31
	s_lshl_b64 s[0:1], s[6:7], 2
	s_add_u32 s0, s60, s0
	s_addc_u32 s1, s61, s1
	s_load_dword s0, s[0:1], 0x4
	s_waitcnt lgkmcnt(0)
	s_sub_i32 s91, s0, s40
	s_load_dwordx4 s[68:71], s[4:5], 0x0
	s_waitcnt lgkmcnt(0)
	s_cmp_lt_i32 s69, 1
	s_cbranch_scc1 .LBB52_105
.LBB52_18:
	s_ashr_i32 s7, s6, 31
	s_lshl_b64 s[8:9], s[6:7], 2
	s_add_u32 s0, s48, s8
	s_addc_u32 s1, s49, s9
	s_load_dword s0, s[0:1], 0x0
	v_readlane_b32 s4, v46, 2
	v_and_b32_e32 v1, 3, v0
	v_and_b32_e32 v2, 1, v0
	v_bfe_u32 v4, v0, 1, 1
	s_waitcnt lgkmcnt(0)
	s_sub_i32 s34, s0, s42
	s_cmp_lt_i32 s4, s91
	s_cselect_b64 s[30:31], -1, 0
	s_cmp_eq_u32 s68, 0
	s_cselect_b64 vcc, -1, 0
	s_cmp_lg_u32 s68, 0
	s_cselect_b64 s[48:49], -1, 0
	s_cmp_gt_i32 s70, 0
	s_cselect_b64 s[56:57], -1, 0
	s_add_u32 s58, s58, s8
	v_lshrrev_b32_e32 v3, 2, v0
	v_max_i32_e32 v5, v2, v4
	s_addc_u32 s59, s59, s9
	v_cmp_eq_u32_e64 s[8:9], 3, v1
	v_lshlrev_b32_e32 v1, 2, v0
	s_movk_i32 s0, 0x100
	v_cmp_gt_i32_e64 s[4:5], s70, v5
	v_cmp_le_i32_e64 s[6:7], s70, v5
	v_lshlrev_b32_e32 v5, 3, v0
	s_movk_i32 s35, 0x2000
	v_or_b32_e32 v21, 0x2800, v1
	v_add_u32_e32 v23, 0x27f8, v1
	v_add_u32_e32 v24, 0x27f0, v1
	;; [unrolled: 1-line block ×6, first 2 shown]
	s_movk_i32 s26, 0x7f
	v_add_u32_e32 v29, 0x2600, v1
	v_lshlrev_b32_e32 v1, 5, v3
	v_lshlrev_b32_e32 v10, 3, v4
	v_cmp_gt_u32_e64 s[0:1], s0, v0
	v_cmp_eq_u32_e64 s[2:3], 0, v0
	v_and_b32_e32 v9, 2, v0
	v_add_co_u32_e64 v6, s[10:11], -1, v0
	v_cmp_ne_u32_e64 s[12:13], 0, v0
	v_cmp_lt_u32_e64 s[14:15], 1, v0
	v_cmp_lt_u32_e64 s[16:17], 3, v0
	;; [unrolled: 1-line block ×7, first 2 shown]
	s_and_b64 s[28:29], s[28:29], s[30:31]
	v_or_b32_e32 v30, 0xffffff00, v0
	v_or3_b32 v31, v1, v10, s35
	v_and_b32_e32 v1, 0x7f0, v5
	v_and_b32_e32 v0, 0xfc, v0
	v_mov_b32_e32 v8, 0x2800
	s_add_u32 s68, s66, 4
	s_mul_i32 s93, s70, s70
	v_or_b32_e32 v32, 0x2000, v1
	v_or3_b32 v1, v0, v9, v2
	v_or_b32_e32 v34, 0x2800, v0
	v_mov_b32_e32 v0, 0
	v_cndmask_b32_e64 v10, 0, 1, s[28:29]
	s_mov_b32 s74, 0
	v_or_b32_e32 v7, 0x2000, v5
	v_subrev_u32_e32 v20, s43, v3
	v_lshl_add_u32 v22, v6, 2, v8
	v_cndmask_b32_e32 v6, v2, v4, vcc
	v_cndmask_b32_e32 v8, v4, v2, vcc
	s_addc_u32 s71, s67, 0
	s_lshl_b32 s94, s93, 6
	v_lshlrev_b32_e32 v33, 3, v1
	v_mov_b32_e32 v37, 0x100
	v_mov_b32_e32 v35, s34
	;; [unrolled: 1-line block ×3, first 2 shown]
	s_movk_i32 s95, 0x2ff
	v_cmp_ne_u32_e64 s[28:29], 1, v10
	v_mov_b32_e32 v36, 1
	s_movk_i32 s92, 0xbf
	s_branch .LBB52_20
.LBB52_19:                              ;   in Loop: Header=BB52_20 Depth=1
	s_or_b64 exec, exec, s[30:31]
	s_barrier
	ds_read_b32 v10, v0 offset:11264
	v_add_u32_e32 v35, v12, v35
	s_waitcnt lgkmcnt(0)
	s_barrier
	v_cmp_le_i32_e32 vcc, s69, v10
	v_readfirstlane_b32 s74, v10
	v_add_u32_e32 v37, 0x100, v10
	s_cbranch_vccnz .LBB52_105
.LBB52_20:                              ; =>This Loop Header: Depth=1
                                        ;     Child Loop BB52_23 Depth 2
                                        ;     Child Loop BB52_29 Depth 2
                                        ;       Child Loop BB52_43 Depth 3
                                        ;         Child Loop BB52_52 Depth 4
                                        ;         Child Loop BB52_57 Depth 4
                                        ;     Child Loop BB52_68 Depth 2
                                        ;     Child Loop BB52_77 Depth 2
	;; [unrolled: 1-line block ×3, first 2 shown]
	s_and_saveexec_b64 s[30:31], s[0:1]
	s_cbranch_execz .LBB52_22
; %bb.21:                               ;   in Loop: Header=BB52_20 Depth=1
	ds_write_b32 v21, v0
.LBB52_22:                              ;   in Loop: Header=BB52_20 Depth=1
	s_or_b64 exec, exec, s[30:31]
	s_mov_b64 s[30:31], 0
	v_mov_b32_e32 v10, v5
	v_mov_b32_e32 v11, v30
.LBB52_23:                              ;   Parent Loop BB52_20 Depth=1
                                        ; =>  This Inner Loop Header: Depth=2
	v_add_u32_e32 v11, 0x100, v11
	v_cmp_lt_u32_e32 vcc, s95, v11
	ds_write_b64 v10, v[0:1]
	s_or_b64 s[30:31], vcc, s[30:31]
	v_add_u32_e32 v10, 0x800, v10
	s_andn2_b64 exec, exec, s[30:31]
	s_cbranch_execnz .LBB52_23
; %bb.24:                               ;   in Loop: Header=BB52_20 Depth=1
	s_or_b64 exec, exec, s[30:31]
	s_and_saveexec_b64 s[30:31], s[2:3]
	s_cbranch_execz .LBB52_26
; %bb.25:                               ;   in Loop: Header=BB52_20 Depth=1
	v_mov_b32_e32 v10, s69
	ds_write_b32 v0, v10 offset:11264
.LBB52_26:                              ;   in Loop: Header=BB52_20 Depth=1
	s_or_b64 exec, exec, s[30:31]
	s_and_b64 vcc, exec, s[28:29]
	v_mov_b32_e32 v38, s69
	s_waitcnt lgkmcnt(0)
	s_barrier
	s_cbranch_vccnz .LBB52_63
; %bb.27:                               ;   in Loop: Header=BB52_20 Depth=1
	s_cmp_lg_u32 s74, 0
	s_cselect_b64 s[60:61], -1, 0
	v_mov_b32_e32 v38, s69
	v_readlane_b32 s75, v46, 2
	s_branch .LBB52_29
.LBB52_28:                              ;   in Loop: Header=BB52_29 Depth=2
	s_or_b64 exec, exec, s[34:35]
	s_add_i32 s75, s75, 64
	s_cmp_lt_i32 s75, s91
	s_cbranch_scc0 .LBB52_63
.LBB52_29:                              ;   Parent Loop BB52_20 Depth=1
                                        ; =>  This Loop Header: Depth=2
                                        ;       Child Loop BB52_43 Depth 3
                                        ;         Child Loop BB52_52 Depth 4
                                        ;         Child Loop BB52_57 Depth 4
	v_add_u32_e32 v10, s75, v3
	v_cmp_gt_i32_e64 s[30:31], s91, v10
	s_barrier
	s_and_saveexec_b64 s[34:35], s[30:31]
	s_cbranch_execz .LBB52_34
; %bb.30:                               ;   in Loop: Header=BB52_29 Depth=2
	s_and_saveexec_b64 s[76:77], s[6:7]
	s_xor_b64 s[76:77], exec, s[76:77]
	s_cbranch_execz .LBB52_32
; %bb.31:                               ;   in Loop: Header=BB52_29 Depth=2
	ds_write_b64 v7, v[0:1]
.LBB52_32:                              ;   in Loop: Header=BB52_29 Depth=2
	s_andn2_saveexec_b64 s[76:77], s[76:77]
	s_cbranch_execz .LBB52_34
; %bb.33:                               ;   in Loop: Header=BB52_29 Depth=2
	v_mad_u64_u32 v[12:13], s[76:77], v10, s70, v[4:5]
	v_mad_u64_u32 v[12:13], s[76:77], v12, s70, v[2:3]
	v_ashrrev_i32_e32 v13, 31, v12
	v_lshlrev_b64 v[12:13], 3, v[12:13]
	v_mov_b32_e32 v11, s65
	v_add_co_u32_e32 v12, vcc, s64, v12
	v_addc_co_u32_e32 v13, vcc, v11, v13, vcc
	global_load_dwordx2 v[12:13], v[12:13], off
	s_waitcnt vmcnt(0)
	ds_write_b64 v7, v[12:13]
.LBB52_34:                              ;   in Loop: Header=BB52_29 Depth=2
	s_or_b64 exec, exec, s[34:35]
	v_mov_b32_e32 v39, 0
	s_waitcnt lgkmcnt(0)
	s_barrier
	s_and_saveexec_b64 s[76:77], s[30:31]
	s_cbranch_execz .LBB52_60
; %bb.35:                               ;   in Loop: Header=BB52_29 Depth=2
	v_ashrrev_i32_e32 v11, 31, v10
	v_lshlrev_b64 v[14:15], 2, v[10:11]
	v_mov_b32_e32 v11, s63
	v_add_co_u32_e32 v12, vcc, s62, v14
	v_addc_co_u32_e32 v13, vcc, v11, v15, vcc
	global_load_dword v11, v[12:13], off
	s_and_b64 vcc, exec, s[60:61]
	s_waitcnt vmcnt(0)
	v_subrev_u32_e32 v12, s40, v11
	v_ashrrev_i32_e32 v13, 31, v12
	s_cbranch_vccz .LBB52_62
; %bb.36:                               ;   in Loop: Header=BB52_29 Depth=2
	v_mov_b32_e32 v11, s39
	v_add_co_u32_e32 v14, vcc, s38, v14
	v_addc_co_u32_e32 v15, vcc, v11, v15, vcc
	global_load_dword v39, v[14:15], off
	s_cbranch_execnz .LBB52_38
.LBB52_37:                              ;   in Loop: Header=BB52_29 Depth=2
	v_lshlrev_b64 v[14:15], 2, v[12:13]
	v_mov_b32_e32 v11, s67
	v_add_co_u32_e32 v14, vcc, s66, v14
	v_addc_co_u32_e32 v15, vcc, v11, v15, vcc
	global_load_dword v11, v[14:15], off
	s_waitcnt vmcnt(0)
	v_subrev_u32_e32 v39, s41, v11
.LBB52_38:                              ;   in Loop: Header=BB52_29 Depth=2
	v_lshlrev_b64 v[12:13], 2, v[12:13]
	v_mov_b32_e32 v11, s71
	v_add_co_u32_e32 v12, vcc, s68, v12
	v_addc_co_u32_e32 v13, vcc, v11, v13, vcc
	global_load_dword v11, v[12:13], off
	s_waitcnt vmcnt(0)
	v_subrev_u32_e32 v11, s41, v11
	v_cmp_lt_i32_e32 vcc, v39, v11
	s_and_saveexec_b64 s[78:79], vcc
	s_cbranch_execz .LBB52_59
; %bb.39:                               ;   in Loop: Header=BB52_29 Depth=2
	v_mad_u64_u32 v[12:13], s[34:35], s70, v39, v[2:3]
	v_mul_lo_u32 v40, s70, v12
	v_mad_u64_u32 v[12:13], s[34:35], s93, v39, v[2:3]
	s_mov_b64 s[80:81], 0
	v_mov_b32_e32 v14, v39
	s_branch .LBB52_43
.LBB52_40:                              ;   in Loop: Header=BB52_43 Depth=3
	v_or3_b32 v13, v13, v9, v2
	v_mul_f32_e64 v15, v17, -s73
	v_lshlrev_b32_e32 v13, 3, v13
	v_fmac_f32_e32 v15, s33, v16
	v_mul_f32_e32 v17, s33, v17
	v_fmac_f32_e32 v17, s73, v16
	ds_add_f32 v13, v15
	ds_add_f32 v13, v17 offset:4
.LBB52_41:                              ;   in Loop: Header=BB52_43 Depth=3
	s_or_b64 exec, exec, s[86:87]
	s_or_b64 s[82:83], s[82:83], exec
.LBB52_42:                              ;   in Loop: Header=BB52_43 Depth=3
	s_or_b64 exec, exec, s[84:85]
	v_add_u32_e32 v14, 1, v14
	v_cmp_ge_i32_e32 vcc, v14, v11
	s_xor_b64 s[34:35], s[82:83], -1
	s_or_b64 s[34:35], s[34:35], vcc
	s_and_b64 s[34:35], exec, s[34:35]
	v_add_u32_e32 v40, s93, v40
	s_or_b64 s[80:81], s[34:35], s[80:81]
	v_add_u32_e32 v12, s93, v12
	s_andn2_b64 exec, exec, s[80:81]
	s_cbranch_execz .LBB52_58
.LBB52_43:                              ;   Parent Loop BB52_20 Depth=1
                                        ;     Parent Loop BB52_29 Depth=2
                                        ; =>    This Loop Header: Depth=3
                                        ;         Child Loop BB52_52 Depth 4
                                        ;         Child Loop BB52_57 Depth 4
	v_ashrrev_i32_e32 v15, 31, v14
	v_lshlrev_b64 v[16:17], 2, v[14:15]
	v_mov_b32_e32 v13, s53
	v_add_co_u32_e32 v16, vcc, s52, v16
	v_addc_co_u32_e32 v17, vcc, v13, v17, vcc
	global_load_dword v13, v[16:17], off
                                        ; implicit-def: $sgpr82_sgpr83
	s_waitcnt vmcnt(0)
	v_subrev_u32_e32 v13, s41, v13
	v_cmp_gt_i32_e64 s[34:35], s74, v13
	v_cmp_ge_i32_e32 vcc, v13, v37
	s_or_b64 s[34:35], s[34:35], vcc
	s_and_saveexec_b64 s[84:85], s[34:35]
	s_xor_b64 s[34:35], exec, s[84:85]
	s_cbranch_execz .LBB52_47
; %bb.44:                               ;   in Loop: Header=BB52_43 Depth=3
	s_mov_b64 s[82:83], -1
	s_and_saveexec_b64 s[84:85], vcc
; %bb.45:                               ;   in Loop: Header=BB52_43 Depth=3
	v_min_i32_e32 v38, v13, v38
	s_xor_b64 s[82:83], exec, -1
	v_mov_b32_e32 v39, v14
; %bb.46:                               ;   in Loop: Header=BB52_43 Depth=3
	s_or_b64 exec, exec, s[84:85]
	s_and_b64 s[82:83], s[82:83], exec
                                        ; implicit-def: $vgpr13
.LBB52_47:                              ;   in Loop: Header=BB52_43 Depth=3
	s_andn2_saveexec_b64 s[84:85], s[34:35]
	s_cbranch_execz .LBB52_42
; %bb.48:                               ;   in Loop: Header=BB52_43 Depth=3
	v_subrev_u32_e32 v13, s74, v13
	v_lshlrev_b32_e32 v13, 2, v13
	ds_write_b32 v13, v36 offset:10240
	s_and_saveexec_b64 s[86:87], s[4:5]
	s_cbranch_execz .LBB52_41
; %bb.49:                               ;   in Loop: Header=BB52_43 Depth=3
	v_cndmask_b32_e64 v15, 0, 1, s[56:57]
	s_andn2_b64 vcc, exec, s[48:49]
	v_cmp_ne_u32_e64 s[34:35], 1, v15
	s_cbranch_vccnz .LBB52_54
; %bb.50:                               ;   in Loop: Header=BB52_43 Depth=3
	v_mov_b32_e32 v17, 0
	s_and_b64 vcc, exec, s[34:35]
	v_mov_b32_e32 v16, v17
	s_cbranch_vccnz .LBB52_53
; %bb.51:                               ;   in Loop: Header=BB52_43 Depth=3
	v_mov_b32_e32 v16, 0
	v_mov_b32_e32 v18, v40
	s_mov_b32 s88, s70
	v_mov_b32_e32 v15, v31
	v_mov_b32_e32 v17, v16
.LBB52_52:                              ;   Parent Loop BB52_20 Depth=1
                                        ;     Parent Loop BB52_29 Depth=2
                                        ;       Parent Loop BB52_43 Depth=3
                                        ; =>      This Inner Loop Header: Depth=4
	v_ashrrev_i32_e32 v19, 31, v18
	v_lshlrev_b64 v[42:43], 3, v[18:19]
	v_mov_b32_e32 v41, s55
	v_add_co_u32_e32 v42, vcc, s54, v42
	v_addc_co_u32_e32 v43, vcc, v41, v43, vcc
	global_load_dwordx2 v[42:43], v[42:43], off
	ds_read_b64 v[44:45], v15
	s_add_i32 s88, s88, -1
	v_add_u32_e32 v15, 16, v15
	v_add_u32_e32 v18, 1, v18
	s_cmp_lg_u32 s88, 0
	s_waitcnt vmcnt(0) lgkmcnt(0)
	v_pk_fma_f32 v[16:17], v[44:45], v[42:43], v[16:17] op_sel_hi:[1,0,1]
	v_pk_fma_f32 v[16:17], v[44:45], v[42:43], v[16:17] op_sel:[1,1,0] op_sel_hi:[0,1,1] neg_lo:[1,0,0]
	s_cbranch_scc1 .LBB52_52
.LBB52_53:                              ;   in Loop: Header=BB52_43 Depth=3
	s_cbranch_execnz .LBB52_40
	s_branch .LBB52_55
.LBB52_54:                              ;   in Loop: Header=BB52_43 Depth=3
                                        ; implicit-def: $vgpr17
.LBB52_55:                              ;   in Loop: Header=BB52_43 Depth=3
	v_mov_b32_e32 v17, 0
	s_and_b64 vcc, exec, s[34:35]
	v_mov_b32_e32 v16, v17
	s_cbranch_vccnz .LBB52_40
; %bb.56:                               ;   in Loop: Header=BB52_43 Depth=3
	v_mov_b32_e32 v16, 0
	v_mov_b32_e32 v15, v32
	;; [unrolled: 1-line block ×3, first 2 shown]
	s_mov_b32 s34, s70
	v_mov_b32_e32 v17, v16
.LBB52_57:                              ;   Parent Loop BB52_20 Depth=1
                                        ;     Parent Loop BB52_29 Depth=2
                                        ;       Parent Loop BB52_43 Depth=3
                                        ; =>      This Inner Loop Header: Depth=4
	v_ashrrev_i32_e32 v19, 31, v18
	v_lshlrev_b64 v[42:43], 3, v[18:19]
	v_mov_b32_e32 v41, s55
	v_add_co_u32_e32 v42, vcc, s54, v42
	v_addc_co_u32_e32 v43, vcc, v41, v43, vcc
	global_load_dwordx2 v[42:43], v[42:43], off
	ds_read_b64 v[44:45], v15
	s_add_i32 s34, s34, -1
	v_add_u32_e32 v15, 8, v15
	v_add_u32_e32 v18, s70, v18
	s_cmp_eq_u32 s34, 0
	s_waitcnt vmcnt(0) lgkmcnt(0)
	v_pk_fma_f32 v[16:17], v[44:45], v[42:43], v[16:17] op_sel_hi:[1,0,1]
	v_pk_fma_f32 v[16:17], v[44:45], v[42:43], v[16:17] op_sel:[1,1,0] op_sel_hi:[0,1,1] neg_lo:[1,0,0]
	s_cbranch_scc0 .LBB52_57
	s_branch .LBB52_40
.LBB52_58:                              ;   in Loop: Header=BB52_29 Depth=2
	s_or_b64 exec, exec, s[80:81]
.LBB52_59:                              ;   in Loop: Header=BB52_29 Depth=2
	s_or_b64 exec, exec, s[78:79]
.LBB52_60:                              ;   in Loop: Header=BB52_29 Depth=2
	s_or_b64 exec, exec, s[76:77]
	s_waitcnt lgkmcnt(0)
	s_barrier
	s_and_saveexec_b64 s[34:35], s[30:31]
	s_cbranch_execz .LBB52_28
; %bb.61:                               ;   in Loop: Header=BB52_29 Depth=2
	v_ashrrev_i32_e32 v11, 31, v10
	v_lshlrev_b64 v[10:11], 2, v[10:11]
	v_mov_b32_e32 v12, s39
	v_add_co_u32_e32 v10, vcc, s38, v10
	v_addc_co_u32_e32 v11, vcc, v12, v11, vcc
	global_store_dword v[10:11], v39, off
	s_branch .LBB52_28
.LBB52_62:                              ;   in Loop: Header=BB52_29 Depth=2
                                        ; implicit-def: $vgpr39
	s_branch .LBB52_37
.LBB52_63:                              ;   in Loop: Header=BB52_20 Depth=1
	v_readlane_b32 s30, v46, 0
	v_readlane_b32 s31, v46, 1
	s_andn2_b64 vcc, exec, s[30:31]
	s_cbranch_vccnz .LBB52_75
; %bb.64:                               ;   in Loop: Header=BB52_20 Depth=1
	s_load_dwordx2 s[30:31], s[58:59], 0x0
	s_waitcnt lgkmcnt(0)
	s_sub_i32 s75, s31, s43
	v_add_u32_e32 v10, s30, v20
	v_cmp_gt_i32_e32 vcc, s75, v10
	s_and_saveexec_b64 s[60:61], vcc
	s_cbranch_execz .LBB52_74
; %bb.65:                               ;   in Loop: Header=BB52_20 Depth=1
	v_mad_u64_u32 v[12:13], s[30:31], s70, v10, v[6:7]
	v_mad_u64_u32 v[12:13], s[30:31], s70, v12, v[8:9]
	s_mov_b64 s[76:77], 0
	s_branch .LBB52_68
.LBB52_66:                              ;   in Loop: Header=BB52_68 Depth=2
	s_or_b64 exec, exec, s[78:79]
	s_or_b64 s[30:31], s[30:31], exec
.LBB52_67:                              ;   in Loop: Header=BB52_68 Depth=2
	s_or_b64 exec, exec, s[34:35]
	v_add_u32_e32 v10, 64, v10
	v_cmp_le_i32_e32 vcc, s75, v10
	s_xor_b64 s[30:31], s[30:31], -1
	s_or_b64 s[30:31], vcc, s[30:31]
	s_and_b64 s[30:31], exec, s[30:31]
	s_or_b64 s[76:77], s[30:31], s[76:77]
	v_add_u32_e32 v12, s94, v12
	s_andn2_b64 exec, exec, s[76:77]
	s_cbranch_execz .LBB52_73
.LBB52_68:                              ;   Parent Loop BB52_20 Depth=1
                                        ; =>  This Inner Loop Header: Depth=2
	v_ashrrev_i32_e32 v11, 31, v10
	v_lshlrev_b64 v[14:15], 2, v[10:11]
	v_mov_b32_e32 v11, s45
	v_add_co_u32_e32 v14, vcc, s44, v14
	v_addc_co_u32_e32 v15, vcc, v11, v15, vcc
	global_load_dword v11, v[14:15], off
	s_waitcnt vmcnt(0)
	v_subrev_u32_e32 v11, s43, v11
	v_cmp_gt_i32_e64 s[30:31], s74, v11
	v_cmp_ge_i32_e64 s[34:35], v11, v37
	v_cmp_lt_i32_e32 vcc, v11, v37
	s_or_b64 s[34:35], s[30:31], s[34:35]
                                        ; implicit-def: $sgpr30_sgpr31
	s_and_saveexec_b64 s[78:79], s[34:35]
	s_xor_b64 s[34:35], exec, s[78:79]
; %bb.69:                               ;   in Loop: Header=BB52_68 Depth=2
	v_min_i32_e32 v11, v11, v38
	v_cndmask_b32_e32 v38, v11, v38, vcc
	s_and_b64 s[30:31], vcc, exec
                                        ; implicit-def: $vgpr11
; %bb.70:                               ;   in Loop: Header=BB52_68 Depth=2
	s_andn2_saveexec_b64 s[34:35], s[34:35]
	s_cbranch_execz .LBB52_67
; %bb.71:                               ;   in Loop: Header=BB52_68 Depth=2
	v_subrev_u32_e32 v11, s74, v11
	v_lshlrev_b32_e32 v11, 2, v11
	ds_write_b32 v11, v36 offset:10240
	s_and_saveexec_b64 s[78:79], s[4:5]
	s_cbranch_execz .LBB52_66
; %bb.72:                               ;   in Loop: Header=BB52_68 Depth=2
	v_ashrrev_i32_e32 v13, 31, v12
	v_lshlrev_b64 v[14:15], 3, v[12:13]
	v_mov_b32_e32 v13, s47
	v_add_co_u32_e32 v14, vcc, s46, v14
	v_addc_co_u32_e32 v15, vcc, v13, v15, vcc
	global_load_dwordx2 v[14:15], v[14:15], off
	v_or3_b32 v11, v11, v9, v2
	v_lshlrev_b32_e32 v11, 3, v11
	s_waitcnt vmcnt(0)
	v_mul_f32_e64 v13, v15, -s90
	v_mul_f32_e32 v15, s72, v15
	v_fmac_f32_e32 v13, s72, v14
	v_fmac_f32_e32 v15, s90, v14
	ds_add_f32 v11, v13
	ds_add_f32 v11, v15 offset:4
	s_branch .LBB52_66
.LBB52_73:                              ;   in Loop: Header=BB52_20 Depth=1
	s_or_b64 exec, exec, s[76:77]
.LBB52_74:                              ;   in Loop: Header=BB52_20 Depth=1
	s_or_b64 exec, exec, s[60:61]
.LBB52_75:                              ;   in Loop: Header=BB52_20 Depth=1
	s_and_saveexec_b64 s[30:31], s[8:9]
	s_cbranch_execz .LBB52_80
; %bb.76:                               ;   in Loop: Header=BB52_20 Depth=1
	s_mov_b64 s[34:35], exec
	s_brev_b32 s60, -2
.LBB52_77:                              ;   Parent Loop BB52_20 Depth=1
                                        ; =>  This Inner Loop Header: Depth=2
	s_ff1_i32_b64 s61, s[34:35]
	v_readlane_b32 s75, v38, s61
	s_lshl_b64 s[76:77], 1, s61
	s_min_i32 s60, s60, s75
	s_andn2_b64 s[34:35], s[34:35], s[76:77]
	s_cmp_lg_u64 s[34:35], 0
	s_cbranch_scc1 .LBB52_77
; %bb.78:                               ;   in Loop: Header=BB52_20 Depth=1
	v_mbcnt_lo_u32_b32 v10, exec_lo, 0
	v_mbcnt_hi_u32_b32 v10, exec_hi, v10
	v_cmp_eq_u32_e32 vcc, 0, v10
	s_and_saveexec_b64 s[34:35], vcc
	s_xor_b64 s[34:35], exec, s[34:35]
	s_cbranch_execz .LBB52_80
; %bb.79:                               ;   in Loop: Header=BB52_20 Depth=1
	v_mov_b32_e32 v10, s60
	ds_min_i32 v0, v10 offset:11264
.LBB52_80:                              ;   in Loop: Header=BB52_20 Depth=1
	s_or_b64 exec, exec, s[30:31]
	s_waitcnt lgkmcnt(0)
	s_barrier
	ds_read_b32 v10, v21
	s_waitcnt lgkmcnt(0)
	s_barrier
	s_and_saveexec_b64 s[30:31], s[12:13]
	s_cbranch_execz .LBB52_82
; %bb.81:                               ;   in Loop: Header=BB52_20 Depth=1
	ds_read_b32 v11, v22
	s_waitcnt lgkmcnt(0)
	v_add_u32_e32 v10, v11, v10
.LBB52_82:                              ;   in Loop: Header=BB52_20 Depth=1
	s_or_b64 exec, exec, s[30:31]
	s_barrier
	ds_write_b32 v21, v10
	s_waitcnt lgkmcnt(0)
	s_barrier
	s_and_saveexec_b64 s[30:31], s[14:15]
	s_cbranch_execz .LBB52_84
; %bb.83:                               ;   in Loop: Header=BB52_20 Depth=1
	ds_read_b32 v11, v23
	s_waitcnt lgkmcnt(0)
	v_add_u32_e32 v10, v11, v10
.LBB52_84:                              ;   in Loop: Header=BB52_20 Depth=1
	s_or_b64 exec, exec, s[30:31]
	s_barrier
	ds_write_b32 v21, v10
	s_waitcnt lgkmcnt(0)
	s_barrier
	s_and_saveexec_b64 s[30:31], s[16:17]
	s_cbranch_execz .LBB52_86
; %bb.85:                               ;   in Loop: Header=BB52_20 Depth=1
	ds_read_b32 v11, v24
	s_waitcnt lgkmcnt(0)
	v_add_u32_e32 v10, v11, v10
.LBB52_86:                              ;   in Loop: Header=BB52_20 Depth=1
	s_or_b64 exec, exec, s[30:31]
	s_barrier
	ds_write_b32 v21, v10
	s_waitcnt lgkmcnt(0)
	s_barrier
	s_and_saveexec_b64 s[30:31], s[18:19]
	s_cbranch_execz .LBB52_88
; %bb.87:                               ;   in Loop: Header=BB52_20 Depth=1
	ds_read_b32 v11, v25
	s_waitcnt lgkmcnt(0)
	v_add_u32_e32 v10, v11, v10
.LBB52_88:                              ;   in Loop: Header=BB52_20 Depth=1
	s_or_b64 exec, exec, s[30:31]
	s_barrier
	ds_write_b32 v21, v10
	s_waitcnt lgkmcnt(0)
	s_barrier
	s_and_saveexec_b64 s[30:31], s[20:21]
	s_cbranch_execz .LBB52_90
; %bb.89:                               ;   in Loop: Header=BB52_20 Depth=1
	ds_read_b32 v11, v26
	s_waitcnt lgkmcnt(0)
	v_add_u32_e32 v10, v11, v10
.LBB52_90:                              ;   in Loop: Header=BB52_20 Depth=1
	s_or_b64 exec, exec, s[30:31]
	s_barrier
	ds_write_b32 v21, v10
	s_waitcnt lgkmcnt(0)
	s_barrier
	s_and_saveexec_b64 s[30:31], s[22:23]
	s_cbranch_execz .LBB52_92
; %bb.91:                               ;   in Loop: Header=BB52_20 Depth=1
	ds_read_b32 v11, v27
	s_waitcnt lgkmcnt(0)
	v_add_u32_e32 v10, v11, v10
.LBB52_92:                              ;   in Loop: Header=BB52_20 Depth=1
	s_or_b64 exec, exec, s[30:31]
	s_barrier
	ds_write_b32 v21, v10
	s_waitcnt lgkmcnt(0)
	s_barrier
	s_and_saveexec_b64 s[30:31], s[24:25]
	s_cbranch_execz .LBB52_94
; %bb.93:                               ;   in Loop: Header=BB52_20 Depth=1
	ds_read_b32 v11, v28
	s_waitcnt lgkmcnt(0)
	v_add_u32_e32 v10, v11, v10
.LBB52_94:                              ;   in Loop: Header=BB52_20 Depth=1
	s_or_b64 exec, exec, s[30:31]
	s_barrier
	ds_write_b32 v21, v10
	s_waitcnt lgkmcnt(0)
	s_barrier
	s_and_saveexec_b64 s[30:31], s[26:27]
	s_cbranch_execz .LBB52_96
; %bb.95:                               ;   in Loop: Header=BB52_20 Depth=1
	ds_read_b32 v11, v29
	s_waitcnt lgkmcnt(0)
	v_add_u32_e32 v10, v11, v10
.LBB52_96:                              ;   in Loop: Header=BB52_20 Depth=1
	s_or_b64 exec, exec, s[30:31]
	s_barrier
	ds_write_b32 v21, v10
	s_waitcnt lgkmcnt(0)
	s_barrier
	ds_read_b32 v12, v0 offset:11260
	v_mov_b32_e32 v11, 0
	s_and_saveexec_b64 s[30:31], s[10:11]
	s_cbranch_execz .LBB52_98
; %bb.97:                               ;   in Loop: Header=BB52_20 Depth=1
	ds_read_b32 v11, v22
.LBB52_98:                              ;   in Loop: Header=BB52_20 Depth=1
	s_or_b64 exec, exec, s[30:31]
	s_waitcnt lgkmcnt(0)
	v_cmp_eq_u32_e32 vcc, v10, v11
	s_and_b64 s[34:35], s[10:11], vcc
	s_barrier
	s_and_saveexec_b64 s[30:31], s[34:35]
	s_cbranch_execz .LBB52_100
; %bb.99:                               ;   in Loop: Header=BB52_20 Depth=1
	ds_write_b32 v21, v0
.LBB52_100:                             ;   in Loop: Header=BB52_20 Depth=1
	s_or_b64 exec, exec, s[30:31]
	v_add_u32_e32 v13, -1, v35
	s_add_i32 s60, s42, s74
	s_mov_b64 s[30:31], 0
	v_mov_b32_e32 v14, v34
	v_mov_b32_e32 v15, v33
	;; [unrolled: 1-line block ×3, first 2 shown]
	s_waitcnt lgkmcnt(0)
	s_barrier
	s_branch .LBB52_102
.LBB52_101:                             ;   in Loop: Header=BB52_102 Depth=2
	s_or_b64 exec, exec, s[34:35]
	v_add_u32_e32 v10, 64, v16
	v_cmp_lt_u32_e32 vcc, s92, v16
	v_add_u32_e32 v15, 0x800, v15
	v_add_u32_e32 v14, 0x100, v14
	s_or_b64 s[30:31], vcc, s[30:31]
	v_mov_b32_e32 v16, v10
	s_andn2_b64 exec, exec, s[30:31]
	s_cbranch_execz .LBB52_19
.LBB52_102:                             ;   Parent Loop BB52_20 Depth=1
                                        ; =>  This Inner Loop Header: Depth=2
	ds_read_b32 v10, v14
	s_waitcnt lgkmcnt(0)
	v_cmp_ne_u32_e32 vcc, 0, v10
	s_and_saveexec_b64 s[34:35], vcc
	s_cbranch_execz .LBB52_101
; %bb.103:                              ;   in Loop: Header=BB52_102 Depth=2
	v_add_u32_e32 v10, v13, v10
	v_ashrrev_i32_e32 v11, 31, v10
	v_lshlrev_b64 v[18:19], 2, v[10:11]
	v_mov_b32_e32 v11, s51
	v_add_co_u32_e32 v18, vcc, s50, v18
	v_add_u32_e32 v17, s60, v16
	v_addc_co_u32_e32 v19, vcc, v11, v19, vcc
	global_store_dword v[18:19], v17, off
	s_and_b64 exec, exec, s[4:5]
	s_cbranch_execz .LBB52_101
; %bb.104:                              ;   in Loop: Header=BB52_102 Depth=2
	v_mad_u64_u32 v[10:11], s[74:75], v10, s70, v[6:7]
	ds_read_b64 v[18:19], v15
	v_mad_u64_u32 v[10:11], s[74:75], v10, s70, v[8:9]
	v_ashrrev_i32_e32 v11, 31, v10
	v_lshlrev_b64 v[10:11], 3, v[10:11]
	v_mov_b32_e32 v17, s37
	v_add_co_u32_e32 v10, vcc, s36, v10
	v_addc_co_u32_e32 v11, vcc, v17, v11, vcc
	s_waitcnt lgkmcnt(0)
	global_store_dwordx2 v[10:11], v[18:19], off
	s_branch .LBB52_101
.LBB52_105:
	s_endpgm
	.section	.rodata,"a",@progbits
	.p2align	6, 0x0
	.amdhsa_kernel _ZN9rocsparseL38bsrgemm_block_per_row_atomic_multipassILj256ELj256ELj2Eii21rocsparse_complex_numIfEEEv20rocsparse_direction_T3_S4_PKS4_S6_NS_24const_host_device_scalarIT4_EEPKT2_S6_PKS8_SC_S6_SE_S9_SC_S6_SE_SC_PS4_PS8_PSA_21rocsparse_index_base_SI_SI_SI_bbb
		.amdhsa_group_segment_fixed_size 11268
		.amdhsa_private_segment_fixed_size 0
		.amdhsa_kernarg_size 172
		.amdhsa_user_sgpr_count 6
		.amdhsa_user_sgpr_private_segment_buffer 1
		.amdhsa_user_sgpr_dispatch_ptr 0
		.amdhsa_user_sgpr_queue_ptr 0
		.amdhsa_user_sgpr_kernarg_segment_ptr 1
		.amdhsa_user_sgpr_dispatch_id 0
		.amdhsa_user_sgpr_flat_scratch_init 0
		.amdhsa_user_sgpr_kernarg_preload_length 0
		.amdhsa_user_sgpr_kernarg_preload_offset 0
		.amdhsa_user_sgpr_private_segment_size 0
		.amdhsa_uses_dynamic_stack 0
		.amdhsa_system_sgpr_private_segment_wavefront_offset 0
		.amdhsa_system_sgpr_workgroup_id_x 1
		.amdhsa_system_sgpr_workgroup_id_y 0
		.amdhsa_system_sgpr_workgroup_id_z 0
		.amdhsa_system_sgpr_workgroup_info 0
		.amdhsa_system_vgpr_workitem_id 0
		.amdhsa_next_free_vgpr 47
		.amdhsa_next_free_sgpr 96
		.amdhsa_accum_offset 48
		.amdhsa_reserve_vcc 1
		.amdhsa_reserve_flat_scratch 0
		.amdhsa_float_round_mode_32 0
		.amdhsa_float_round_mode_16_64 0
		.amdhsa_float_denorm_mode_32 3
		.amdhsa_float_denorm_mode_16_64 3
		.amdhsa_dx10_clamp 1
		.amdhsa_ieee_mode 1
		.amdhsa_fp16_overflow 0
		.amdhsa_tg_split 0
		.amdhsa_exception_fp_ieee_invalid_op 0
		.amdhsa_exception_fp_denorm_src 0
		.amdhsa_exception_fp_ieee_div_zero 0
		.amdhsa_exception_fp_ieee_overflow 0
		.amdhsa_exception_fp_ieee_underflow 0
		.amdhsa_exception_fp_ieee_inexact 0
		.amdhsa_exception_int_div_zero 0
	.end_amdhsa_kernel
	.section	.text._ZN9rocsparseL38bsrgemm_block_per_row_atomic_multipassILj256ELj256ELj2Eii21rocsparse_complex_numIfEEEv20rocsparse_direction_T3_S4_PKS4_S6_NS_24const_host_device_scalarIT4_EEPKT2_S6_PKS8_SC_S6_SE_S9_SC_S6_SE_SC_PS4_PS8_PSA_21rocsparse_index_base_SI_SI_SI_bbb,"axG",@progbits,_ZN9rocsparseL38bsrgemm_block_per_row_atomic_multipassILj256ELj256ELj2Eii21rocsparse_complex_numIfEEEv20rocsparse_direction_T3_S4_PKS4_S6_NS_24const_host_device_scalarIT4_EEPKT2_S6_PKS8_SC_S6_SE_S9_SC_S6_SE_SC_PS4_PS8_PSA_21rocsparse_index_base_SI_SI_SI_bbb,comdat
.Lfunc_end52:
	.size	_ZN9rocsparseL38bsrgemm_block_per_row_atomic_multipassILj256ELj256ELj2Eii21rocsparse_complex_numIfEEEv20rocsparse_direction_T3_S4_PKS4_S6_NS_24const_host_device_scalarIT4_EEPKT2_S6_PKS8_SC_S6_SE_S9_SC_S6_SE_SC_PS4_PS8_PSA_21rocsparse_index_base_SI_SI_SI_bbb, .Lfunc_end52-_ZN9rocsparseL38bsrgemm_block_per_row_atomic_multipassILj256ELj256ELj2Eii21rocsparse_complex_numIfEEEv20rocsparse_direction_T3_S4_PKS4_S6_NS_24const_host_device_scalarIT4_EEPKT2_S6_PKS8_SC_S6_SE_S9_SC_S6_SE_SC_PS4_PS8_PSA_21rocsparse_index_base_SI_SI_SI_bbb
                                        ; -- End function
	.section	.AMDGPU.csdata,"",@progbits
; Kernel info:
; codeLenInByte = 3192
; NumSgprs: 100
; NumVgprs: 47
; NumAgprs: 0
; TotalNumVgprs: 47
; ScratchSize: 0
; MemoryBound: 0
; FloatMode: 240
; IeeeMode: 1
; LDSByteSize: 11268 bytes/workgroup (compile time only)
; SGPRBlocks: 12
; VGPRBlocks: 5
; NumSGPRsForWavesPerEU: 100
; NumVGPRsForWavesPerEU: 47
; AccumOffset: 48
; Occupancy: 5
; WaveLimiterHint : 1
; COMPUTE_PGM_RSRC2:SCRATCH_EN: 0
; COMPUTE_PGM_RSRC2:USER_SGPR: 6
; COMPUTE_PGM_RSRC2:TRAP_HANDLER: 0
; COMPUTE_PGM_RSRC2:TGID_X_EN: 1
; COMPUTE_PGM_RSRC2:TGID_Y_EN: 0
; COMPUTE_PGM_RSRC2:TGID_Z_EN: 0
; COMPUTE_PGM_RSRC2:TIDIG_COMP_CNT: 0
; COMPUTE_PGM_RSRC3_GFX90A:ACCUM_OFFSET: 11
; COMPUTE_PGM_RSRC3_GFX90A:TG_SPLIT: 0
	.section	.text._ZN9rocsparseL23bsrgemm_fill_wf_per_rowILj256ELj64ELj8ELj137ELj4Eii21rocsparse_complex_numIfEEEv20rocsparse_direction_T5_S4_S4_PKS4_S6_NS_24const_host_device_scalarIT6_EEPKT4_S6_PKS8_SC_S6_SE_S9_SC_S6_SE_SC_PS4_PS8_21rocsparse_index_base_SH_SH_SH_bbb,"axG",@progbits,_ZN9rocsparseL23bsrgemm_fill_wf_per_rowILj256ELj64ELj8ELj137ELj4Eii21rocsparse_complex_numIfEEEv20rocsparse_direction_T5_S4_S4_PKS4_S6_NS_24const_host_device_scalarIT6_EEPKT4_S6_PKS8_SC_S6_SE_S9_SC_S6_SE_SC_PS4_PS8_21rocsparse_index_base_SH_SH_SH_bbb,comdat
	.globl	_ZN9rocsparseL23bsrgemm_fill_wf_per_rowILj256ELj64ELj8ELj137ELj4Eii21rocsparse_complex_numIfEEEv20rocsparse_direction_T5_S4_S4_PKS4_S6_NS_24const_host_device_scalarIT6_EEPKT4_S6_PKS8_SC_S6_SE_S9_SC_S6_SE_SC_PS4_PS8_21rocsparse_index_base_SH_SH_SH_bbb ; -- Begin function _ZN9rocsparseL23bsrgemm_fill_wf_per_rowILj256ELj64ELj8ELj137ELj4Eii21rocsparse_complex_numIfEEEv20rocsparse_direction_T5_S4_S4_PKS4_S6_NS_24const_host_device_scalarIT6_EEPKT4_S6_PKS8_SC_S6_SE_S9_SC_S6_SE_SC_PS4_PS8_21rocsparse_index_base_SH_SH_SH_bbb
	.p2align	8
	.type	_ZN9rocsparseL23bsrgemm_fill_wf_per_rowILj256ELj64ELj8ELj137ELj4Eii21rocsparse_complex_numIfEEEv20rocsparse_direction_T5_S4_S4_PKS4_S6_NS_24const_host_device_scalarIT6_EEPKT4_S6_PKS8_SC_S6_SE_S9_SC_S6_SE_SC_PS4_PS8_21rocsparse_index_base_SH_SH_SH_bbb,@function
_ZN9rocsparseL23bsrgemm_fill_wf_per_rowILj256ELj64ELj8ELj137ELj4Eii21rocsparse_complex_numIfEEEv20rocsparse_direction_T5_S4_S4_PKS4_S6_NS_24const_host_device_scalarIT6_EEPKT4_S6_PKS8_SC_S6_SE_S9_SC_S6_SE_SC_PS4_PS8_21rocsparse_index_base_SH_SH_SH_bbb: ; @_ZN9rocsparseL23bsrgemm_fill_wf_per_rowILj256ELj64ELj8ELj137ELj4Eii21rocsparse_complex_numIfEEEv20rocsparse_direction_T5_S4_S4_PKS4_S6_NS_24const_host_device_scalarIT6_EEPKT4_S6_PKS8_SC_S6_SE_S9_SC_S6_SE_SC_PS4_PS8_21rocsparse_index_base_SH_SH_SH_bbb
; %bb.0:
	s_load_dwordx8 s[8:15], s[4:5], 0x68
	s_load_dwordx8 s[16:23], s[4:5], 0x48
	s_load_dword s7, s[4:5], 0xa0
	s_load_dwordx4 s[44:47], s[4:5], 0x10
	s_load_dwordx8 s[24:31], s[4:5], 0x28
	s_load_dwordx2 s[34:35], s[4:5], 0x88
	s_load_dwordx4 s[36:39], s[4:5], 0x90
	s_waitcnt lgkmcnt(0)
	s_bitcmp1_b32 s7, 0
	s_cselect_b64 s[2:3], -1, 0
	s_bitcmp1_b32 s7, 16
	s_cselect_b64 s[0:1], -1, 0
	s_xor_b64 s[0:1], s[0:1], -1
	v_cndmask_b32_e64 v1, 0, 1, s[0:1]
	s_mov_b32 s49, 0
	s_bitcmp0_b32 s7, 0
	v_cmp_ne_u32_e64 s[0:1], 1, v1
	s_mov_b32 s64, 0
	s_cbranch_scc1 .LBB53_5
; %bb.1:
	s_load_dwordx2 s[48:49], s[4:5], 0x20
	s_and_b64 vcc, exec, s[0:1]
	s_waitcnt lgkmcnt(0)
	s_mov_b32 s64, s48
	s_cbranch_vccnz .LBB53_3
; %bb.2:
	s_load_dword s64, s[48:49], 0x0
.LBB53_3:
	s_and_b64 vcc, exec, s[0:1]
	s_cbranch_vccnz .LBB53_5
; %bb.4:
	s_load_dword s49, s[48:49], 0x4
.LBB53_5:
	s_bitcmp1_b32 s7, 8
	s_cselect_b64 s[50:51], -1, 0
	s_bfe_u32 s7, s7, 0x10008
	s_mov_b32 s48, 0
	s_cmp_eq_u32 s7, 0
	s_mov_b32 s33, 0
	s_cbranch_scc1 .LBB53_11
; %bb.6:
	s_and_b64 vcc, exec, s[0:1]
	s_mov_b32 s33, s20
	s_cbranch_vccnz .LBB53_8
; %bb.7:
	s_load_dword s33, s[20:21], 0x0
.LBB53_8:
	s_and_b64 vcc, exec, s[0:1]
	s_cbranch_vccnz .LBB53_10
; %bb.9:
	s_load_dword s21, s[20:21], 0x4
.LBB53_10:
	s_waitcnt lgkmcnt(0)
	s_mov_b32 s48, s21
.LBB53_11:
	s_load_dwordx4 s[40:43], s[4:5], 0x0
	v_and_b32_e32 v4, 63, v0
	v_lshrrev_b32_e32 v1, 6, v0
	v_mov_b32_e32 v2, 0x1000
	v_lshl_or_b32 v5, v1, 5, v2
	v_cmp_gt_u32_e32 vcc, 8, v4
	s_and_saveexec_b64 s[0:1], vcc
	s_cbranch_execz .LBB53_13
; %bb.12:
	v_lshl_add_u32 v2, v4, 2, v5
	s_waitcnt lgkmcnt(0)
	v_mov_b32_e32 v3, s42
	ds_write_b32 v2, v3
.LBB53_13:
	s_or_b64 exec, exec, s[0:1]
	v_lshlrev_b32_e32 v28, 10, v1
	v_mov_b32_e32 v2, 0
	v_or_b32_e32 v6, 0xffffffc0, v4
	v_lshl_or_b32 v7, v4, 3, v28
	s_mov_b64 s[0:1], 0
	v_mov_b32_e32 v3, v2
.LBB53_14:                              ; =>This Inner Loop Header: Depth=1
	v_add_co_u32_e32 v6, vcc, 64, v6
	s_xor_b64 s[4:5], vcc, -1
	s_and_b64 s[4:5], exec, s[4:5]
	ds_write_b64 v7, v[2:3]
	s_or_b64 s[0:1], s[4:5], s[0:1]
	v_add_u32_e32 v7, 0x200, v7
	s_andn2_b64 exec, exec, s[0:1]
	s_cbranch_execnz .LBB53_14
; %bb.15:
	s_or_b64 exec, exec, s[0:1]
	v_lshl_or_b32 v6, s6, 2, v1
	s_waitcnt lgkmcnt(0)
	v_cmp_gt_i32_e32 vcc, s41, v6
	s_barrier
	s_and_saveexec_b64 s[0:1], vcc
	s_cbranch_execz .LBB53_71
; %bb.16:
	s_cmp_eq_u64 s[46:47], 0
	s_cbranch_scc1 .LBB53_18
; %bb.17:
	s_load_dword s0, s[44:45], 0x0
	v_mov_b32_e32 v7, s47
	s_waitcnt lgkmcnt(0)
	v_add_u32_e32 v2, s0, v6
	v_ashrrev_i32_e32 v3, 31, v2
	v_lshlrev_b64 v[2:3], 2, v[2:3]
	v_add_co_u32_e32 v2, vcc, s46, v2
	v_addc_co_u32_e32 v3, vcc, v7, v3, vcc
	global_load_dword v6, v[2:3], off
.LBB53_18:
	s_waitcnt vmcnt(0)
	v_ashrrev_i32_e32 v7, 31, v6
	v_lshrrev_b32_e32 v3, 4, v4
	v_and_b32_e32 v2, 3, v0
	v_bfe_u32 v4, v0, 2, 2
	s_andn2_b64 vcc, exec, s[2:3]
	v_lshlrev_b64 v[6:7], 2, v[6:7]
	s_cbranch_vccnz .LBB53_48
; %bb.19:
	v_mov_b32_e32 v9, s25
	v_add_co_u32_e32 v8, vcc, s24, v6
	v_addc_co_u32_e32 v9, vcc, v9, v7, vcc
	global_load_dwordx2 v[8:9], v[8:9], off
	v_subrev_u32_e32 v10, s36, v3
	s_waitcnt vmcnt(0)
	v_subrev_u32_e32 v29, s36, v9
	v_add_u32_e32 v8, v8, v10
	v_cmp_lt_i32_e32 vcc, v8, v29
	s_and_saveexec_b64 s[6:7], vcc
	s_cbranch_execz .LBB53_47
; %bb.20:
	s_cmp_lg_u32 s40, 0
	v_max_i32_e32 v9, v2, v4
	s_cselect_b64 s[2:3], -1, 0
	s_cmp_gt_i32 s43, 0
	v_cmp_gt_i32_e64 s[0:1], s43, v9
	s_cselect_b64 s[4:5], -1, 0
	s_mul_i32 s41, s43, s43
	v_cndmask_b32_e64 v9, 0, 1, s[2:3]
	s_add_u32 s65, s18, 4
	v_mad_u64_u32 v[10:11], s[20:21], s41, v8, v[4:5]
	v_mad_u64_u32 v[12:13], s[20:21], s43, v8, v[4:5]
	v_cmp_ne_u32_e64 s[2:3], 1, v9
	v_cndmask_b32_e64 v9, 0, 1, s[4:5]
	v_and_b32_e32 v30, 15, v0
	s_addc_u32 s66, s19, 0
	s_lshl_b32 s67, s41, 2
	v_mul_lo_u32 v12, s43, v12
	s_mov_b64 s[20:21], 0
	v_mov_b32_e32 v11, s27
	v_mov_b32_e32 v31, s31
	v_cmp_ne_u32_e64 s[4:5], 1, v9
	s_branch .LBB53_22
.LBB53_21:                              ;   in Loop: Header=BB53_22 Depth=1
	s_or_b64 exec, exec, s[24:25]
	v_add_u32_e32 v8, 4, v8
	v_cmp_ge_i32_e32 vcc, v8, v29
	v_add_u32_e32 v10, s67, v10
	s_or_b64 s[20:21], vcc, s[20:21]
	v_add_u32_e32 v12, s67, v12
	s_andn2_b64 exec, exec, s[20:21]
	s_cbranch_execz .LBB53_47
.LBB53_22:                              ; =>This Loop Header: Depth=1
                                        ;     Child Loop BB53_25 Depth 2
                                        ;       Child Loop BB53_29 Depth 3
                                        ;       Child Loop BB53_34 Depth 3
	;; [unrolled: 1-line block ×3, first 2 shown]
	v_ashrrev_i32_e32 v9, 31, v8
	v_lshlrev_b64 v[14:15], 2, v[8:9]
	v_add_co_u32_e32 v14, vcc, s26, v14
	v_addc_co_u32_e32 v15, vcc, v11, v15, vcc
	global_load_dword v9, v[14:15], off
	s_waitcnt vmcnt(0)
	v_subrev_u32_e32 v14, s36, v9
	v_ashrrev_i32_e32 v15, 31, v14
	v_lshlrev_b64 v[14:15], 2, v[14:15]
	v_add_co_u32_e32 v14, vcc, s30, v14
	v_addc_co_u32_e32 v15, vcc, v31, v15, vcc
	global_load_dwordx2 v[16:17], v[14:15], off
	s_waitcnt vmcnt(0)
	v_cmp_lt_i32_e32 vcc, v16, v17
	s_and_saveexec_b64 s[24:25], vcc
	s_cbranch_execz .LBB53_21
; %bb.23:                               ;   in Loop: Header=BB53_22 Depth=1
	v_ashrrev_i32_e32 v13, 31, v12
	v_lshlrev_b64 v[14:15], 3, v[12:13]
	v_subrev_u32_e32 v16, s37, v16
	v_mov_b32_e32 v9, s29
	v_add_co_u32_e32 v14, vcc, s28, v14
	v_mad_u64_u32 v[18:19], s[44:45], s43, v16, v[2:3]
	v_mad_u64_u32 v[20:21], s[44:45], s41, v16, v[2:3]
	v_addc_co_u32_e32 v15, vcc, v9, v15, vcc
	v_subrev_u32_e32 v9, s37, v17
	v_mul_lo_u32 v18, s43, v18
	s_mov_b64 s[44:45], 0
	s_branch .LBB53_25
.LBB53_24:                              ;   in Loop: Header=BB53_25 Depth=2
	s_or_b64 exec, exec, s[46:47]
	v_add_u32_e32 v16, 1, v16
	v_cmp_ge_i32_e32 vcc, v16, v9
	v_add_u32_e32 v18, s41, v18
	s_or_b64 s[44:45], vcc, s[44:45]
	v_add_u32_e32 v20, s41, v20
	s_andn2_b64 exec, exec, s[44:45]
	s_cbranch_execz .LBB53_21
.LBB53_25:                              ;   Parent Loop BB53_22 Depth=1
                                        ; =>  This Loop Header: Depth=2
                                        ;       Child Loop BB53_29 Depth 3
                                        ;       Child Loop BB53_34 Depth 3
	;; [unrolled: 1-line block ×3, first 2 shown]
	s_and_saveexec_b64 s[46:47], s[0:1]
	s_cbranch_execz .LBB53_24
; %bb.26:                               ;   in Loop: Header=BB53_25 Depth=2
	v_ashrrev_i32_e32 v17, 31, v16
	v_lshlrev_b64 v[22:23], 2, v[16:17]
	v_mov_b32_e32 v13, s17
	v_add_co_u32_e32 v22, vcc, s16, v22
	v_addc_co_u32_e32 v23, vcc, v13, v23, vcc
	global_load_dword v13, v[22:23], off
	s_and_b64 vcc, exec, s[2:3]
	s_cbranch_vccnz .LBB53_31
; %bb.27:                               ;   in Loop: Header=BB53_25 Depth=2
	v_mov_b32_e32 v23, 0
	s_and_b64 vcc, exec, s[4:5]
	v_mov_b32_e32 v22, v23
	s_cbranch_vccnz .LBB53_30
; %bb.28:                               ;   in Loop: Header=BB53_25 Depth=2
	v_ashrrev_i32_e32 v19, 31, v18
	v_lshlrev_b64 v[22:23], 3, v[18:19]
	v_mov_b32_e32 v17, s66
	v_add_co_u32_e32 v24, vcc, s65, v22
	v_mov_b32_e32 v22, 0
	v_addc_co_u32_e32 v25, vcc, v17, v23, vcc
	v_mov_b32_e32 v26, v10
	s_mov_b32 s27, s43
	v_mov_b32_e32 v23, v22
.LBB53_29:                              ;   Parent Loop BB53_22 Depth=1
                                        ;     Parent Loop BB53_25 Depth=2
                                        ; =>    This Inner Loop Header: Depth=3
	v_ashrrev_i32_e32 v27, 31, v26
	v_lshlrev_b64 v[34:35], 3, v[26:27]
	v_mov_b32_e32 v17, s29
	v_add_co_u32_e32 v34, vcc, s28, v34
	v_addc_co_u32_e32 v35, vcc, v17, v35, vcc
	global_load_dwordx2 v[32:33], v[24:25], off offset:-4
	s_add_i32 s27, s27, -1
	global_load_dwordx2 v[34:35], v[34:35], off
	v_add_co_u32_e32 v24, vcc, 8, v24
	v_addc_co_u32_e32 v25, vcc, 0, v25, vcc
	v_add_u32_e32 v26, s43, v26
	s_cmp_lg_u32 s27, 0
	s_waitcnt vmcnt(0)
	v_pk_fma_f32 v[22:23], v[34:35], v[32:33], v[22:23] op_sel_hi:[1,0,1]
	v_pk_fma_f32 v[22:23], v[34:35], v[32:33], v[22:23] op_sel:[1,1,0] op_sel_hi:[0,1,1] neg_lo:[1,0,0]
	s_cbranch_scc1 .LBB53_29
.LBB53_30:                              ;   in Loop: Header=BB53_25 Depth=2
	s_cbranch_execz .LBB53_32
	s_branch .LBB53_35
.LBB53_31:                              ;   in Loop: Header=BB53_25 Depth=2
                                        ; implicit-def: $vgpr23
.LBB53_32:                              ;   in Loop: Header=BB53_25 Depth=2
	v_mov_b32_e32 v23, 0
	s_and_b64 vcc, exec, s[4:5]
	v_mov_b32_e32 v22, v23
	s_cbranch_vccnz .LBB53_35
; %bb.33:                               ;   in Loop: Header=BB53_25 Depth=2
	v_mov_b32_e32 v22, 0
	v_pk_mov_b32 v[24:25], v[14:15], v[14:15] op_sel:[0,1]
	v_mov_b32_e32 v26, v20
	s_mov_b32 s27, s43
	v_mov_b32_e32 v23, v22
.LBB53_34:                              ;   Parent Loop BB53_22 Depth=1
                                        ;     Parent Loop BB53_25 Depth=2
                                        ; =>    This Inner Loop Header: Depth=3
	v_ashrrev_i32_e32 v27, 31, v26
	v_lshlrev_b64 v[34:35], 3, v[26:27]
	v_mov_b32_e32 v17, s19
	v_add_co_u32_e32 v34, vcc, s18, v34
	v_addc_co_u32_e32 v35, vcc, v17, v35, vcc
	global_load_dwordx2 v[32:33], v[24:25], off
	s_add_i32 s27, s27, -1
	global_load_dwordx2 v[34:35], v[34:35], off
	v_add_co_u32_e32 v24, vcc, 8, v24
	v_addc_co_u32_e32 v25, vcc, 0, v25, vcc
	v_add_u32_e32 v26, s43, v26
	s_cmp_eq_u32 s27, 0
	s_waitcnt vmcnt(0)
	v_pk_fma_f32 v[22:23], v[32:33], v[34:35], v[22:23] op_sel_hi:[1,0,1]
	v_pk_fma_f32 v[22:23], v[32:33], v[34:35], v[22:23] op_sel:[1,1,0] op_sel_hi:[0,1,1] neg_lo:[1,0,0]
	s_cbranch_scc0 .LBB53_34
.LBB53_35:                              ;   in Loop: Header=BB53_25 Depth=2
	s_waitcnt vmcnt(0)
	v_subrev_u32_e32 v13, s37, v13
	v_mul_f32_e64 v17, v23, -s49
	v_mul_f32_e32 v19, s64, v23
	v_fmac_f32_e32 v17, s64, v22
	v_fmac_f32_e32 v19, s49, v22
	v_and_b32_e32 v21, 7, v13
	s_mov_b64 s[52:53], 0
	s_branch .LBB53_37
.LBB53_36:                              ;   in Loop: Header=BB53_37 Depth=3
	s_or_b64 exec, exec, s[54:55]
	s_xor_b64 s[54:55], s[56:57], -1
	s_and_b64 s[54:55], exec, s[54:55]
	s_or_b64 s[52:53], s[54:55], s[52:53]
	s_andn2_b64 exec, exec, s[52:53]
	s_cbranch_execz .LBB53_24
.LBB53_37:                              ;   Parent Loop BB53_22 Depth=1
                                        ;     Parent Loop BB53_25 Depth=2
                                        ; =>    This Inner Loop Header: Depth=3
	v_lshl_add_u32 v22, v21, 2, v5
	ds_read_b32 v23, v22
                                        ; implicit-def: $sgpr56_sgpr57
	s_waitcnt lgkmcnt(0)
	v_cmp_ne_u32_e32 vcc, v23, v13
	s_and_saveexec_b64 s[54:55], vcc
	s_xor_b64 s[54:55], exec, s[54:55]
	s_cbranch_execz .LBB53_45
; %bb.38:                               ;   in Loop: Header=BB53_37 Depth=3
	v_cmp_ne_u32_e32 vcc, s42, v23
                                        ; implicit-def: $sgpr56_sgpr57
	s_and_saveexec_b64 s[58:59], vcc
	s_xor_b64 s[58:59], exec, s[58:59]
; %bb.39:                               ;   in Loop: Header=BB53_37 Depth=3
	v_add_u32_e32 v21, 1, v21
	v_and_b32_e32 v21, 7, v21
	s_mov_b64 s[56:57], -1
                                        ; implicit-def: $vgpr22
; %bb.40:                               ;   in Loop: Header=BB53_37 Depth=3
	s_andn2_saveexec_b64 s[58:59], s[58:59]
	s_cbranch_execz .LBB53_44
; %bb.41:                               ;   in Loop: Header=BB53_37 Depth=3
	v_mov_b32_e32 v23, s42
	ds_cmpst_rtn_b32 v22, v22, v23, v13
	s_mov_b64 s[62:63], -1
	s_waitcnt lgkmcnt(0)
	v_cmp_eq_u32_e32 vcc, s42, v22
	s_and_saveexec_b64 s[60:61], vcc
	s_cbranch_execz .LBB53_43
; %bb.42:                               ;   in Loop: Header=BB53_37 Depth=3
	v_lshlrev_b32_e32 v22, 3, v30
	v_lshl_or_b32 v22, v21, 7, v22
	v_add_u32_e32 v22, v28, v22
	ds_add_f32 v22, v17
	ds_add_f32 v22, v19 offset:4
	s_xor_b64 s[62:63], exec, -1
.LBB53_43:                              ;   in Loop: Header=BB53_37 Depth=3
	s_or_b64 exec, exec, s[60:61]
	s_andn2_b64 s[56:57], s[56:57], exec
	s_and_b64 s[60:61], s[62:63], exec
	s_or_b64 s[56:57], s[56:57], s[60:61]
.LBB53_44:                              ;   in Loop: Header=BB53_37 Depth=3
	s_or_b64 exec, exec, s[58:59]
	s_and_b64 s[56:57], s[56:57], exec
.LBB53_45:                              ;   in Loop: Header=BB53_37 Depth=3
	s_andn2_saveexec_b64 s[54:55], s[54:55]
	s_cbranch_execz .LBB53_36
; %bb.46:                               ;   in Loop: Header=BB53_37 Depth=3
	v_lshlrev_b32_e32 v22, 3, v30
	v_lshl_or_b32 v22, v21, 7, v22
	v_add_u32_e32 v22, v28, v22
	ds_add_f32 v22, v17
	ds_add_f32 v22, v19 offset:4
	s_andn2_b64 s[56:57], s[56:57], exec
	s_branch .LBB53_36
.LBB53_47:
	s_or_b64 exec, exec, s[6:7]
.LBB53_48:
	s_andn2_b64 vcc, exec, s[50:51]
	s_waitcnt lgkmcnt(0)
	s_barrier
	s_cbranch_vccnz .LBB53_66
; %bb.49:
	v_mov_b32_e32 v9, s23
	v_add_co_u32_e32 v8, vcc, s22, v6
	v_addc_co_u32_e32 v9, vcc, v9, v7, vcc
	global_load_dwordx2 v[8:9], v[8:9], off
	v_subrev_u32_e32 v10, s39, v3
	s_waitcnt vmcnt(0)
	v_subrev_u32_e32 v11, s39, v9
	v_add_u32_e32 v8, v8, v10
	v_cmp_lt_i32_e32 vcc, v8, v11
	s_and_saveexec_b64 s[2:3], vcc
	s_cbranch_execz .LBB53_65
; %bb.50:
	v_max_i32_e32 v9, v2, v4
	s_cmp_eq_u32 s40, 0
	v_cmp_gt_i32_e32 vcc, s43, v9
	v_and_b32_e32 v9, 15, v0
	s_cselect_b64 s[0:1], -1, 0
	v_cndmask_b32_e64 v0, v2, v4, s[0:1]
	v_cndmask_b32_e64 v10, v4, v2, s[0:1]
	s_mov_b64 s[4:5], 0
	v_lshlrev_b32_e32 v12, 3, v9
	s_branch .LBB53_52
.LBB53_51:                              ;   in Loop: Header=BB53_52 Depth=1
	s_or_b64 exec, exec, s[6:7]
	v_add_u32_e32 v8, 4, v8
	v_cmp_ge_i32_e64 s[0:1], v8, v11
	s_or_b64 s[4:5], s[0:1], s[4:5]
	s_andn2_b64 exec, exec, s[4:5]
	s_cbranch_execz .LBB53_65
.LBB53_52:                              ; =>This Loop Header: Depth=1
                                        ;     Child Loop BB53_55 Depth 2
	s_and_saveexec_b64 s[6:7], vcc
	s_cbranch_execz .LBB53_51
; %bb.53:                               ;   in Loop: Header=BB53_52 Depth=1
	v_ashrrev_i32_e32 v9, 31, v8
	v_lshlrev_b64 v[14:15], 2, v[8:9]
	v_mov_b32_e32 v9, s9
	v_add_co_u32_e64 v14, s[0:1], s8, v14
	v_addc_co_u32_e64 v15, s[0:1], v9, v15, s[0:1]
	global_load_dword v9, v[14:15], off
	v_mad_u64_u32 v[14:15], s[0:1], v8, s43, v[0:1]
	v_mad_u64_u32 v[14:15], s[0:1], v14, s43, v[10:11]
	v_ashrrev_i32_e32 v15, 31, v14
	v_lshlrev_b64 v[14:15], 3, v[14:15]
	v_mov_b32_e32 v13, s11
	v_add_co_u32_e64 v14, s[0:1], s10, v14
	v_addc_co_u32_e64 v15, s[0:1], v13, v15, s[0:1]
	global_load_dwordx2 v[16:17], v[14:15], off
	s_mov_b64 s[16:17], 0
	s_waitcnt vmcnt(1)
	v_subrev_u32_e32 v9, s39, v9
	v_and_b32_e32 v14, 7, v9
	s_waitcnt vmcnt(0)
	v_mul_f32_e64 v13, v17, -s48
	v_mul_f32_e32 v15, s33, v17
	v_fmac_f32_e32 v13, s33, v16
	v_fmac_f32_e32 v15, s48, v16
	s_branch .LBB53_55
.LBB53_54:                              ;   in Loop: Header=BB53_55 Depth=2
	s_or_b64 exec, exec, s[0:1]
	s_xor_b64 s[0:1], s[20:21], -1
	s_and_b64 s[0:1], exec, s[0:1]
	s_or_b64 s[16:17], s[0:1], s[16:17]
	s_andn2_b64 exec, exec, s[16:17]
	s_cbranch_execz .LBB53_51
.LBB53_55:                              ;   Parent Loop BB53_52 Depth=1
                                        ; =>  This Inner Loop Header: Depth=2
	v_lshl_add_u32 v16, v14, 2, v5
	ds_read_b32 v17, v16
                                        ; implicit-def: $sgpr20_sgpr21
	s_waitcnt lgkmcnt(0)
	v_cmp_ne_u32_e64 s[0:1], v17, v9
	s_and_saveexec_b64 s[18:19], s[0:1]
	s_xor_b64 s[18:19], exec, s[18:19]
	s_cbranch_execz .LBB53_63
; %bb.56:                               ;   in Loop: Header=BB53_55 Depth=2
	v_cmp_ne_u32_e64 s[0:1], s42, v17
                                        ; implicit-def: $sgpr20_sgpr21
	s_and_saveexec_b64 s[22:23], s[0:1]
	s_xor_b64 s[0:1], exec, s[22:23]
; %bb.57:                               ;   in Loop: Header=BB53_55 Depth=2
	v_add_u32_e32 v14, 1, v14
	v_and_b32_e32 v14, 7, v14
	s_mov_b64 s[20:21], -1
                                        ; implicit-def: $vgpr16
; %bb.58:                               ;   in Loop: Header=BB53_55 Depth=2
	s_andn2_saveexec_b64 s[22:23], s[0:1]
	s_cbranch_execz .LBB53_62
; %bb.59:                               ;   in Loop: Header=BB53_55 Depth=2
	v_mov_b32_e32 v17, s42
	ds_cmpst_rtn_b32 v16, v16, v17, v9
	s_mov_b64 s[26:27], -1
	s_waitcnt lgkmcnt(0)
	v_cmp_eq_u32_e64 s[0:1], s42, v16
	s_and_saveexec_b64 s[24:25], s[0:1]
	s_cbranch_execz .LBB53_61
; %bb.60:                               ;   in Loop: Header=BB53_55 Depth=2
	v_lshl_or_b32 v16, v14, 7, v12
	v_add_u32_e32 v16, v28, v16
	ds_add_f32 v16, v13
	ds_add_f32 v16, v15 offset:4
	s_xor_b64 s[26:27], exec, -1
.LBB53_61:                              ;   in Loop: Header=BB53_55 Depth=2
	s_or_b64 exec, exec, s[24:25]
	s_andn2_b64 s[0:1], s[20:21], exec
	s_and_b64 s[20:21], s[26:27], exec
	s_or_b64 s[20:21], s[0:1], s[20:21]
.LBB53_62:                              ;   in Loop: Header=BB53_55 Depth=2
	s_or_b64 exec, exec, s[22:23]
	s_and_b64 s[20:21], s[20:21], exec
.LBB53_63:                              ;   in Loop: Header=BB53_55 Depth=2
	s_andn2_saveexec_b64 s[0:1], s[18:19]
	s_cbranch_execz .LBB53_54
; %bb.64:                               ;   in Loop: Header=BB53_55 Depth=2
	v_lshl_or_b32 v16, v14, 7, v12
	v_add_u32_e32 v16, v28, v16
	ds_add_f32 v16, v13
	ds_add_f32 v16, v15 offset:4
	s_andn2_b64 s[20:21], s[20:21], exec
	s_branch .LBB53_54
.LBB53_65:
	s_or_b64 exec, exec, s[2:3]
.LBB53_66:
	v_mov_b32_e32 v0, s13
	v_add_co_u32_e32 v6, vcc, s12, v6
	v_addc_co_u32_e32 v7, vcc, v0, v7, vcc
	s_waitcnt lgkmcnt(0)
	s_barrier
	global_load_dword v0, v[6:7], off
	s_cmp_eq_u32 s40, 0
	v_max_i32_e32 v7, v2, v4
	v_lshlrev_b32_e32 v1, 5, v1
	v_lshlrev_b32_e32 v8, 2, v3
	s_movk_i32 s2, 0x1000
	s_cselect_b64 s[0:1], -1, 0
	v_cmp_gt_i32_e32 vcc, s43, v7
	v_or3_b32 v7, v1, v8, s2
	v_cndmask_b32_e64 v1, v4, v2, s[0:1]
	v_lshlrev_b32_e32 v1, 3, v1
	v_cndmask_b32_e64 v9, v2, v4, s[0:1]
	v_lshl_or_b32 v1, v3, 7, v1
	v_lshl_or_b32 v1, v9, 5, v1
	v_or_b32_e32 v6, -4, v3
	v_add_u32_e32 v3, v28, v1
	s_mov_b64 s[2:3], 0
	s_waitcnt vmcnt(0)
	v_subrev_u32_e32 v8, s38, v0
	s_branch .LBB53_68
.LBB53_67:                              ;   in Loop: Header=BB53_68 Depth=1
	s_or_b64 exec, exec, s[4:5]
	v_add_co_u32_e64 v6, s[0:1], 4, v6
	s_xor_b64 s[0:1], s[0:1], -1
	s_and_b64 s[0:1], exec, s[0:1]
	v_add_u32_e32 v3, 0x200, v3
	s_or_b64 s[2:3], s[0:1], s[2:3]
	v_add_u32_e32 v7, 16, v7
	s_andn2_b64 exec, exec, s[2:3]
	s_cbranch_execz .LBB53_71
.LBB53_68:                              ; =>This Inner Loop Header: Depth=1
	ds_read_b32 v1, v7
	s_waitcnt lgkmcnt(0)
	v_cmp_gt_i32_e64 s[0:1], s42, v1
	s_and_saveexec_b64 s[4:5], s[0:1]
	s_cbranch_execz .LBB53_67
; %bb.69:                               ;   in Loop: Header=BB53_68 Depth=1
	ds_read_b128 v[10:13], v5
	ds_read_b128 v[14:17], v5 offset:16
	s_waitcnt lgkmcnt(1)
	v_cmp_gt_i32_e64 s[0:1], v1, v10
	v_cndmask_b32_e64 v0, 0, 1, s[0:1]
	v_cmp_gt_i32_e64 s[0:1], v1, v11
	v_addc_co_u32_e64 v0, s[0:1], v8, v0, s[0:1]
	v_cmp_gt_i32_e64 s[0:1], v1, v12
	v_cndmask_b32_e64 v9, 0, 1, s[0:1]
	v_cmp_gt_i32_e64 s[0:1], v1, v13
	v_addc_co_u32_e64 v0, s[0:1], v0, v9, s[0:1]
	s_waitcnt lgkmcnt(0)
	v_cmp_gt_i32_e64 s[0:1], v1, v14
	v_cndmask_b32_e64 v9, 0, 1, s[0:1]
	v_cmp_gt_i32_e64 s[0:1], v1, v15
	v_addc_co_u32_e64 v0, s[0:1], v0, v9, s[0:1]
	v_cmp_gt_i32_e64 s[0:1], v1, v16
	v_cndmask_b32_e64 v9, 0, 1, s[0:1]
	v_cmp_gt_i32_e64 s[0:1], v1, v17
	v_addc_co_u32_e64 v0, s[0:1], v0, v9, s[0:1]
	v_add_u32_e32 v9, s38, v1
	v_ashrrev_i32_e32 v1, 31, v0
	v_lshlrev_b64 v[10:11], 2, v[0:1]
	v_mov_b32_e32 v1, s15
	v_add_co_u32_e64 v10, s[0:1], s14, v10
	v_addc_co_u32_e64 v11, s[0:1], v1, v11, s[0:1]
	global_store_dword v[10:11], v9, off
	s_and_b64 exec, exec, vcc
	s_cbranch_execz .LBB53_67
; %bb.70:                               ;   in Loop: Header=BB53_68 Depth=1
	v_mad_u64_u32 v[0:1], s[0:1], v0, s43, v[4:5]
	v_mad_u64_u32 v[0:1], s[0:1], v0, s43, v[2:3]
	ds_read_b64 v[10:11], v3
	v_ashrrev_i32_e32 v1, 31, v0
	v_lshlrev_b64 v[0:1], 3, v[0:1]
	v_mov_b32_e32 v9, s35
	v_add_co_u32_e64 v0, s[0:1], s34, v0
	v_addc_co_u32_e64 v1, s[0:1], v9, v1, s[0:1]
	s_waitcnt lgkmcnt(0)
	global_store_dwordx2 v[0:1], v[10:11], off
	s_branch .LBB53_67
.LBB53_71:
	s_endpgm
	.section	.rodata,"a",@progbits
	.p2align	6, 0x0
	.amdhsa_kernel _ZN9rocsparseL23bsrgemm_fill_wf_per_rowILj256ELj64ELj8ELj137ELj4Eii21rocsparse_complex_numIfEEEv20rocsparse_direction_T5_S4_S4_PKS4_S6_NS_24const_host_device_scalarIT6_EEPKT4_S6_PKS8_SC_S6_SE_S9_SC_S6_SE_SC_PS4_PS8_21rocsparse_index_base_SH_SH_SH_bbb
		.amdhsa_group_segment_fixed_size 4224
		.amdhsa_private_segment_fixed_size 0
		.amdhsa_kernarg_size 164
		.amdhsa_user_sgpr_count 6
		.amdhsa_user_sgpr_private_segment_buffer 1
		.amdhsa_user_sgpr_dispatch_ptr 0
		.amdhsa_user_sgpr_queue_ptr 0
		.amdhsa_user_sgpr_kernarg_segment_ptr 1
		.amdhsa_user_sgpr_dispatch_id 0
		.amdhsa_user_sgpr_flat_scratch_init 0
		.amdhsa_user_sgpr_kernarg_preload_length 0
		.amdhsa_user_sgpr_kernarg_preload_offset 0
		.amdhsa_user_sgpr_private_segment_size 0
		.amdhsa_uses_dynamic_stack 0
		.amdhsa_system_sgpr_private_segment_wavefront_offset 0
		.amdhsa_system_sgpr_workgroup_id_x 1
		.amdhsa_system_sgpr_workgroup_id_y 0
		.amdhsa_system_sgpr_workgroup_id_z 0
		.amdhsa_system_sgpr_workgroup_info 0
		.amdhsa_system_vgpr_workitem_id 0
		.amdhsa_next_free_vgpr 36
		.amdhsa_next_free_sgpr 68
		.amdhsa_accum_offset 36
		.amdhsa_reserve_vcc 1
		.amdhsa_reserve_flat_scratch 0
		.amdhsa_float_round_mode_32 0
		.amdhsa_float_round_mode_16_64 0
		.amdhsa_float_denorm_mode_32 3
		.amdhsa_float_denorm_mode_16_64 3
		.amdhsa_dx10_clamp 1
		.amdhsa_ieee_mode 1
		.amdhsa_fp16_overflow 0
		.amdhsa_tg_split 0
		.amdhsa_exception_fp_ieee_invalid_op 0
		.amdhsa_exception_fp_denorm_src 0
		.amdhsa_exception_fp_ieee_div_zero 0
		.amdhsa_exception_fp_ieee_overflow 0
		.amdhsa_exception_fp_ieee_underflow 0
		.amdhsa_exception_fp_ieee_inexact 0
		.amdhsa_exception_int_div_zero 0
	.end_amdhsa_kernel
	.section	.text._ZN9rocsparseL23bsrgemm_fill_wf_per_rowILj256ELj64ELj8ELj137ELj4Eii21rocsparse_complex_numIfEEEv20rocsparse_direction_T5_S4_S4_PKS4_S6_NS_24const_host_device_scalarIT6_EEPKT4_S6_PKS8_SC_S6_SE_S9_SC_S6_SE_SC_PS4_PS8_21rocsparse_index_base_SH_SH_SH_bbb,"axG",@progbits,_ZN9rocsparseL23bsrgemm_fill_wf_per_rowILj256ELj64ELj8ELj137ELj4Eii21rocsparse_complex_numIfEEEv20rocsparse_direction_T5_S4_S4_PKS4_S6_NS_24const_host_device_scalarIT6_EEPKT4_S6_PKS8_SC_S6_SE_S9_SC_S6_SE_SC_PS4_PS8_21rocsparse_index_base_SH_SH_SH_bbb,comdat
.Lfunc_end53:
	.size	_ZN9rocsparseL23bsrgemm_fill_wf_per_rowILj256ELj64ELj8ELj137ELj4Eii21rocsparse_complex_numIfEEEv20rocsparse_direction_T5_S4_S4_PKS4_S6_NS_24const_host_device_scalarIT6_EEPKT4_S6_PKS8_SC_S6_SE_S9_SC_S6_SE_SC_PS4_PS8_21rocsparse_index_base_SH_SH_SH_bbb, .Lfunc_end53-_ZN9rocsparseL23bsrgemm_fill_wf_per_rowILj256ELj64ELj8ELj137ELj4Eii21rocsparse_complex_numIfEEEv20rocsparse_direction_T5_S4_S4_PKS4_S6_NS_24const_host_device_scalarIT6_EEPKT4_S6_PKS8_SC_S6_SE_S9_SC_S6_SE_SC_PS4_PS8_21rocsparse_index_base_SH_SH_SH_bbb
                                        ; -- End function
	.section	.AMDGPU.csdata,"",@progbits
; Kernel info:
; codeLenInByte = 2484
; NumSgprs: 72
; NumVgprs: 36
; NumAgprs: 0
; TotalNumVgprs: 36
; ScratchSize: 0
; MemoryBound: 0
; FloatMode: 240
; IeeeMode: 1
; LDSByteSize: 4224 bytes/workgroup (compile time only)
; SGPRBlocks: 8
; VGPRBlocks: 4
; NumSGPRsForWavesPerEU: 72
; NumVGPRsForWavesPerEU: 36
; AccumOffset: 36
; Occupancy: 8
; WaveLimiterHint : 1
; COMPUTE_PGM_RSRC2:SCRATCH_EN: 0
; COMPUTE_PGM_RSRC2:USER_SGPR: 6
; COMPUTE_PGM_RSRC2:TRAP_HANDLER: 0
; COMPUTE_PGM_RSRC2:TGID_X_EN: 1
; COMPUTE_PGM_RSRC2:TGID_Y_EN: 0
; COMPUTE_PGM_RSRC2:TGID_Z_EN: 0
; COMPUTE_PGM_RSRC2:TIDIG_COMP_CNT: 0
; COMPUTE_PGM_RSRC3_GFX90A:ACCUM_OFFSET: 8
; COMPUTE_PGM_RSRC3_GFX90A:TG_SPLIT: 0
	.section	.text._ZN9rocsparseL23bsrgemm_fill_wf_per_rowILj256ELj64ELj16ELj137ELj4Eii21rocsparse_complex_numIfEEEv20rocsparse_direction_T5_S4_S4_PKS4_S6_NS_24const_host_device_scalarIT6_EEPKT4_S6_PKS8_SC_S6_SE_S9_SC_S6_SE_SC_PS4_PS8_21rocsparse_index_base_SH_SH_SH_bbb,"axG",@progbits,_ZN9rocsparseL23bsrgemm_fill_wf_per_rowILj256ELj64ELj16ELj137ELj4Eii21rocsparse_complex_numIfEEEv20rocsparse_direction_T5_S4_S4_PKS4_S6_NS_24const_host_device_scalarIT6_EEPKT4_S6_PKS8_SC_S6_SE_S9_SC_S6_SE_SC_PS4_PS8_21rocsparse_index_base_SH_SH_SH_bbb,comdat
	.globl	_ZN9rocsparseL23bsrgemm_fill_wf_per_rowILj256ELj64ELj16ELj137ELj4Eii21rocsparse_complex_numIfEEEv20rocsparse_direction_T5_S4_S4_PKS4_S6_NS_24const_host_device_scalarIT6_EEPKT4_S6_PKS8_SC_S6_SE_S9_SC_S6_SE_SC_PS4_PS8_21rocsparse_index_base_SH_SH_SH_bbb ; -- Begin function _ZN9rocsparseL23bsrgemm_fill_wf_per_rowILj256ELj64ELj16ELj137ELj4Eii21rocsparse_complex_numIfEEEv20rocsparse_direction_T5_S4_S4_PKS4_S6_NS_24const_host_device_scalarIT6_EEPKT4_S6_PKS8_SC_S6_SE_S9_SC_S6_SE_SC_PS4_PS8_21rocsparse_index_base_SH_SH_SH_bbb
	.p2align	8
	.type	_ZN9rocsparseL23bsrgemm_fill_wf_per_rowILj256ELj64ELj16ELj137ELj4Eii21rocsparse_complex_numIfEEEv20rocsparse_direction_T5_S4_S4_PKS4_S6_NS_24const_host_device_scalarIT6_EEPKT4_S6_PKS8_SC_S6_SE_S9_SC_S6_SE_SC_PS4_PS8_21rocsparse_index_base_SH_SH_SH_bbb,@function
_ZN9rocsparseL23bsrgemm_fill_wf_per_rowILj256ELj64ELj16ELj137ELj4Eii21rocsparse_complex_numIfEEEv20rocsparse_direction_T5_S4_S4_PKS4_S6_NS_24const_host_device_scalarIT6_EEPKT4_S6_PKS8_SC_S6_SE_S9_SC_S6_SE_SC_PS4_PS8_21rocsparse_index_base_SH_SH_SH_bbb: ; @_ZN9rocsparseL23bsrgemm_fill_wf_per_rowILj256ELj64ELj16ELj137ELj4Eii21rocsparse_complex_numIfEEEv20rocsparse_direction_T5_S4_S4_PKS4_S6_NS_24const_host_device_scalarIT6_EEPKT4_S6_PKS8_SC_S6_SE_S9_SC_S6_SE_SC_PS4_PS8_21rocsparse_index_base_SH_SH_SH_bbb
; %bb.0:
	s_load_dwordx8 s[8:15], s[4:5], 0x68
	s_load_dwordx8 s[16:23], s[4:5], 0x48
	s_load_dword s7, s[4:5], 0xa0
	s_load_dwordx4 s[44:47], s[4:5], 0x10
	s_load_dwordx8 s[24:31], s[4:5], 0x28
	s_load_dwordx2 s[34:35], s[4:5], 0x88
	s_load_dwordx4 s[36:39], s[4:5], 0x90
	s_waitcnt lgkmcnt(0)
	s_bitcmp1_b32 s7, 0
	s_cselect_b64 s[2:3], -1, 0
	s_bitcmp1_b32 s7, 16
	s_cselect_b64 s[0:1], -1, 0
	s_xor_b64 s[0:1], s[0:1], -1
	v_cndmask_b32_e64 v1, 0, 1, s[0:1]
	s_mov_b32 s49, 0
	s_bitcmp0_b32 s7, 0
	v_cmp_ne_u32_e64 s[0:1], 1, v1
	s_mov_b32 s64, 0
	s_cbranch_scc1 .LBB54_5
; %bb.1:
	s_load_dwordx2 s[48:49], s[4:5], 0x20
	s_and_b64 vcc, exec, s[0:1]
	s_waitcnt lgkmcnt(0)
	s_mov_b32 s64, s48
	s_cbranch_vccnz .LBB54_3
; %bb.2:
	s_load_dword s64, s[48:49], 0x0
.LBB54_3:
	s_and_b64 vcc, exec, s[0:1]
	s_cbranch_vccnz .LBB54_5
; %bb.4:
	s_load_dword s49, s[48:49], 0x4
.LBB54_5:
	s_bitcmp1_b32 s7, 8
	s_cselect_b64 s[50:51], -1, 0
	s_bfe_u32 s7, s7, 0x10008
	s_mov_b32 s48, 0
	s_cmp_eq_u32 s7, 0
	s_mov_b32 s33, 0
	s_cbranch_scc1 .LBB54_11
; %bb.6:
	s_and_b64 vcc, exec, s[0:1]
	s_mov_b32 s33, s20
	s_cbranch_vccnz .LBB54_8
; %bb.7:
	s_load_dword s33, s[20:21], 0x0
.LBB54_8:
	s_and_b64 vcc, exec, s[0:1]
	s_cbranch_vccnz .LBB54_10
; %bb.9:
	s_load_dword s21, s[20:21], 0x4
.LBB54_10:
	s_waitcnt lgkmcnt(0)
	s_mov_b32 s48, s21
.LBB54_11:
	s_load_dwordx4 s[40:43], s[4:5], 0x0
	v_and_b32_e32 v4, 63, v0
	v_and_b32_e32 v2, 0xc0, v0
	v_lshrrev_b32_e32 v1, 6, v0
	v_or_b32_e32 v5, 0x2000, v2
	v_cmp_gt_u32_e32 vcc, 16, v4
	s_and_saveexec_b64 s[0:1], vcc
	s_cbranch_execz .LBB54_13
; %bb.12:
	v_lshl_add_u32 v2, v4, 2, v5
	s_waitcnt lgkmcnt(0)
	v_mov_b32_e32 v3, s42
	ds_write_b32 v2, v3
.LBB54_13:
	s_or_b64 exec, exec, s[0:1]
	v_lshlrev_b32_e32 v28, 11, v1
	v_mov_b32_e32 v2, 0
	v_or_b32_e32 v6, 0xffffffc0, v4
	v_lshl_or_b32 v7, v4, 3, v28
	s_mov_b64 s[0:1], 0
	v_mov_b32_e32 v3, v2
	s_movk_i32 s4, 0xbf
.LBB54_14:                              ; =>This Inner Loop Header: Depth=1
	v_add_u32_e32 v6, 64, v6
	v_cmp_lt_u32_e32 vcc, s4, v6
	ds_write_b64 v7, v[2:3]
	s_or_b64 s[0:1], vcc, s[0:1]
	v_add_u32_e32 v7, 0x200, v7
	s_andn2_b64 exec, exec, s[0:1]
	s_cbranch_execnz .LBB54_14
; %bb.15:
	s_or_b64 exec, exec, s[0:1]
	v_lshl_or_b32 v6, s6, 2, v1
	s_waitcnt lgkmcnt(0)
	v_cmp_gt_i32_e32 vcc, s41, v6
	s_barrier
	s_and_saveexec_b64 s[0:1], vcc
	s_cbranch_execz .LBB54_71
; %bb.16:
	s_cmp_eq_u64 s[46:47], 0
	s_cbranch_scc1 .LBB54_18
; %bb.17:
	s_load_dword s0, s[44:45], 0x0
	v_mov_b32_e32 v7, s47
	s_waitcnt lgkmcnt(0)
	v_add_u32_e32 v2, s0, v6
	v_ashrrev_i32_e32 v3, 31, v2
	v_lshlrev_b64 v[2:3], 2, v[2:3]
	v_add_co_u32_e32 v2, vcc, s46, v2
	v_addc_co_u32_e32 v3, vcc, v7, v3, vcc
	global_load_dword v6, v[2:3], off
.LBB54_18:
	s_waitcnt vmcnt(0)
	v_ashrrev_i32_e32 v7, 31, v6
	v_lshrrev_b32_e32 v3, 4, v4
	v_and_b32_e32 v2, 3, v0
	v_bfe_u32 v4, v0, 2, 2
	s_andn2_b64 vcc, exec, s[2:3]
	v_lshlrev_b64 v[6:7], 2, v[6:7]
	s_cbranch_vccnz .LBB54_48
; %bb.19:
	v_mov_b32_e32 v9, s25
	v_add_co_u32_e32 v8, vcc, s24, v6
	v_addc_co_u32_e32 v9, vcc, v9, v7, vcc
	global_load_dwordx2 v[8:9], v[8:9], off
	v_subrev_u32_e32 v10, s36, v3
	s_waitcnt vmcnt(0)
	v_subrev_u32_e32 v29, s36, v9
	v_add_u32_e32 v8, v8, v10
	v_cmp_lt_i32_e32 vcc, v8, v29
	s_and_saveexec_b64 s[6:7], vcc
	s_cbranch_execz .LBB54_47
; %bb.20:
	s_cmp_lg_u32 s40, 0
	v_max_i32_e32 v9, v2, v4
	s_cselect_b64 s[2:3], -1, 0
	s_cmp_gt_i32 s43, 0
	v_cmp_gt_i32_e64 s[0:1], s43, v9
	s_cselect_b64 s[4:5], -1, 0
	s_mul_i32 s41, s43, s43
	v_cndmask_b32_e64 v9, 0, 1, s[2:3]
	s_add_u32 s65, s18, 4
	v_mad_u64_u32 v[10:11], s[20:21], s41, v8, v[4:5]
	v_mad_u64_u32 v[12:13], s[20:21], s43, v8, v[4:5]
	v_cmp_ne_u32_e64 s[2:3], 1, v9
	v_cndmask_b32_e64 v9, 0, 1, s[4:5]
	v_and_b32_e32 v30, 15, v0
	s_addc_u32 s66, s19, 0
	s_lshl_b32 s67, s41, 2
	v_mul_lo_u32 v12, s43, v12
	s_mov_b64 s[20:21], 0
	v_mov_b32_e32 v11, s27
	v_mov_b32_e32 v31, s31
	v_cmp_ne_u32_e64 s[4:5], 1, v9
	s_branch .LBB54_22
.LBB54_21:                              ;   in Loop: Header=BB54_22 Depth=1
	s_or_b64 exec, exec, s[24:25]
	v_add_u32_e32 v8, 4, v8
	v_cmp_ge_i32_e32 vcc, v8, v29
	v_add_u32_e32 v10, s67, v10
	s_or_b64 s[20:21], vcc, s[20:21]
	v_add_u32_e32 v12, s67, v12
	s_andn2_b64 exec, exec, s[20:21]
	s_cbranch_execz .LBB54_47
.LBB54_22:                              ; =>This Loop Header: Depth=1
                                        ;     Child Loop BB54_25 Depth 2
                                        ;       Child Loop BB54_29 Depth 3
                                        ;       Child Loop BB54_34 Depth 3
	;; [unrolled: 1-line block ×3, first 2 shown]
	v_ashrrev_i32_e32 v9, 31, v8
	v_lshlrev_b64 v[14:15], 2, v[8:9]
	v_add_co_u32_e32 v14, vcc, s26, v14
	v_addc_co_u32_e32 v15, vcc, v11, v15, vcc
	global_load_dword v9, v[14:15], off
	s_waitcnt vmcnt(0)
	v_subrev_u32_e32 v14, s36, v9
	v_ashrrev_i32_e32 v15, 31, v14
	v_lshlrev_b64 v[14:15], 2, v[14:15]
	v_add_co_u32_e32 v14, vcc, s30, v14
	v_addc_co_u32_e32 v15, vcc, v31, v15, vcc
	global_load_dwordx2 v[16:17], v[14:15], off
	s_waitcnt vmcnt(0)
	v_cmp_lt_i32_e32 vcc, v16, v17
	s_and_saveexec_b64 s[24:25], vcc
	s_cbranch_execz .LBB54_21
; %bb.23:                               ;   in Loop: Header=BB54_22 Depth=1
	v_ashrrev_i32_e32 v13, 31, v12
	v_lshlrev_b64 v[14:15], 3, v[12:13]
	v_subrev_u32_e32 v16, s37, v16
	v_mov_b32_e32 v9, s29
	v_add_co_u32_e32 v14, vcc, s28, v14
	v_mad_u64_u32 v[18:19], s[44:45], s43, v16, v[2:3]
	v_mad_u64_u32 v[20:21], s[44:45], s41, v16, v[2:3]
	v_addc_co_u32_e32 v15, vcc, v9, v15, vcc
	v_subrev_u32_e32 v9, s37, v17
	v_mul_lo_u32 v18, s43, v18
	s_mov_b64 s[44:45], 0
	s_branch .LBB54_25
.LBB54_24:                              ;   in Loop: Header=BB54_25 Depth=2
	s_or_b64 exec, exec, s[46:47]
	v_add_u32_e32 v16, 1, v16
	v_cmp_ge_i32_e32 vcc, v16, v9
	v_add_u32_e32 v18, s41, v18
	s_or_b64 s[44:45], vcc, s[44:45]
	v_add_u32_e32 v20, s41, v20
	s_andn2_b64 exec, exec, s[44:45]
	s_cbranch_execz .LBB54_21
.LBB54_25:                              ;   Parent Loop BB54_22 Depth=1
                                        ; =>  This Loop Header: Depth=2
                                        ;       Child Loop BB54_29 Depth 3
                                        ;       Child Loop BB54_34 Depth 3
	;; [unrolled: 1-line block ×3, first 2 shown]
	s_and_saveexec_b64 s[46:47], s[0:1]
	s_cbranch_execz .LBB54_24
; %bb.26:                               ;   in Loop: Header=BB54_25 Depth=2
	v_ashrrev_i32_e32 v17, 31, v16
	v_lshlrev_b64 v[22:23], 2, v[16:17]
	v_mov_b32_e32 v13, s17
	v_add_co_u32_e32 v22, vcc, s16, v22
	v_addc_co_u32_e32 v23, vcc, v13, v23, vcc
	global_load_dword v13, v[22:23], off
	s_and_b64 vcc, exec, s[2:3]
	s_cbranch_vccnz .LBB54_31
; %bb.27:                               ;   in Loop: Header=BB54_25 Depth=2
	v_mov_b32_e32 v23, 0
	s_and_b64 vcc, exec, s[4:5]
	v_mov_b32_e32 v22, v23
	s_cbranch_vccnz .LBB54_30
; %bb.28:                               ;   in Loop: Header=BB54_25 Depth=2
	v_ashrrev_i32_e32 v19, 31, v18
	v_lshlrev_b64 v[22:23], 3, v[18:19]
	v_mov_b32_e32 v17, s66
	v_add_co_u32_e32 v24, vcc, s65, v22
	v_mov_b32_e32 v22, 0
	v_addc_co_u32_e32 v25, vcc, v17, v23, vcc
	v_mov_b32_e32 v26, v10
	s_mov_b32 s27, s43
	v_mov_b32_e32 v23, v22
.LBB54_29:                              ;   Parent Loop BB54_22 Depth=1
                                        ;     Parent Loop BB54_25 Depth=2
                                        ; =>    This Inner Loop Header: Depth=3
	v_ashrrev_i32_e32 v27, 31, v26
	v_lshlrev_b64 v[34:35], 3, v[26:27]
	v_mov_b32_e32 v17, s29
	v_add_co_u32_e32 v34, vcc, s28, v34
	v_addc_co_u32_e32 v35, vcc, v17, v35, vcc
	global_load_dwordx2 v[32:33], v[24:25], off offset:-4
	s_add_i32 s27, s27, -1
	global_load_dwordx2 v[34:35], v[34:35], off
	v_add_co_u32_e32 v24, vcc, 8, v24
	v_addc_co_u32_e32 v25, vcc, 0, v25, vcc
	v_add_u32_e32 v26, s43, v26
	s_cmp_lg_u32 s27, 0
	s_waitcnt vmcnt(0)
	v_pk_fma_f32 v[22:23], v[34:35], v[32:33], v[22:23] op_sel_hi:[1,0,1]
	v_pk_fma_f32 v[22:23], v[34:35], v[32:33], v[22:23] op_sel:[1,1,0] op_sel_hi:[0,1,1] neg_lo:[1,0,0]
	s_cbranch_scc1 .LBB54_29
.LBB54_30:                              ;   in Loop: Header=BB54_25 Depth=2
	s_cbranch_execz .LBB54_32
	s_branch .LBB54_35
.LBB54_31:                              ;   in Loop: Header=BB54_25 Depth=2
                                        ; implicit-def: $vgpr23
.LBB54_32:                              ;   in Loop: Header=BB54_25 Depth=2
	v_mov_b32_e32 v23, 0
	s_and_b64 vcc, exec, s[4:5]
	v_mov_b32_e32 v22, v23
	s_cbranch_vccnz .LBB54_35
; %bb.33:                               ;   in Loop: Header=BB54_25 Depth=2
	v_mov_b32_e32 v22, 0
	v_pk_mov_b32 v[24:25], v[14:15], v[14:15] op_sel:[0,1]
	v_mov_b32_e32 v26, v20
	s_mov_b32 s27, s43
	v_mov_b32_e32 v23, v22
.LBB54_34:                              ;   Parent Loop BB54_22 Depth=1
                                        ;     Parent Loop BB54_25 Depth=2
                                        ; =>    This Inner Loop Header: Depth=3
	v_ashrrev_i32_e32 v27, 31, v26
	v_lshlrev_b64 v[34:35], 3, v[26:27]
	v_mov_b32_e32 v17, s19
	v_add_co_u32_e32 v34, vcc, s18, v34
	v_addc_co_u32_e32 v35, vcc, v17, v35, vcc
	global_load_dwordx2 v[32:33], v[24:25], off
	s_add_i32 s27, s27, -1
	global_load_dwordx2 v[34:35], v[34:35], off
	v_add_co_u32_e32 v24, vcc, 8, v24
	v_addc_co_u32_e32 v25, vcc, 0, v25, vcc
	v_add_u32_e32 v26, s43, v26
	s_cmp_eq_u32 s27, 0
	s_waitcnt vmcnt(0)
	v_pk_fma_f32 v[22:23], v[32:33], v[34:35], v[22:23] op_sel_hi:[1,0,1]
	v_pk_fma_f32 v[22:23], v[32:33], v[34:35], v[22:23] op_sel:[1,1,0] op_sel_hi:[0,1,1] neg_lo:[1,0,0]
	s_cbranch_scc0 .LBB54_34
.LBB54_35:                              ;   in Loop: Header=BB54_25 Depth=2
	s_waitcnt vmcnt(0)
	v_subrev_u32_e32 v13, s37, v13
	v_mul_f32_e64 v17, v23, -s49
	v_mul_f32_e32 v19, s64, v23
	v_lshl_add_u32 v21, v13, 3, v13
	v_fmac_f32_e32 v17, s64, v22
	v_fmac_f32_e32 v19, s49, v22
	v_and_b32_e32 v21, 15, v21
	s_mov_b64 s[52:53], 0
	s_branch .LBB54_37
.LBB54_36:                              ;   in Loop: Header=BB54_37 Depth=3
	s_or_b64 exec, exec, s[54:55]
	s_xor_b64 s[54:55], s[56:57], -1
	s_and_b64 s[54:55], exec, s[54:55]
	s_or_b64 s[52:53], s[54:55], s[52:53]
	s_andn2_b64 exec, exec, s[52:53]
	s_cbranch_execz .LBB54_24
.LBB54_37:                              ;   Parent Loop BB54_22 Depth=1
                                        ;     Parent Loop BB54_25 Depth=2
                                        ; =>    This Inner Loop Header: Depth=3
	v_lshl_add_u32 v22, v21, 2, v5
	ds_read_b32 v23, v22
                                        ; implicit-def: $sgpr56_sgpr57
	s_waitcnt lgkmcnt(0)
	v_cmp_ne_u32_e32 vcc, v23, v13
	s_and_saveexec_b64 s[54:55], vcc
	s_xor_b64 s[54:55], exec, s[54:55]
	s_cbranch_execz .LBB54_45
; %bb.38:                               ;   in Loop: Header=BB54_37 Depth=3
	v_cmp_ne_u32_e32 vcc, s42, v23
                                        ; implicit-def: $sgpr56_sgpr57
	s_and_saveexec_b64 s[58:59], vcc
	s_xor_b64 s[58:59], exec, s[58:59]
; %bb.39:                               ;   in Loop: Header=BB54_37 Depth=3
	v_add_u32_e32 v21, 1, v21
	v_and_b32_e32 v21, 15, v21
	s_mov_b64 s[56:57], -1
                                        ; implicit-def: $vgpr22
; %bb.40:                               ;   in Loop: Header=BB54_37 Depth=3
	s_andn2_saveexec_b64 s[58:59], s[58:59]
	s_cbranch_execz .LBB54_44
; %bb.41:                               ;   in Loop: Header=BB54_37 Depth=3
	v_mov_b32_e32 v23, s42
	ds_cmpst_rtn_b32 v22, v22, v23, v13
	s_mov_b64 s[62:63], -1
	s_waitcnt lgkmcnt(0)
	v_cmp_eq_u32_e32 vcc, s42, v22
	s_and_saveexec_b64 s[60:61], vcc
	s_cbranch_execz .LBB54_43
; %bb.42:                               ;   in Loop: Header=BB54_37 Depth=3
	v_lshlrev_b32_e32 v22, 3, v30
	v_lshl_or_b32 v22, v21, 7, v22
	v_add_u32_e32 v22, v28, v22
	ds_add_f32 v22, v17
	ds_add_f32 v22, v19 offset:4
	s_xor_b64 s[62:63], exec, -1
.LBB54_43:                              ;   in Loop: Header=BB54_37 Depth=3
	s_or_b64 exec, exec, s[60:61]
	s_andn2_b64 s[56:57], s[56:57], exec
	s_and_b64 s[60:61], s[62:63], exec
	s_or_b64 s[56:57], s[56:57], s[60:61]
.LBB54_44:                              ;   in Loop: Header=BB54_37 Depth=3
	s_or_b64 exec, exec, s[58:59]
	s_and_b64 s[56:57], s[56:57], exec
.LBB54_45:                              ;   in Loop: Header=BB54_37 Depth=3
	s_andn2_saveexec_b64 s[54:55], s[54:55]
	s_cbranch_execz .LBB54_36
; %bb.46:                               ;   in Loop: Header=BB54_37 Depth=3
	v_lshlrev_b32_e32 v22, 3, v30
	v_lshl_or_b32 v22, v21, 7, v22
	v_add_u32_e32 v22, v28, v22
	ds_add_f32 v22, v17
	ds_add_f32 v22, v19 offset:4
	s_andn2_b64 s[56:57], s[56:57], exec
	s_branch .LBB54_36
.LBB54_47:
	s_or_b64 exec, exec, s[6:7]
.LBB54_48:
	s_andn2_b64 vcc, exec, s[50:51]
	s_waitcnt lgkmcnt(0)
	s_barrier
	s_cbranch_vccnz .LBB54_66
; %bb.49:
	v_mov_b32_e32 v9, s23
	v_add_co_u32_e32 v8, vcc, s22, v6
	v_addc_co_u32_e32 v9, vcc, v9, v7, vcc
	global_load_dwordx2 v[8:9], v[8:9], off
	v_subrev_u32_e32 v10, s39, v3
	s_waitcnt vmcnt(0)
	v_subrev_u32_e32 v11, s39, v9
	v_add_u32_e32 v8, v8, v10
	v_cmp_lt_i32_e32 vcc, v8, v11
	s_and_saveexec_b64 s[2:3], vcc
	s_cbranch_execz .LBB54_65
; %bb.50:
	v_max_i32_e32 v9, v2, v4
	s_cmp_eq_u32 s40, 0
	v_cmp_gt_i32_e32 vcc, s43, v9
	v_and_b32_e32 v9, 15, v0
	s_cselect_b64 s[0:1], -1, 0
	v_cndmask_b32_e64 v0, v2, v4, s[0:1]
	v_cndmask_b32_e64 v10, v4, v2, s[0:1]
	s_mov_b64 s[4:5], 0
	v_lshlrev_b32_e32 v12, 3, v9
	s_branch .LBB54_52
.LBB54_51:                              ;   in Loop: Header=BB54_52 Depth=1
	s_or_b64 exec, exec, s[6:7]
	v_add_u32_e32 v8, 4, v8
	v_cmp_ge_i32_e64 s[0:1], v8, v11
	s_or_b64 s[4:5], s[0:1], s[4:5]
	s_andn2_b64 exec, exec, s[4:5]
	s_cbranch_execz .LBB54_65
.LBB54_52:                              ; =>This Loop Header: Depth=1
                                        ;     Child Loop BB54_55 Depth 2
	s_and_saveexec_b64 s[6:7], vcc
	s_cbranch_execz .LBB54_51
; %bb.53:                               ;   in Loop: Header=BB54_52 Depth=1
	v_ashrrev_i32_e32 v9, 31, v8
	v_lshlrev_b64 v[14:15], 2, v[8:9]
	v_mov_b32_e32 v9, s9
	v_add_co_u32_e64 v14, s[0:1], s8, v14
	v_addc_co_u32_e64 v15, s[0:1], v9, v15, s[0:1]
	global_load_dword v9, v[14:15], off
	v_mad_u64_u32 v[14:15], s[0:1], v8, s43, v[0:1]
	v_mad_u64_u32 v[14:15], s[0:1], v14, s43, v[10:11]
	v_ashrrev_i32_e32 v15, 31, v14
	v_lshlrev_b64 v[14:15], 3, v[14:15]
	v_mov_b32_e32 v13, s11
	v_add_co_u32_e64 v14, s[0:1], s10, v14
	v_addc_co_u32_e64 v15, s[0:1], v13, v15, s[0:1]
	global_load_dwordx2 v[16:17], v[14:15], off
	s_mov_b64 s[16:17], 0
	s_waitcnt vmcnt(1)
	v_subrev_u32_e32 v9, s39, v9
	v_lshl_add_u32 v15, v9, 3, v9
	v_and_b32_e32 v15, 15, v15
	s_waitcnt vmcnt(0)
	v_mul_f32_e64 v13, v17, -s48
	v_mul_f32_e32 v14, s33, v17
	v_fmac_f32_e32 v13, s33, v16
	v_fmac_f32_e32 v14, s48, v16
	s_branch .LBB54_55
.LBB54_54:                              ;   in Loop: Header=BB54_55 Depth=2
	s_or_b64 exec, exec, s[0:1]
	s_xor_b64 s[0:1], s[20:21], -1
	s_and_b64 s[0:1], exec, s[0:1]
	s_or_b64 s[16:17], s[0:1], s[16:17]
	s_andn2_b64 exec, exec, s[16:17]
	s_cbranch_execz .LBB54_51
.LBB54_55:                              ;   Parent Loop BB54_52 Depth=1
                                        ; =>  This Inner Loop Header: Depth=2
	v_lshl_add_u32 v16, v15, 2, v5
	ds_read_b32 v17, v16
                                        ; implicit-def: $sgpr20_sgpr21
	s_waitcnt lgkmcnt(0)
	v_cmp_ne_u32_e64 s[0:1], v17, v9
	s_and_saveexec_b64 s[18:19], s[0:1]
	s_xor_b64 s[18:19], exec, s[18:19]
	s_cbranch_execz .LBB54_63
; %bb.56:                               ;   in Loop: Header=BB54_55 Depth=2
	v_cmp_ne_u32_e64 s[0:1], s42, v17
                                        ; implicit-def: $sgpr20_sgpr21
	s_and_saveexec_b64 s[22:23], s[0:1]
	s_xor_b64 s[0:1], exec, s[22:23]
; %bb.57:                               ;   in Loop: Header=BB54_55 Depth=2
	v_add_u32_e32 v15, 1, v15
	v_and_b32_e32 v15, 15, v15
	s_mov_b64 s[20:21], -1
                                        ; implicit-def: $vgpr16
; %bb.58:                               ;   in Loop: Header=BB54_55 Depth=2
	s_andn2_saveexec_b64 s[22:23], s[0:1]
	s_cbranch_execz .LBB54_62
; %bb.59:                               ;   in Loop: Header=BB54_55 Depth=2
	v_mov_b32_e32 v17, s42
	ds_cmpst_rtn_b32 v16, v16, v17, v9
	s_mov_b64 s[26:27], -1
	s_waitcnt lgkmcnt(0)
	v_cmp_eq_u32_e64 s[0:1], s42, v16
	s_and_saveexec_b64 s[24:25], s[0:1]
	s_cbranch_execz .LBB54_61
; %bb.60:                               ;   in Loop: Header=BB54_55 Depth=2
	v_lshl_or_b32 v16, v15, 7, v12
	v_add_u32_e32 v16, v28, v16
	ds_add_f32 v16, v13
	ds_add_f32 v16, v14 offset:4
	s_xor_b64 s[26:27], exec, -1
.LBB54_61:                              ;   in Loop: Header=BB54_55 Depth=2
	s_or_b64 exec, exec, s[24:25]
	s_andn2_b64 s[0:1], s[20:21], exec
	s_and_b64 s[20:21], s[26:27], exec
	s_or_b64 s[20:21], s[0:1], s[20:21]
.LBB54_62:                              ;   in Loop: Header=BB54_55 Depth=2
	s_or_b64 exec, exec, s[22:23]
	s_and_b64 s[20:21], s[20:21], exec
.LBB54_63:                              ;   in Loop: Header=BB54_55 Depth=2
	s_andn2_saveexec_b64 s[0:1], s[18:19]
	s_cbranch_execz .LBB54_54
; %bb.64:                               ;   in Loop: Header=BB54_55 Depth=2
	v_lshl_or_b32 v16, v15, 7, v12
	v_add_u32_e32 v16, v28, v16
	ds_add_f32 v16, v13
	ds_add_f32 v16, v14 offset:4
	s_andn2_b64 s[20:21], s[20:21], exec
	s_branch .LBB54_54
.LBB54_65:
	s_or_b64 exec, exec, s[2:3]
.LBB54_66:
	v_mov_b32_e32 v0, s13
	v_add_co_u32_e32 v6, vcc, s12, v6
	v_addc_co_u32_e32 v7, vcc, v0, v7, vcc
	s_waitcnt lgkmcnt(0)
	s_barrier
	global_load_dword v0, v[6:7], off
	s_cmp_eq_u32 s40, 0
	v_max_i32_e32 v7, v2, v4
	v_lshlrev_b32_e32 v1, 6, v1
	v_lshlrev_b32_e32 v8, 2, v3
	s_movk_i32 s2, 0x2000
	s_cselect_b64 s[0:1], -1, 0
	v_cmp_gt_i32_e32 vcc, s43, v7
	v_or3_b32 v7, v1, v8, s2
	v_cndmask_b32_e64 v1, v4, v2, s[0:1]
	v_lshlrev_b32_e32 v1, 3, v1
	v_cndmask_b32_e64 v9, v2, v4, s[0:1]
	v_lshl_or_b32 v1, v3, 7, v1
	v_lshl_or_b32 v1, v9, 5, v1
	v_or_b32_e32 v6, -4, v3
	v_add_u32_e32 v3, v28, v1
	s_mov_b64 s[2:3], 0
	s_waitcnt vmcnt(0)
	v_subrev_u32_e32 v8, s38, v0
	s_branch .LBB54_68
.LBB54_67:                              ;   in Loop: Header=BB54_68 Depth=1
	s_or_b64 exec, exec, s[4:5]
	v_add_u32_e32 v6, 4, v6
	v_cmp_lt_u32_e64 s[0:1], 11, v6
	v_add_u32_e32 v3, 0x200, v3
	s_or_b64 s[2:3], s[0:1], s[2:3]
	v_add_u32_e32 v7, 16, v7
	s_andn2_b64 exec, exec, s[2:3]
	s_cbranch_execz .LBB54_71
.LBB54_68:                              ; =>This Inner Loop Header: Depth=1
	ds_read_b32 v1, v7
	s_waitcnt lgkmcnt(0)
	v_cmp_gt_i32_e64 s[0:1], s42, v1
	s_and_saveexec_b64 s[4:5], s[0:1]
	s_cbranch_execz .LBB54_67
; %bb.69:                               ;   in Loop: Header=BB54_68 Depth=1
	ds_read_b128 v[10:13], v5
	ds_read_b128 v[14:17], v5 offset:16
	ds_read_b128 v[18:21], v5 offset:32
	;; [unrolled: 1-line block ×3, first 2 shown]
	s_waitcnt lgkmcnt(3)
	v_cmp_gt_i32_e64 s[0:1], v1, v10
	v_cndmask_b32_e64 v0, 0, 1, s[0:1]
	v_cmp_gt_i32_e64 s[0:1], v1, v11
	v_addc_co_u32_e64 v0, s[0:1], v8, v0, s[0:1]
	v_cmp_gt_i32_e64 s[0:1], v1, v12
	v_cndmask_b32_e64 v9, 0, 1, s[0:1]
	v_cmp_gt_i32_e64 s[0:1], v1, v13
	v_addc_co_u32_e64 v0, s[0:1], v0, v9, s[0:1]
	s_waitcnt lgkmcnt(2)
	v_cmp_gt_i32_e64 s[0:1], v1, v14
	v_cndmask_b32_e64 v9, 0, 1, s[0:1]
	v_cmp_gt_i32_e64 s[0:1], v1, v15
	v_addc_co_u32_e64 v0, s[0:1], v0, v9, s[0:1]
	v_cmp_gt_i32_e64 s[0:1], v1, v16
	v_cndmask_b32_e64 v9, 0, 1, s[0:1]
	v_cmp_gt_i32_e64 s[0:1], v1, v17
	v_addc_co_u32_e64 v0, s[0:1], v0, v9, s[0:1]
	s_waitcnt lgkmcnt(1)
	v_cmp_gt_i32_e64 s[0:1], v1, v18
	v_cndmask_b32_e64 v9, 0, 1, s[0:1]
	v_cmp_gt_i32_e64 s[0:1], v1, v19
	v_addc_co_u32_e64 v0, s[0:1], v0, v9, s[0:1]
	v_cmp_gt_i32_e64 s[0:1], v1, v20
	v_cndmask_b32_e64 v9, 0, 1, s[0:1]
	v_cmp_gt_i32_e64 s[0:1], v1, v21
	v_addc_co_u32_e64 v0, s[0:1], v0, v9, s[0:1]
	s_waitcnt lgkmcnt(0)
	v_cmp_gt_i32_e64 s[0:1], v1, v22
	v_cndmask_b32_e64 v9, 0, 1, s[0:1]
	v_cmp_gt_i32_e64 s[0:1], v1, v23
	v_addc_co_u32_e64 v0, s[0:1], v0, v9, s[0:1]
	v_cmp_gt_i32_e64 s[0:1], v1, v24
	v_cndmask_b32_e64 v9, 0, 1, s[0:1]
	v_cmp_gt_i32_e64 s[0:1], v1, v25
	v_addc_co_u32_e64 v0, s[0:1], v0, v9, s[0:1]
	v_add_u32_e32 v9, s38, v1
	v_ashrrev_i32_e32 v1, 31, v0
	v_lshlrev_b64 v[10:11], 2, v[0:1]
	v_mov_b32_e32 v1, s15
	v_add_co_u32_e64 v10, s[0:1], s14, v10
	v_addc_co_u32_e64 v11, s[0:1], v1, v11, s[0:1]
	global_store_dword v[10:11], v9, off
	s_and_b64 exec, exec, vcc
	s_cbranch_execz .LBB54_67
; %bb.70:                               ;   in Loop: Header=BB54_68 Depth=1
	v_mad_u64_u32 v[0:1], s[0:1], v0, s43, v[4:5]
	v_mad_u64_u32 v[0:1], s[0:1], v0, s43, v[2:3]
	ds_read_b64 v[10:11], v3
	v_ashrrev_i32_e32 v1, 31, v0
	v_lshlrev_b64 v[0:1], 3, v[0:1]
	v_mov_b32_e32 v9, s35
	v_add_co_u32_e64 v0, s[0:1], s34, v0
	v_addc_co_u32_e64 v1, s[0:1], v9, v1, s[0:1]
	s_waitcnt lgkmcnt(0)
	global_store_dwordx2 v[0:1], v[10:11], off
	s_branch .LBB54_67
.LBB54_71:
	s_endpgm
	.section	.rodata,"a",@progbits
	.p2align	6, 0x0
	.amdhsa_kernel _ZN9rocsparseL23bsrgemm_fill_wf_per_rowILj256ELj64ELj16ELj137ELj4Eii21rocsparse_complex_numIfEEEv20rocsparse_direction_T5_S4_S4_PKS4_S6_NS_24const_host_device_scalarIT6_EEPKT4_S6_PKS8_SC_S6_SE_S9_SC_S6_SE_SC_PS4_PS8_21rocsparse_index_base_SH_SH_SH_bbb
		.amdhsa_group_segment_fixed_size 8448
		.amdhsa_private_segment_fixed_size 0
		.amdhsa_kernarg_size 164
		.amdhsa_user_sgpr_count 6
		.amdhsa_user_sgpr_private_segment_buffer 1
		.amdhsa_user_sgpr_dispatch_ptr 0
		.amdhsa_user_sgpr_queue_ptr 0
		.amdhsa_user_sgpr_kernarg_segment_ptr 1
		.amdhsa_user_sgpr_dispatch_id 0
		.amdhsa_user_sgpr_flat_scratch_init 0
		.amdhsa_user_sgpr_kernarg_preload_length 0
		.amdhsa_user_sgpr_kernarg_preload_offset 0
		.amdhsa_user_sgpr_private_segment_size 0
		.amdhsa_uses_dynamic_stack 0
		.amdhsa_system_sgpr_private_segment_wavefront_offset 0
		.amdhsa_system_sgpr_workgroup_id_x 1
		.amdhsa_system_sgpr_workgroup_id_y 0
		.amdhsa_system_sgpr_workgroup_id_z 0
		.amdhsa_system_sgpr_workgroup_info 0
		.amdhsa_system_vgpr_workitem_id 0
		.amdhsa_next_free_vgpr 36
		.amdhsa_next_free_sgpr 68
		.amdhsa_accum_offset 36
		.amdhsa_reserve_vcc 1
		.amdhsa_reserve_flat_scratch 0
		.amdhsa_float_round_mode_32 0
		.amdhsa_float_round_mode_16_64 0
		.amdhsa_float_denorm_mode_32 3
		.amdhsa_float_denorm_mode_16_64 3
		.amdhsa_dx10_clamp 1
		.amdhsa_ieee_mode 1
		.amdhsa_fp16_overflow 0
		.amdhsa_tg_split 0
		.amdhsa_exception_fp_ieee_invalid_op 0
		.amdhsa_exception_fp_denorm_src 0
		.amdhsa_exception_fp_ieee_div_zero 0
		.amdhsa_exception_fp_ieee_overflow 0
		.amdhsa_exception_fp_ieee_underflow 0
		.amdhsa_exception_fp_ieee_inexact 0
		.amdhsa_exception_int_div_zero 0
	.end_amdhsa_kernel
	.section	.text._ZN9rocsparseL23bsrgemm_fill_wf_per_rowILj256ELj64ELj16ELj137ELj4Eii21rocsparse_complex_numIfEEEv20rocsparse_direction_T5_S4_S4_PKS4_S6_NS_24const_host_device_scalarIT6_EEPKT4_S6_PKS8_SC_S6_SE_S9_SC_S6_SE_SC_PS4_PS8_21rocsparse_index_base_SH_SH_SH_bbb,"axG",@progbits,_ZN9rocsparseL23bsrgemm_fill_wf_per_rowILj256ELj64ELj16ELj137ELj4Eii21rocsparse_complex_numIfEEEv20rocsparse_direction_T5_S4_S4_PKS4_S6_NS_24const_host_device_scalarIT6_EEPKT4_S6_PKS8_SC_S6_SE_S9_SC_S6_SE_SC_PS4_PS8_21rocsparse_index_base_SH_SH_SH_bbb,comdat
.Lfunc_end54:
	.size	_ZN9rocsparseL23bsrgemm_fill_wf_per_rowILj256ELj64ELj16ELj137ELj4Eii21rocsparse_complex_numIfEEEv20rocsparse_direction_T5_S4_S4_PKS4_S6_NS_24const_host_device_scalarIT6_EEPKT4_S6_PKS8_SC_S6_SE_S9_SC_S6_SE_SC_PS4_PS8_21rocsparse_index_base_SH_SH_SH_bbb, .Lfunc_end54-_ZN9rocsparseL23bsrgemm_fill_wf_per_rowILj256ELj64ELj16ELj137ELj4Eii21rocsparse_complex_numIfEEEv20rocsparse_direction_T5_S4_S4_PKS4_S6_NS_24const_host_device_scalarIT6_EEPKT4_S6_PKS8_SC_S6_SE_S9_SC_S6_SE_SC_PS4_PS8_21rocsparse_index_base_SH_SH_SH_bbb
                                        ; -- End function
	.section	.AMDGPU.csdata,"",@progbits
; Kernel info:
; codeLenInByte = 2648
; NumSgprs: 72
; NumVgprs: 36
; NumAgprs: 0
; TotalNumVgprs: 36
; ScratchSize: 0
; MemoryBound: 0
; FloatMode: 240
; IeeeMode: 1
; LDSByteSize: 8448 bytes/workgroup (compile time only)
; SGPRBlocks: 8
; VGPRBlocks: 4
; NumSGPRsForWavesPerEU: 72
; NumVGPRsForWavesPerEU: 36
; AccumOffset: 36
; Occupancy: 7
; WaveLimiterHint : 1
; COMPUTE_PGM_RSRC2:SCRATCH_EN: 0
; COMPUTE_PGM_RSRC2:USER_SGPR: 6
; COMPUTE_PGM_RSRC2:TRAP_HANDLER: 0
; COMPUTE_PGM_RSRC2:TGID_X_EN: 1
; COMPUTE_PGM_RSRC2:TGID_Y_EN: 0
; COMPUTE_PGM_RSRC2:TGID_Z_EN: 0
; COMPUTE_PGM_RSRC2:TIDIG_COMP_CNT: 0
; COMPUTE_PGM_RSRC3_GFX90A:ACCUM_OFFSET: 8
; COMPUTE_PGM_RSRC3_GFX90A:TG_SPLIT: 0
	.section	.text._ZN9rocsparseL38bsrgemm_block_per_row_atomic_multipassILj256ELj32ELj4Eii21rocsparse_complex_numIfEEEv20rocsparse_direction_T3_S4_PKS4_S6_NS_24const_host_device_scalarIT4_EEPKT2_S6_PKS8_SC_S6_SE_S9_SC_S6_SE_SC_PS4_PS8_PSA_21rocsparse_index_base_SI_SI_SI_bbb,"axG",@progbits,_ZN9rocsparseL38bsrgemm_block_per_row_atomic_multipassILj256ELj32ELj4Eii21rocsparse_complex_numIfEEEv20rocsparse_direction_T3_S4_PKS4_S6_NS_24const_host_device_scalarIT4_EEPKT2_S6_PKS8_SC_S6_SE_S9_SC_S6_SE_SC_PS4_PS8_PSA_21rocsparse_index_base_SI_SI_SI_bbb,comdat
	.globl	_ZN9rocsparseL38bsrgemm_block_per_row_atomic_multipassILj256ELj32ELj4Eii21rocsparse_complex_numIfEEEv20rocsparse_direction_T3_S4_PKS4_S6_NS_24const_host_device_scalarIT4_EEPKT2_S6_PKS8_SC_S6_SE_S9_SC_S6_SE_SC_PS4_PS8_PSA_21rocsparse_index_base_SI_SI_SI_bbb ; -- Begin function _ZN9rocsparseL38bsrgemm_block_per_row_atomic_multipassILj256ELj32ELj4Eii21rocsparse_complex_numIfEEEv20rocsparse_direction_T3_S4_PKS4_S6_NS_24const_host_device_scalarIT4_EEPKT2_S6_PKS8_SC_S6_SE_S9_SC_S6_SE_SC_PS4_PS8_PSA_21rocsparse_index_base_SI_SI_SI_bbb
	.p2align	8
	.type	_ZN9rocsparseL38bsrgemm_block_per_row_atomic_multipassILj256ELj32ELj4Eii21rocsparse_complex_numIfEEEv20rocsparse_direction_T3_S4_PKS4_S6_NS_24const_host_device_scalarIT4_EEPKT2_S6_PKS8_SC_S6_SE_S9_SC_S6_SE_SC_PS4_PS8_PSA_21rocsparse_index_base_SI_SI_SI_bbb,@function
_ZN9rocsparseL38bsrgemm_block_per_row_atomic_multipassILj256ELj32ELj4Eii21rocsparse_complex_numIfEEEv20rocsparse_direction_T3_S4_PKS4_S6_NS_24const_host_device_scalarIT4_EEPKT2_S6_PKS8_SC_S6_SE_S9_SC_S6_SE_SC_PS4_PS8_PSA_21rocsparse_index_base_SI_SI_SI_bbb: ; @_ZN9rocsparseL38bsrgemm_block_per_row_atomic_multipassILj256ELj32ELj4Eii21rocsparse_complex_numIfEEEv20rocsparse_direction_T3_S4_PKS4_S6_NS_24const_host_device_scalarIT4_EEPKT2_S6_PKS8_SC_S6_SE_S9_SC_S6_SE_SC_PS4_PS8_PSA_21rocsparse_index_base_SI_SI_SI_bbb
; %bb.0:
	s_load_dwordx8 s[36:43], s[4:5], 0x88
	s_load_dword s2, s[4:5], 0xa8
	s_load_dwordx8 s[44:51], s[4:5], 0x68
	s_load_dwordx8 s[52:59], s[4:5], 0x48
	s_load_dwordx4 s[8:11], s[4:5], 0x10
	s_load_dwordx8 s[60:67], s[4:5], 0x28
	s_waitcnt lgkmcnt(0)
	s_bitcmp1_b32 s2, 0
	s_cselect_b64 s[24:25], -1, 0
	s_bitcmp1_b32 s2, 16
	s_cselect_b64 s[0:1], -1, 0
	s_xor_b64 s[0:1], s[0:1], -1
	v_cndmask_b32_e64 v1, 0, 1, s[0:1]
	s_mov_b32 s31, 0
	s_bitcmp0_b32 s2, 0
	v_cmp_ne_u32_e64 s[0:1], 1, v1
	s_mov_b32 s33, 0
	s_cbranch_scc1 .LBB55_5
; %bb.1:
	s_load_dwordx2 s[30:31], s[4:5], 0x20
	s_and_b64 vcc, exec, s[0:1]
	s_waitcnt lgkmcnt(0)
	s_mov_b32 s33, s30
	s_cbranch_vccnz .LBB55_3
; %bb.2:
	s_load_dword s33, s[30:31], 0x0
.LBB55_3:
	s_and_b64 vcc, exec, s[0:1]
	s_cbranch_vccnz .LBB55_5
; %bb.4:
	s_load_dword s31, s[30:31], 0x4
.LBB55_5:
	s_bitcmp1_b32 s2, 8
	s_cselect_b64 s[34:35], -1, 0
	s_bfe_u32 s2, s2, 0x10008
	s_mov_b32 s86, 0
	s_cmp_eq_u32 s2, 0
	s_mov_b32 s30, 0
	s_cbranch_scc1 .LBB55_11
; %bb.6:
	s_and_b64 vcc, exec, s[0:1]
	s_mov_b32 s30, s56
	s_cbranch_vccnz .LBB55_8
; %bb.7:
	s_load_dword s30, s[56:57], 0x0
.LBB55_8:
	s_and_b64 vcc, exec, s[0:1]
	s_cbranch_vccnz .LBB55_10
; %bb.9:
	s_load_dword s57, s[56:57], 0x4
.LBB55_10:
	s_waitcnt lgkmcnt(0)
	s_mov_b32 s86, s57
.LBB55_11:
	s_cmp_eq_u64 s[10:11], 0
	s_cbranch_scc1 .LBB55_13
; %bb.12:
	s_load_dword s0, s[8:9], 0x0
	s_mov_b32 s1, 0
	s_waitcnt lgkmcnt(0)
	s_add_i32 s0, s0, s6
	s_lshl_b64 s[0:1], s[0:1], 2
	s_add_u32 s0, s10, s0
	s_addc_u32 s1, s11, s1
	s_load_dword s6, s[0:1], 0x0
.LBB55_13:
	v_cndmask_b32_e64 v1, 0, 1, s[24:25]
	s_mov_b32 s87, 0
	v_cmp_ne_u32_e64 s[0:1], 1, v1
	s_andn2_b64 vcc, exec, s[24:25]
	s_mov_b32 s88, 0
	s_cbranch_vccz .LBB55_16
; %bb.14:
	s_and_b64 vcc, exec, s[0:1]
	s_cbranch_vccz .LBB55_17
.LBB55_15:
	s_load_dwordx4 s[68:71], s[4:5], 0x0
	s_waitcnt lgkmcnt(0)
	s_cmp_lt_i32 s69, 1
	s_cbranch_scc0 .LBB55_18
	s_branch .LBB55_101
.LBB55_16:
	s_waitcnt lgkmcnt(0)
	s_ashr_i32 s7, s6, 31
	s_lshl_b64 s[2:3], s[6:7], 2
	s_add_u32 s2, s60, s2
	s_addc_u32 s3, s61, s3
	s_load_dword s2, s[2:3], 0x0
	s_waitcnt lgkmcnt(0)
	s_sub_i32 s88, s2, s40
	s_and_b64 vcc, exec, s[0:1]
	s_cbranch_vccnz .LBB55_15
.LBB55_17:
	s_waitcnt lgkmcnt(0)
	s_ashr_i32 s7, s6, 31
	s_lshl_b64 s[0:1], s[6:7], 2
	s_add_u32 s0, s60, s0
	s_addc_u32 s1, s61, s1
	s_load_dword s0, s[0:1], 0x4
	s_waitcnt lgkmcnt(0)
	s_sub_i32 s87, s0, s40
	s_load_dwordx4 s[68:71], s[4:5], 0x0
	s_waitcnt lgkmcnt(0)
	s_cmp_lt_i32 s69, 1
	s_cbranch_scc1 .LBB55_101
.LBB55_18:
	s_ashr_i32 s7, s6, 31
	s_lshl_b64 s[10:11], s[6:7], 2
	s_add_u32 s0, s48, s10
	s_addc_u32 s1, s49, s11
	s_load_dword s0, s[0:1], 0x0
	v_and_b32_e32 v1, 15, v0
	v_and_b32_e32 v2, 3, v0
	v_bfe_u32 v4, v0, 2, 2
	v_lshrrev_b32_e32 v3, 4, v0
	s_waitcnt lgkmcnt(0)
	s_sub_i32 s28, s0, s42
	s_cmp_lt_i32 s88, s87
	s_cselect_b64 s[26:27], -1, 0
	s_cmp_eq_u32 s68, 0
	s_cselect_b64 vcc, -1, 0
	s_cmp_lg_u32 s68, 0
	s_cselect_b64 s[48:49], -1, 0
	s_cmp_gt_i32 s70, 0
	s_cselect_b64 s[56:57], -1, 0
	s_add_u32 s58, s58, s10
	s_movk_i32 s2, 0x200
	v_max_i32_e32 v5, v2, v4
	s_addc_u32 s59, s59, s11
	v_cmp_eq_u32_e64 s[10:11], 15, v1
	v_and_b32_e32 v1, 31, v0
	v_mov_b32_e32 v11, 0x1800
	v_cmp_gt_u32_e64 s[0:1], 32, v0
	v_cmp_gt_u32_e64 s[2:3], s2, v0
	v_cmp_eq_u32_e64 s[4:5], 0, v0
	v_cmp_gt_i32_e64 s[6:7], s70, v5
	v_cmp_le_i32_e64 s[8:9], s70, v5
	v_lshlrev_b32_e32 v5, 3, v0
	s_movk_i32 s29, 0x1000
	v_and_b32_e32 v9, 12, v0
	v_lshlrev_b32_e32 v10, 2, v1
	v_add_co_u32_e64 v6, s[12:13], -1, v1
	v_lshl_or_b32 v23, v0, 2, v11
	v_cmp_ne_u32_e64 s[14:15], 0, v1
	v_cmp_lt_u32_e64 s[16:17], 1, v1
	v_cmp_lt_u32_e64 s[18:19], 3, v1
	;; [unrolled: 1-line block ×4, first 2 shown]
	s_and_b64 s[24:25], s[24:25], s[26:27]
	v_or_b32_e32 v28, 0xffffff00, v0
	v_lshlrev_b32_e32 v0, 7, v3
	v_lshlrev_b32_e32 v1, 3, v4
	s_add_u32 s68, s66, 4
	v_or3_b32 v29, v0, v1, s29
	s_mul_i32 s89, s70, s70
	v_and_b32_e32 v0, 0x7e0, v5
	v_cndmask_b32_e64 v1, 0, 1, s[24:25]
	s_mov_b32 s91, 0
	v_or_b32_e32 v7, 0x1000, v5
	v_subrev_u32_e32 v20, s43, v3
	v_or_b32_e32 v21, 0x1800, v10
	v_lshl_add_u32 v22, v6, 2, v11
	v_add_u32_e32 v24, 0x17f8, v10
	v_add_u32_e32 v25, 0x17f0, v10
	;; [unrolled: 1-line block ×3, first 2 shown]
	v_cndmask_b32_e32 v6, v2, v4, vcc
	v_cndmask_b32_e32 v8, v4, v2, vcc
	v_add_u32_e32 v27, 0x17c0, v10
	s_addc_u32 s71, s67, 0
	v_or_b32_e32 v30, 0x1000, v0
	s_lshl_b32 s90, s89, 4
	v_lshl_or_b32 v31, v3, 2, v11
	v_mov_b32_e32 v34, 32
	v_mov_b32_e32 v32, s28
	;; [unrolled: 1-line block ×4, first 2 shown]
	v_cmp_ne_u32_e64 s[24:25], 1, v1
	s_branch .LBB55_20
.LBB55_19:                              ;   in Loop: Header=BB55_20 Depth=1
	s_or_b64 exec, exec, s[26:27]
	s_barrier
	ds_read_b32 v1, v0 offset:6272
	v_add_u32_e32 v32, v12, v32
	s_waitcnt lgkmcnt(0)
	s_barrier
	v_cmp_le_i32_e32 vcc, s69, v1
	v_readfirstlane_b32 s91, v1
	v_add_u32_e32 v34, 32, v1
	s_cbranch_vccnz .LBB55_101
.LBB55_20:                              ; =>This Loop Header: Depth=1
                                        ;     Child Loop BB55_24 Depth 2
                                        ;     Child Loop BB55_30 Depth 2
                                        ;       Child Loop BB55_44 Depth 3
                                        ;         Child Loop BB55_53 Depth 4
                                        ;         Child Loop BB55_58 Depth 4
                                        ;     Child Loop BB55_69 Depth 2
                                        ;     Child Loop BB55_78 Depth 2
	;; [unrolled: 1-line block ×3, first 2 shown]
	s_and_saveexec_b64 s[26:27], s[0:1]
	s_cbranch_execz .LBB55_22
; %bb.21:                               ;   in Loop: Header=BB55_20 Depth=1
	ds_write_b32 v23, v0
.LBB55_22:                              ;   in Loop: Header=BB55_20 Depth=1
	s_or_b64 exec, exec, s[26:27]
	s_and_saveexec_b64 s[26:27], s[2:3]
	s_cbranch_execz .LBB55_25
; %bb.23:                               ;   in Loop: Header=BB55_20 Depth=1
	s_mov_b64 s[28:29], 0
	v_mov_b32_e32 v10, v5
	v_mov_b32_e32 v11, v28
.LBB55_24:                              ;   Parent Loop BB55_20 Depth=1
                                        ; =>  This Inner Loop Header: Depth=2
	v_add_co_u32_e32 v11, vcc, 0x100, v11
	s_xor_b64 s[60:61], vcc, -1
	v_mov_b32_e32 v1, v0
	s_and_b64 s[60:61], exec, s[60:61]
	ds_write_b64 v10, v[0:1]
	s_or_b64 s[28:29], s[60:61], s[28:29]
	v_add_u32_e32 v10, 0x800, v10
	s_andn2_b64 exec, exec, s[28:29]
	s_cbranch_execnz .LBB55_24
.LBB55_25:                              ;   in Loop: Header=BB55_20 Depth=1
	s_or_b64 exec, exec, s[26:27]
	s_and_saveexec_b64 s[26:27], s[4:5]
	s_cbranch_execz .LBB55_27
; %bb.26:                               ;   in Loop: Header=BB55_20 Depth=1
	v_mov_b32_e32 v1, s69
	ds_write_b32 v0, v1 offset:6272
.LBB55_27:                              ;   in Loop: Header=BB55_20 Depth=1
	s_or_b64 exec, exec, s[26:27]
	s_and_b64 vcc, exec, s[24:25]
	v_mov_b32_e32 v35, s69
	s_waitcnt lgkmcnt(0)
	s_barrier
	s_cbranch_vccnz .LBB55_64
; %bb.28:                               ;   in Loop: Header=BB55_20 Depth=1
	s_cmp_lg_u32 s91, 0
	s_cselect_b64 s[60:61], -1, 0
	v_mov_b32_e32 v35, s69
	s_mov_b32 s92, s88
	s_branch .LBB55_30
.LBB55_29:                              ;   in Loop: Header=BB55_30 Depth=2
	s_or_b64 exec, exec, s[28:29]
	s_add_i32 s92, s92, 16
	s_cmp_lt_i32 s92, s87
	s_cbranch_scc0 .LBB55_64
.LBB55_30:                              ;   Parent Loop BB55_20 Depth=1
                                        ; =>  This Loop Header: Depth=2
                                        ;       Child Loop BB55_44 Depth 3
                                        ;         Child Loop BB55_53 Depth 4
                                        ;         Child Loop BB55_58 Depth 4
	v_add_u32_e32 v10, s92, v3
	v_cmp_gt_i32_e64 s[26:27], s87, v10
	s_barrier
	s_and_saveexec_b64 s[28:29], s[26:27]
	s_cbranch_execz .LBB55_35
; %bb.31:                               ;   in Loop: Header=BB55_30 Depth=2
	s_and_saveexec_b64 s[72:73], s[8:9]
	s_xor_b64 s[72:73], exec, s[72:73]
	s_cbranch_execz .LBB55_33
; %bb.32:                               ;   in Loop: Header=BB55_30 Depth=2
	v_mov_b32_e32 v1, v0
	ds_write_b64 v7, v[0:1]
.LBB55_33:                              ;   in Loop: Header=BB55_30 Depth=2
	s_andn2_saveexec_b64 s[72:73], s[72:73]
	s_cbranch_execz .LBB55_35
; %bb.34:                               ;   in Loop: Header=BB55_30 Depth=2
	v_mad_u64_u32 v[12:13], s[72:73], v10, s70, v[4:5]
	v_mad_u64_u32 v[12:13], s[72:73], v12, s70, v[2:3]
	v_ashrrev_i32_e32 v13, 31, v12
	v_lshlrev_b64 v[12:13], 3, v[12:13]
	v_mov_b32_e32 v1, s65
	v_add_co_u32_e32 v12, vcc, s64, v12
	v_addc_co_u32_e32 v13, vcc, v1, v13, vcc
	global_load_dwordx2 v[12:13], v[12:13], off
	s_waitcnt vmcnt(0)
	ds_write_b64 v7, v[12:13]
.LBB55_35:                              ;   in Loop: Header=BB55_30 Depth=2
	s_or_b64 exec, exec, s[28:29]
	v_mov_b32_e32 v1, 0
	s_waitcnt lgkmcnt(0)
	s_barrier
	s_and_saveexec_b64 s[72:73], s[26:27]
	s_cbranch_execz .LBB55_61
; %bb.36:                               ;   in Loop: Header=BB55_30 Depth=2
	v_ashrrev_i32_e32 v11, 31, v10
	v_lshlrev_b64 v[14:15], 2, v[10:11]
	v_mov_b32_e32 v1, s63
	v_add_co_u32_e32 v12, vcc, s62, v14
	v_addc_co_u32_e32 v13, vcc, v1, v15, vcc
	global_load_dword v1, v[12:13], off
	s_and_b64 vcc, exec, s[60:61]
	s_waitcnt vmcnt(0)
	v_subrev_u32_e32 v12, s40, v1
	v_ashrrev_i32_e32 v13, 31, v12
	s_cbranch_vccz .LBB55_63
; %bb.37:                               ;   in Loop: Header=BB55_30 Depth=2
	v_mov_b32_e32 v1, s39
	v_add_co_u32_e32 v14, vcc, s38, v14
	v_addc_co_u32_e32 v15, vcc, v1, v15, vcc
	global_load_dword v1, v[14:15], off
	s_cbranch_execnz .LBB55_39
.LBB55_38:                              ;   in Loop: Header=BB55_30 Depth=2
	v_lshlrev_b64 v[14:15], 2, v[12:13]
	s_waitcnt vmcnt(0)
	v_mov_b32_e32 v1, s67
	v_add_co_u32_e32 v14, vcc, s66, v14
	v_addc_co_u32_e32 v15, vcc, v1, v15, vcc
	global_load_dword v1, v[14:15], off
	s_waitcnt vmcnt(0)
	v_subrev_u32_e32 v1, s41, v1
.LBB55_39:                              ;   in Loop: Header=BB55_30 Depth=2
	v_lshlrev_b64 v[12:13], 2, v[12:13]
	v_mov_b32_e32 v11, s71
	v_add_co_u32_e32 v12, vcc, s68, v12
	v_addc_co_u32_e32 v13, vcc, v11, v13, vcc
	global_load_dword v11, v[12:13], off
	s_waitcnt vmcnt(0)
	v_subrev_u32_e32 v11, s41, v11
	v_cmp_lt_i32_e32 vcc, v1, v11
	s_and_saveexec_b64 s[74:75], vcc
	s_cbranch_execz .LBB55_60
; %bb.40:                               ;   in Loop: Header=BB55_30 Depth=2
	v_mad_u64_u32 v[12:13], s[28:29], s70, v1, v[2:3]
	v_mul_lo_u32 v36, s70, v12
	v_mad_u64_u32 v[12:13], s[28:29], s89, v1, v[2:3]
	s_mov_b64 s[76:77], 0
	v_mov_b32_e32 v14, v1
	s_branch .LBB55_44
.LBB55_41:                              ;   in Loop: Header=BB55_44 Depth=3
	v_lshlrev_b32_e32 v13, 4, v13
	v_or3_b32 v13, v13, v9, v2
	v_mul_f32_e64 v15, v17, -s31
	v_lshlrev_b32_e32 v13, 3, v13
	v_fmac_f32_e32 v15, s33, v16
	v_mul_f32_e32 v17, s33, v17
	v_fmac_f32_e32 v17, s31, v16
	ds_add_f32 v13, v15
	ds_add_f32 v13, v17 offset:4
.LBB55_42:                              ;   in Loop: Header=BB55_44 Depth=3
	s_or_b64 exec, exec, s[82:83]
	s_or_b64 s[78:79], s[78:79], exec
.LBB55_43:                              ;   in Loop: Header=BB55_44 Depth=3
	s_or_b64 exec, exec, s[80:81]
	v_add_u32_e32 v14, 1, v14
	v_cmp_ge_i32_e32 vcc, v14, v11
	s_xor_b64 s[28:29], s[78:79], -1
	s_or_b64 s[28:29], s[28:29], vcc
	s_and_b64 s[28:29], exec, s[28:29]
	v_add_u32_e32 v36, s89, v36
	s_or_b64 s[76:77], s[28:29], s[76:77]
	v_add_u32_e32 v12, s89, v12
	s_andn2_b64 exec, exec, s[76:77]
	s_cbranch_execz .LBB55_59
.LBB55_44:                              ;   Parent Loop BB55_20 Depth=1
                                        ;     Parent Loop BB55_30 Depth=2
                                        ; =>    This Loop Header: Depth=3
                                        ;         Child Loop BB55_53 Depth 4
                                        ;         Child Loop BB55_58 Depth 4
	v_ashrrev_i32_e32 v15, 31, v14
	v_lshlrev_b64 v[16:17], 2, v[14:15]
	v_mov_b32_e32 v13, s53
	v_add_co_u32_e32 v16, vcc, s52, v16
	v_addc_co_u32_e32 v17, vcc, v13, v17, vcc
	global_load_dword v13, v[16:17], off
                                        ; implicit-def: $sgpr78_sgpr79
	s_waitcnt vmcnt(0)
	v_subrev_u32_e32 v13, s41, v13
	v_cmp_gt_i32_e64 s[28:29], s91, v13
	v_cmp_ge_i32_e32 vcc, v13, v34
	s_or_b64 s[28:29], s[28:29], vcc
	s_and_saveexec_b64 s[80:81], s[28:29]
	s_xor_b64 s[28:29], exec, s[80:81]
	s_cbranch_execz .LBB55_48
; %bb.45:                               ;   in Loop: Header=BB55_44 Depth=3
	s_mov_b64 s[78:79], -1
	s_and_saveexec_b64 s[80:81], vcc
; %bb.46:                               ;   in Loop: Header=BB55_44 Depth=3
	v_min_i32_e32 v35, v13, v35
	s_xor_b64 s[78:79], exec, -1
	v_mov_b32_e32 v1, v14
; %bb.47:                               ;   in Loop: Header=BB55_44 Depth=3
	s_or_b64 exec, exec, s[80:81]
	s_and_b64 s[78:79], s[78:79], exec
                                        ; implicit-def: $vgpr13
.LBB55_48:                              ;   in Loop: Header=BB55_44 Depth=3
	s_andn2_saveexec_b64 s[80:81], s[28:29]
	s_cbranch_execz .LBB55_43
; %bb.49:                               ;   in Loop: Header=BB55_44 Depth=3
	v_subrev_u32_e32 v13, s91, v13
	v_lshlrev_b32_e32 v15, 2, v13
	ds_write_b32 v15, v33 offset:6144
	s_and_saveexec_b64 s[82:83], s[6:7]
	s_cbranch_execz .LBB55_42
; %bb.50:                               ;   in Loop: Header=BB55_44 Depth=3
	v_cndmask_b32_e64 v15, 0, 1, s[56:57]
	s_andn2_b64 vcc, exec, s[48:49]
	v_cmp_ne_u32_e64 s[28:29], 1, v15
	s_cbranch_vccnz .LBB55_55
; %bb.51:                               ;   in Loop: Header=BB55_44 Depth=3
	v_mov_b32_e32 v17, 0
	s_and_b64 vcc, exec, s[28:29]
	v_mov_b32_e32 v16, v17
	s_cbranch_vccnz .LBB55_54
; %bb.52:                               ;   in Loop: Header=BB55_44 Depth=3
	v_mov_b32_e32 v16, 0
	v_mov_b32_e32 v18, v36
	s_mov_b32 s84, s70
	v_mov_b32_e32 v15, v29
	v_mov_b32_e32 v17, v16
.LBB55_53:                              ;   Parent Loop BB55_20 Depth=1
                                        ;     Parent Loop BB55_30 Depth=2
                                        ;       Parent Loop BB55_44 Depth=3
                                        ; =>      This Inner Loop Header: Depth=4
	v_ashrrev_i32_e32 v19, 31, v18
	v_lshlrev_b64 v[38:39], 3, v[18:19]
	v_mov_b32_e32 v37, s55
	v_add_co_u32_e32 v38, vcc, s54, v38
	v_addc_co_u32_e32 v39, vcc, v37, v39, vcc
	global_load_dwordx2 v[38:39], v[38:39], off
	ds_read_b64 v[40:41], v15
	s_add_i32 s84, s84, -1
	v_add_u32_e32 v15, 32, v15
	v_add_u32_e32 v18, 1, v18
	s_cmp_lg_u32 s84, 0
	s_waitcnt vmcnt(0) lgkmcnt(0)
	v_pk_fma_f32 v[16:17], v[40:41], v[38:39], v[16:17] op_sel_hi:[1,0,1]
	v_pk_fma_f32 v[16:17], v[40:41], v[38:39], v[16:17] op_sel:[1,1,0] op_sel_hi:[0,1,1] neg_lo:[1,0,0]
	s_cbranch_scc1 .LBB55_53
.LBB55_54:                              ;   in Loop: Header=BB55_44 Depth=3
	s_cbranch_execnz .LBB55_41
	s_branch .LBB55_56
.LBB55_55:                              ;   in Loop: Header=BB55_44 Depth=3
                                        ; implicit-def: $vgpr17
.LBB55_56:                              ;   in Loop: Header=BB55_44 Depth=3
	v_mov_b32_e32 v17, 0
	s_and_b64 vcc, exec, s[28:29]
	v_mov_b32_e32 v16, v17
	s_cbranch_vccnz .LBB55_41
; %bb.57:                               ;   in Loop: Header=BB55_44 Depth=3
	v_mov_b32_e32 v16, 0
	v_mov_b32_e32 v15, v30
	;; [unrolled: 1-line block ×3, first 2 shown]
	s_mov_b32 s28, s70
	v_mov_b32_e32 v17, v16
.LBB55_58:                              ;   Parent Loop BB55_20 Depth=1
                                        ;     Parent Loop BB55_30 Depth=2
                                        ;       Parent Loop BB55_44 Depth=3
                                        ; =>      This Inner Loop Header: Depth=4
	v_ashrrev_i32_e32 v19, 31, v18
	v_lshlrev_b64 v[38:39], 3, v[18:19]
	v_mov_b32_e32 v37, s55
	v_add_co_u32_e32 v38, vcc, s54, v38
	v_addc_co_u32_e32 v39, vcc, v37, v39, vcc
	global_load_dwordx2 v[38:39], v[38:39], off
	ds_read_b64 v[40:41], v15
	s_add_i32 s28, s28, -1
	v_add_u32_e32 v15, 8, v15
	v_add_u32_e32 v18, s70, v18
	s_cmp_eq_u32 s28, 0
	s_waitcnt vmcnt(0) lgkmcnt(0)
	v_pk_fma_f32 v[16:17], v[40:41], v[38:39], v[16:17] op_sel_hi:[1,0,1]
	v_pk_fma_f32 v[16:17], v[40:41], v[38:39], v[16:17] op_sel:[1,1,0] op_sel_hi:[0,1,1] neg_lo:[1,0,0]
	s_cbranch_scc0 .LBB55_58
	s_branch .LBB55_41
.LBB55_59:                              ;   in Loop: Header=BB55_30 Depth=2
	s_or_b64 exec, exec, s[76:77]
.LBB55_60:                              ;   in Loop: Header=BB55_30 Depth=2
	s_or_b64 exec, exec, s[74:75]
.LBB55_61:                              ;   in Loop: Header=BB55_30 Depth=2
	s_or_b64 exec, exec, s[72:73]
	s_waitcnt lgkmcnt(0)
	s_barrier
	s_and_saveexec_b64 s[28:29], s[26:27]
	s_cbranch_execz .LBB55_29
; %bb.62:                               ;   in Loop: Header=BB55_30 Depth=2
	v_ashrrev_i32_e32 v11, 31, v10
	v_lshlrev_b64 v[10:11], 2, v[10:11]
	v_mov_b32_e32 v12, s39
	v_add_co_u32_e32 v10, vcc, s38, v10
	v_addc_co_u32_e32 v11, vcc, v12, v11, vcc
	global_store_dword v[10:11], v1, off
	s_branch .LBB55_29
.LBB55_63:                              ;   in Loop: Header=BB55_30 Depth=2
                                        ; implicit-def: $vgpr1
	s_branch .LBB55_38
.LBB55_64:                              ;   in Loop: Header=BB55_20 Depth=1
	s_andn2_b64 vcc, exec, s[34:35]
	s_cbranch_vccnz .LBB55_76
; %bb.65:                               ;   in Loop: Header=BB55_20 Depth=1
	s_load_dwordx2 s[26:27], s[58:59], 0x0
	s_waitcnt lgkmcnt(0)
	s_sub_i32 s76, s27, s43
	v_add_u32_e32 v10, s26, v20
	v_cmp_gt_i32_e32 vcc, s76, v10
	s_and_saveexec_b64 s[60:61], vcc
	s_cbranch_execz .LBB55_75
; %bb.66:                               ;   in Loop: Header=BB55_20 Depth=1
	v_mad_u64_u32 v[12:13], s[26:27], s70, v10, v[6:7]
	v_mad_u64_u32 v[12:13], s[26:27], s70, v12, v[8:9]
	s_mov_b64 s[72:73], 0
	s_branch .LBB55_69
.LBB55_67:                              ;   in Loop: Header=BB55_69 Depth=2
	s_or_b64 exec, exec, s[74:75]
	s_or_b64 s[26:27], s[26:27], exec
.LBB55_68:                              ;   in Loop: Header=BB55_69 Depth=2
	s_or_b64 exec, exec, s[28:29]
	v_add_u32_e32 v10, 16, v10
	v_cmp_le_i32_e32 vcc, s76, v10
	s_xor_b64 s[26:27], s[26:27], -1
	s_or_b64 s[26:27], vcc, s[26:27]
	s_and_b64 s[26:27], exec, s[26:27]
	s_or_b64 s[72:73], s[26:27], s[72:73]
	v_add_u32_e32 v12, s90, v12
	s_andn2_b64 exec, exec, s[72:73]
	s_cbranch_execz .LBB55_74
.LBB55_69:                              ;   Parent Loop BB55_20 Depth=1
                                        ; =>  This Inner Loop Header: Depth=2
	v_ashrrev_i32_e32 v11, 31, v10
	v_lshlrev_b64 v[14:15], 2, v[10:11]
	v_mov_b32_e32 v1, s45
	v_add_co_u32_e32 v14, vcc, s44, v14
	v_addc_co_u32_e32 v15, vcc, v1, v15, vcc
	global_load_dword v1, v[14:15], off
	s_waitcnt vmcnt(0)
	v_subrev_u32_e32 v1, s43, v1
	v_cmp_gt_i32_e64 s[26:27], s91, v1
	v_cmp_ge_i32_e64 s[28:29], v1, v34
	v_cmp_lt_i32_e32 vcc, v1, v34
	s_or_b64 s[28:29], s[26:27], s[28:29]
                                        ; implicit-def: $sgpr26_sgpr27
	s_and_saveexec_b64 s[74:75], s[28:29]
	s_xor_b64 s[28:29], exec, s[74:75]
; %bb.70:                               ;   in Loop: Header=BB55_69 Depth=2
	v_min_i32_e32 v1, v1, v35
	v_cndmask_b32_e32 v35, v1, v35, vcc
	s_and_b64 s[26:27], vcc, exec
                                        ; implicit-def: $vgpr1
; %bb.71:                               ;   in Loop: Header=BB55_69 Depth=2
	s_andn2_saveexec_b64 s[28:29], s[28:29]
	s_cbranch_execz .LBB55_68
; %bb.72:                               ;   in Loop: Header=BB55_69 Depth=2
	v_subrev_u32_e32 v1, s91, v1
	v_lshlrev_b32_e32 v11, 2, v1
	ds_write_b32 v11, v33 offset:6144
	s_and_saveexec_b64 s[74:75], s[6:7]
	s_cbranch_execz .LBB55_67
; %bb.73:                               ;   in Loop: Header=BB55_69 Depth=2
	v_ashrrev_i32_e32 v13, 31, v12
	v_lshlrev_b64 v[14:15], 3, v[12:13]
	v_mov_b32_e32 v11, s47
	v_add_co_u32_e32 v14, vcc, s46, v14
	v_addc_co_u32_e32 v15, vcc, v11, v15, vcc
	global_load_dwordx2 v[14:15], v[14:15], off
	v_lshlrev_b32_e32 v1, 4, v1
	v_or3_b32 v1, v1, v9, v2
	v_lshlrev_b32_e32 v1, 3, v1
	s_waitcnt vmcnt(0)
	v_mul_f32_e64 v11, v15, -s86
	v_mul_f32_e32 v13, s30, v15
	v_fmac_f32_e32 v11, s30, v14
	v_fmac_f32_e32 v13, s86, v14
	ds_add_f32 v1, v11
	ds_add_f32 v1, v13 offset:4
	s_branch .LBB55_67
.LBB55_74:                              ;   in Loop: Header=BB55_20 Depth=1
	s_or_b64 exec, exec, s[72:73]
.LBB55_75:                              ;   in Loop: Header=BB55_20 Depth=1
	s_or_b64 exec, exec, s[60:61]
.LBB55_76:                              ;   in Loop: Header=BB55_20 Depth=1
	s_and_saveexec_b64 s[26:27], s[10:11]
	s_cbranch_execz .LBB55_81
; %bb.77:                               ;   in Loop: Header=BB55_20 Depth=1
	s_mov_b64 s[28:29], exec
	s_brev_b32 s60, -2
.LBB55_78:                              ;   Parent Loop BB55_20 Depth=1
                                        ; =>  This Inner Loop Header: Depth=2
	s_ff1_i32_b64 s61, s[28:29]
	v_readlane_b32 s74, v35, s61
	s_lshl_b64 s[72:73], 1, s61
	s_min_i32 s60, s60, s74
	s_andn2_b64 s[28:29], s[28:29], s[72:73]
	s_cmp_lg_u64 s[28:29], 0
	s_cbranch_scc1 .LBB55_78
; %bb.79:                               ;   in Loop: Header=BB55_20 Depth=1
	v_mbcnt_lo_u32_b32 v1, exec_lo, 0
	v_mbcnt_hi_u32_b32 v1, exec_hi, v1
	v_cmp_eq_u32_e32 vcc, 0, v1
	s_and_saveexec_b64 s[28:29], vcc
	s_xor_b64 s[28:29], exec, s[28:29]
	s_cbranch_execz .LBB55_81
; %bb.80:                               ;   in Loop: Header=BB55_20 Depth=1
	v_mov_b32_e32 v1, s60
	ds_min_i32 v0, v1 offset:6272
.LBB55_81:                              ;   in Loop: Header=BB55_20 Depth=1
	s_or_b64 exec, exec, s[26:27]
	s_waitcnt lgkmcnt(0)
	s_barrier
	ds_read_b32 v1, v21
	s_waitcnt lgkmcnt(0)
	s_barrier
	s_and_saveexec_b64 s[26:27], s[14:15]
	s_cbranch_execz .LBB55_83
; %bb.82:                               ;   in Loop: Header=BB55_20 Depth=1
	ds_read_b32 v10, v22
	s_waitcnt lgkmcnt(0)
	v_add_u32_e32 v1, v10, v1
.LBB55_83:                              ;   in Loop: Header=BB55_20 Depth=1
	s_or_b64 exec, exec, s[26:27]
	s_barrier
	ds_write_b32 v21, v1
	s_waitcnt lgkmcnt(0)
	s_barrier
	s_and_saveexec_b64 s[26:27], s[16:17]
	s_cbranch_execz .LBB55_85
; %bb.84:                               ;   in Loop: Header=BB55_20 Depth=1
	ds_read_b32 v10, v24
	s_waitcnt lgkmcnt(0)
	v_add_u32_e32 v1, v10, v1
.LBB55_85:                              ;   in Loop: Header=BB55_20 Depth=1
	s_or_b64 exec, exec, s[26:27]
	s_barrier
	ds_write_b32 v21, v1
	;; [unrolled: 12-line block ×5, first 2 shown]
	s_waitcnt lgkmcnt(0)
	s_barrier
	ds_read_b32 v12, v0 offset:6268
	v_mov_b32_e32 v10, 0
	s_and_saveexec_b64 s[26:27], s[12:13]
	s_cbranch_execz .LBB55_93
; %bb.92:                               ;   in Loop: Header=BB55_20 Depth=1
	ds_read_b32 v10, v22
.LBB55_93:                              ;   in Loop: Header=BB55_20 Depth=1
	s_or_b64 exec, exec, s[26:27]
	s_waitcnt lgkmcnt(0)
	v_cmp_eq_u32_e32 vcc, v1, v10
	s_and_b64 s[28:29], s[12:13], vcc
	s_barrier
	s_and_saveexec_b64 s[26:27], s[28:29]
	s_cbranch_execz .LBB55_95
; %bb.94:                               ;   in Loop: Header=BB55_20 Depth=1
	ds_write_b32 v21, v0
.LBB55_95:                              ;   in Loop: Header=BB55_20 Depth=1
	s_or_b64 exec, exec, s[26:27]
	s_waitcnt lgkmcnt(0)
	s_barrier
	s_and_saveexec_b64 s[26:27], s[2:3]
	s_cbranch_execz .LBB55_19
; %bb.96:                               ;   in Loop: Header=BB55_20 Depth=1
	v_add_u32_e32 v1, -1, v32
	s_add_i32 s72, s42, s91
	s_mov_b64 s[28:29], 0
	v_mov_b32_e32 v13, v31
	v_mov_b32_e32 v14, v5
	;; [unrolled: 1-line block ×3, first 2 shown]
	s_branch .LBB55_98
.LBB55_97:                              ;   in Loop: Header=BB55_98 Depth=2
	s_or_b64 exec, exec, s[60:61]
	v_add_u32_e32 v10, 16, v15
	v_cmp_lt_u32_e32 vcc, 15, v15
	v_add_u32_e32 v14, 0x800, v14
	v_add_u32_e32 v13, 64, v13
	s_or_b64 s[28:29], vcc, s[28:29]
	v_mov_b32_e32 v15, v10
	s_andn2_b64 exec, exec, s[28:29]
	s_cbranch_execz .LBB55_19
.LBB55_98:                              ;   Parent Loop BB55_20 Depth=1
                                        ; =>  This Inner Loop Header: Depth=2
	ds_read_b32 v10, v13
	s_waitcnt lgkmcnt(0)
	v_cmp_ne_u32_e32 vcc, 0, v10
	s_and_saveexec_b64 s[60:61], vcc
	s_cbranch_execz .LBB55_97
; %bb.99:                               ;   in Loop: Header=BB55_98 Depth=2
	v_add_u32_e32 v10, v1, v10
	v_ashrrev_i32_e32 v11, 31, v10
	v_lshlrev_b64 v[16:17], 2, v[10:11]
	v_mov_b32_e32 v11, s51
	v_add_co_u32_e32 v16, vcc, s50, v16
	v_add_u32_e32 v18, s72, v15
	v_addc_co_u32_e32 v17, vcc, v11, v17, vcc
	global_store_dword v[16:17], v18, off
	s_and_b64 exec, exec, s[6:7]
	s_cbranch_execz .LBB55_97
; %bb.100:                              ;   in Loop: Header=BB55_98 Depth=2
	v_mad_u64_u32 v[10:11], s[74:75], v10, s70, v[6:7]
	ds_read_b64 v[16:17], v14
	v_mad_u64_u32 v[10:11], s[74:75], v10, s70, v[8:9]
	v_ashrrev_i32_e32 v11, 31, v10
	v_lshlrev_b64 v[10:11], 3, v[10:11]
	v_mov_b32_e32 v18, s37
	v_add_co_u32_e32 v10, vcc, s36, v10
	v_addc_co_u32_e32 v11, vcc, v18, v11, vcc
	s_waitcnt lgkmcnt(0)
	global_store_dwordx2 v[10:11], v[16:17], off
	s_branch .LBB55_97
.LBB55_101:
	s_endpgm
	.section	.rodata,"a",@progbits
	.p2align	6, 0x0
	.amdhsa_kernel _ZN9rocsparseL38bsrgemm_block_per_row_atomic_multipassILj256ELj32ELj4Eii21rocsparse_complex_numIfEEEv20rocsparse_direction_T3_S4_PKS4_S6_NS_24const_host_device_scalarIT4_EEPKT2_S6_PKS8_SC_S6_SE_S9_SC_S6_SE_SC_PS4_PS8_PSA_21rocsparse_index_base_SI_SI_SI_bbb
		.amdhsa_group_segment_fixed_size 6276
		.amdhsa_private_segment_fixed_size 0
		.amdhsa_kernarg_size 172
		.amdhsa_user_sgpr_count 6
		.amdhsa_user_sgpr_private_segment_buffer 1
		.amdhsa_user_sgpr_dispatch_ptr 0
		.amdhsa_user_sgpr_queue_ptr 0
		.amdhsa_user_sgpr_kernarg_segment_ptr 1
		.amdhsa_user_sgpr_dispatch_id 0
		.amdhsa_user_sgpr_flat_scratch_init 0
		.amdhsa_user_sgpr_kernarg_preload_length 0
		.amdhsa_user_sgpr_kernarg_preload_offset 0
		.amdhsa_user_sgpr_private_segment_size 0
		.amdhsa_uses_dynamic_stack 0
		.amdhsa_system_sgpr_private_segment_wavefront_offset 0
		.amdhsa_system_sgpr_workgroup_id_x 1
		.amdhsa_system_sgpr_workgroup_id_y 0
		.amdhsa_system_sgpr_workgroup_id_z 0
		.amdhsa_system_sgpr_workgroup_info 0
		.amdhsa_system_vgpr_workitem_id 0
		.amdhsa_next_free_vgpr 42
		.amdhsa_next_free_sgpr 93
		.amdhsa_accum_offset 44
		.amdhsa_reserve_vcc 1
		.amdhsa_reserve_flat_scratch 0
		.amdhsa_float_round_mode_32 0
		.amdhsa_float_round_mode_16_64 0
		.amdhsa_float_denorm_mode_32 3
		.amdhsa_float_denorm_mode_16_64 3
		.amdhsa_dx10_clamp 1
		.amdhsa_ieee_mode 1
		.amdhsa_fp16_overflow 0
		.amdhsa_tg_split 0
		.amdhsa_exception_fp_ieee_invalid_op 0
		.amdhsa_exception_fp_denorm_src 0
		.amdhsa_exception_fp_ieee_div_zero 0
		.amdhsa_exception_fp_ieee_overflow 0
		.amdhsa_exception_fp_ieee_underflow 0
		.amdhsa_exception_fp_ieee_inexact 0
		.amdhsa_exception_int_div_zero 0
	.end_amdhsa_kernel
	.section	.text._ZN9rocsparseL38bsrgemm_block_per_row_atomic_multipassILj256ELj32ELj4Eii21rocsparse_complex_numIfEEEv20rocsparse_direction_T3_S4_PKS4_S6_NS_24const_host_device_scalarIT4_EEPKT2_S6_PKS8_SC_S6_SE_S9_SC_S6_SE_SC_PS4_PS8_PSA_21rocsparse_index_base_SI_SI_SI_bbb,"axG",@progbits,_ZN9rocsparseL38bsrgemm_block_per_row_atomic_multipassILj256ELj32ELj4Eii21rocsparse_complex_numIfEEEv20rocsparse_direction_T3_S4_PKS4_S6_NS_24const_host_device_scalarIT4_EEPKT2_S6_PKS8_SC_S6_SE_S9_SC_S6_SE_SC_PS4_PS8_PSA_21rocsparse_index_base_SI_SI_SI_bbb,comdat
.Lfunc_end55:
	.size	_ZN9rocsparseL38bsrgemm_block_per_row_atomic_multipassILj256ELj32ELj4Eii21rocsparse_complex_numIfEEEv20rocsparse_direction_T3_S4_PKS4_S6_NS_24const_host_device_scalarIT4_EEPKT2_S6_PKS8_SC_S6_SE_S9_SC_S6_SE_SC_PS4_PS8_PSA_21rocsparse_index_base_SI_SI_SI_bbb, .Lfunc_end55-_ZN9rocsparseL38bsrgemm_block_per_row_atomic_multipassILj256ELj32ELj4Eii21rocsparse_complex_numIfEEEv20rocsparse_direction_T3_S4_PKS4_S6_NS_24const_host_device_scalarIT4_EEPKT2_S6_PKS8_SC_S6_SE_S9_SC_S6_SE_SC_PS4_PS8_PSA_21rocsparse_index_base_SI_SI_SI_bbb
                                        ; -- End function
	.section	.AMDGPU.csdata,"",@progbits
; Kernel info:
; codeLenInByte = 2952
; NumSgprs: 97
; NumVgprs: 42
; NumAgprs: 0
; TotalNumVgprs: 42
; ScratchSize: 0
; MemoryBound: 0
; FloatMode: 240
; IeeeMode: 1
; LDSByteSize: 6276 bytes/workgroup (compile time only)
; SGPRBlocks: 12
; VGPRBlocks: 5
; NumSGPRsForWavesPerEU: 97
; NumVGPRsForWavesPerEU: 42
; AccumOffset: 44
; Occupancy: 8
; WaveLimiterHint : 1
; COMPUTE_PGM_RSRC2:SCRATCH_EN: 0
; COMPUTE_PGM_RSRC2:USER_SGPR: 6
; COMPUTE_PGM_RSRC2:TRAP_HANDLER: 0
; COMPUTE_PGM_RSRC2:TGID_X_EN: 1
; COMPUTE_PGM_RSRC2:TGID_Y_EN: 0
; COMPUTE_PGM_RSRC2:TGID_Z_EN: 0
; COMPUTE_PGM_RSRC2:TIDIG_COMP_CNT: 0
; COMPUTE_PGM_RSRC3_GFX90A:ACCUM_OFFSET: 10
; COMPUTE_PGM_RSRC3_GFX90A:TG_SPLIT: 0
	.section	.text._ZN9rocsparseL38bsrgemm_block_per_row_atomic_multipassILj256ELj64ELj4Eii21rocsparse_complex_numIfEEEv20rocsparse_direction_T3_S4_PKS4_S6_NS_24const_host_device_scalarIT4_EEPKT2_S6_PKS8_SC_S6_SE_S9_SC_S6_SE_SC_PS4_PS8_PSA_21rocsparse_index_base_SI_SI_SI_bbb,"axG",@progbits,_ZN9rocsparseL38bsrgemm_block_per_row_atomic_multipassILj256ELj64ELj4Eii21rocsparse_complex_numIfEEEv20rocsparse_direction_T3_S4_PKS4_S6_NS_24const_host_device_scalarIT4_EEPKT2_S6_PKS8_SC_S6_SE_S9_SC_S6_SE_SC_PS4_PS8_PSA_21rocsparse_index_base_SI_SI_SI_bbb,comdat
	.globl	_ZN9rocsparseL38bsrgemm_block_per_row_atomic_multipassILj256ELj64ELj4Eii21rocsparse_complex_numIfEEEv20rocsparse_direction_T3_S4_PKS4_S6_NS_24const_host_device_scalarIT4_EEPKT2_S6_PKS8_SC_S6_SE_S9_SC_S6_SE_SC_PS4_PS8_PSA_21rocsparse_index_base_SI_SI_SI_bbb ; -- Begin function _ZN9rocsparseL38bsrgemm_block_per_row_atomic_multipassILj256ELj64ELj4Eii21rocsparse_complex_numIfEEEv20rocsparse_direction_T3_S4_PKS4_S6_NS_24const_host_device_scalarIT4_EEPKT2_S6_PKS8_SC_S6_SE_S9_SC_S6_SE_SC_PS4_PS8_PSA_21rocsparse_index_base_SI_SI_SI_bbb
	.p2align	8
	.type	_ZN9rocsparseL38bsrgemm_block_per_row_atomic_multipassILj256ELj64ELj4Eii21rocsparse_complex_numIfEEEv20rocsparse_direction_T3_S4_PKS4_S6_NS_24const_host_device_scalarIT4_EEPKT2_S6_PKS8_SC_S6_SE_S9_SC_S6_SE_SC_PS4_PS8_PSA_21rocsparse_index_base_SI_SI_SI_bbb,@function
_ZN9rocsparseL38bsrgemm_block_per_row_atomic_multipassILj256ELj64ELj4Eii21rocsparse_complex_numIfEEEv20rocsparse_direction_T3_S4_PKS4_S6_NS_24const_host_device_scalarIT4_EEPKT2_S6_PKS8_SC_S6_SE_S9_SC_S6_SE_SC_PS4_PS8_PSA_21rocsparse_index_base_SI_SI_SI_bbb: ; @_ZN9rocsparseL38bsrgemm_block_per_row_atomic_multipassILj256ELj64ELj4Eii21rocsparse_complex_numIfEEEv20rocsparse_direction_T3_S4_PKS4_S6_NS_24const_host_device_scalarIT4_EEPKT2_S6_PKS8_SC_S6_SE_S9_SC_S6_SE_SC_PS4_PS8_PSA_21rocsparse_index_base_SI_SI_SI_bbb
; %bb.0:
	s_load_dwordx8 s[36:43], s[4:5], 0x88
	s_load_dword s2, s[4:5], 0xa8
	s_load_dwordx8 s[44:51], s[4:5], 0x68
	s_load_dwordx8 s[52:59], s[4:5], 0x48
	s_load_dwordx4 s[8:11], s[4:5], 0x10
	s_load_dwordx8 s[60:67], s[4:5], 0x28
	s_waitcnt lgkmcnt(0)
	s_bitcmp1_b32 s2, 0
	s_cselect_b64 s[24:25], -1, 0
	s_bitcmp1_b32 s2, 16
	s_cselect_b64 s[0:1], -1, 0
	s_xor_b64 s[0:1], s[0:1], -1
	v_cndmask_b32_e64 v1, 0, 1, s[0:1]
	s_mov_b32 s31, 0
	s_bitcmp0_b32 s2, 0
	v_cmp_ne_u32_e64 s[0:1], 1, v1
	s_mov_b32 s33, 0
	s_cbranch_scc1 .LBB56_5
; %bb.1:
	s_load_dwordx2 s[30:31], s[4:5], 0x20
	s_and_b64 vcc, exec, s[0:1]
	s_waitcnt lgkmcnt(0)
	s_mov_b32 s33, s30
	s_cbranch_vccnz .LBB56_3
; %bb.2:
	s_load_dword s33, s[30:31], 0x0
.LBB56_3:
	s_and_b64 vcc, exec, s[0:1]
	s_cbranch_vccnz .LBB56_5
; %bb.4:
	s_load_dword s31, s[30:31], 0x4
.LBB56_5:
	s_bitcmp1_b32 s2, 8
	s_cselect_b64 s[34:35], -1, 0
	s_bfe_u32 s2, s2, 0x10008
	s_mov_b32 s86, 0
	s_cmp_eq_u32 s2, 0
	s_mov_b32 s30, 0
	s_cbranch_scc1 .LBB56_11
; %bb.6:
	s_and_b64 vcc, exec, s[0:1]
	s_mov_b32 s30, s56
	s_cbranch_vccnz .LBB56_8
; %bb.7:
	s_load_dword s30, s[56:57], 0x0
.LBB56_8:
	s_and_b64 vcc, exec, s[0:1]
	s_cbranch_vccnz .LBB56_10
; %bb.9:
	s_load_dword s57, s[56:57], 0x4
.LBB56_10:
	s_waitcnt lgkmcnt(0)
	s_mov_b32 s86, s57
.LBB56_11:
	s_cmp_eq_u64 s[10:11], 0
	s_cbranch_scc1 .LBB56_13
; %bb.12:
	s_load_dword s0, s[8:9], 0x0
	s_mov_b32 s1, 0
	s_waitcnt lgkmcnt(0)
	s_add_i32 s0, s0, s6
	s_lshl_b64 s[0:1], s[0:1], 2
	s_add_u32 s0, s10, s0
	s_addc_u32 s1, s11, s1
	s_load_dword s6, s[0:1], 0x0
.LBB56_13:
	v_cndmask_b32_e64 v1, 0, 1, s[24:25]
	s_mov_b32 s87, 0
	v_cmp_ne_u32_e64 s[0:1], 1, v1
	s_andn2_b64 vcc, exec, s[24:25]
	s_mov_b32 s88, 0
	s_cbranch_vccz .LBB56_16
; %bb.14:
	s_and_b64 vcc, exec, s[0:1]
	s_cbranch_vccz .LBB56_17
.LBB56_15:
	s_load_dwordx4 s[68:71], s[4:5], 0x0
	s_waitcnt lgkmcnt(0)
	s_cmp_lt_i32 s69, 1
	s_cbranch_scc0 .LBB56_18
	s_branch .LBB56_101
.LBB56_16:
	s_waitcnt lgkmcnt(0)
	s_ashr_i32 s7, s6, 31
	s_lshl_b64 s[2:3], s[6:7], 2
	s_add_u32 s2, s60, s2
	s_addc_u32 s3, s61, s3
	s_load_dword s2, s[2:3], 0x0
	s_waitcnt lgkmcnt(0)
	s_sub_i32 s88, s2, s40
	s_and_b64 vcc, exec, s[0:1]
	s_cbranch_vccnz .LBB56_15
.LBB56_17:
	s_waitcnt lgkmcnt(0)
	s_ashr_i32 s7, s6, 31
	s_lshl_b64 s[0:1], s[6:7], 2
	s_add_u32 s0, s60, s0
	s_addc_u32 s1, s61, s1
	s_load_dword s0, s[0:1], 0x4
	s_waitcnt lgkmcnt(0)
	s_sub_i32 s87, s0, s40
	s_load_dwordx4 s[68:71], s[4:5], 0x0
	s_waitcnt lgkmcnt(0)
	s_cmp_lt_i32 s69, 1
	s_cbranch_scc1 .LBB56_101
.LBB56_18:
	s_ashr_i32 s7, s6, 31
	s_lshl_b64 s[8:9], s[6:7], 2
	s_add_u32 s0, s48, s8
	s_addc_u32 s1, s49, s9
	s_load_dword s0, s[0:1], 0x0
	v_and_b32_e32 v1, 15, v0
	v_and_b32_e32 v2, 3, v0
	v_bfe_u32 v4, v0, 2, 2
	v_lshrrev_b32_e32 v3, 4, v0
	s_waitcnt lgkmcnt(0)
	s_sub_i32 s28, s0, s42
	s_cmp_lt_i32 s88, s87
	s_cselect_b64 s[26:27], -1, 0
	s_cmp_eq_u32 s68, 0
	s_cselect_b64 vcc, -1, 0
	s_cmp_lg_u32 s68, 0
	s_cselect_b64 s[48:49], -1, 0
	s_cmp_gt_i32 s70, 0
	s_cselect_b64 s[56:57], -1, 0
	s_add_u32 s58, s58, s8
	v_max_i32_e32 v5, v2, v4
	s_addc_u32 s59, s59, s9
	v_cmp_eq_u32_e64 s[8:9], 15, v1
	v_and_b32_e32 v1, 63, v0
	v_mov_b32_e32 v10, 0x2800
	v_cmp_gt_u32_e64 s[0:1], 64, v0
	v_cmp_eq_u32_e64 s[2:3], 0, v0
	v_cmp_gt_i32_e64 s[4:5], s70, v5
	v_cmp_le_i32_e64 s[6:7], s70, v5
	v_lshlrev_b32_e32 v5, 3, v0
	s_movk_i32 s29, 0x2000
	v_and_b32_e32 v9, 12, v0
	v_lshlrev_b32_e32 v6, 2, v1
	v_add_co_u32_e64 v8, s[10:11], -1, v1
	v_lshl_or_b32 v23, v0, 2, v10
	v_cmp_ne_u32_e64 s[12:13], 0, v1
	v_cmp_lt_u32_e64 s[14:15], 1, v1
	v_cmp_lt_u32_e64 s[16:17], 3, v1
	;; [unrolled: 1-line block ×5, first 2 shown]
	v_or_b32_e32 v29, 0xffffff00, v0
	v_lshlrev_b32_e32 v0, 7, v3
	v_lshlrev_b32_e32 v1, 3, v4
	s_and_b64 s[24:25], s[24:25], s[26:27]
	v_or3_b32 v30, v0, v1, s29
	v_and_b32_e32 v0, 0x7e0, v5
	v_lshl_add_u32 v22, v8, 2, v10
	s_add_u32 s68, s66, 4
	s_mul_i32 s89, s70, s70
	v_or_b32_e32 v31, 0x2000, v0
	v_lshl_or_b32 v32, v3, 2, v10
	v_mov_b32_e32 v0, 0
	v_cndmask_b32_e64 v10, 0, 1, s[24:25]
	s_mov_b32 s92, 0
	v_or_b32_e32 v7, 0x2000, v5
	v_subrev_u32_e32 v20, s43, v3
	v_or_b32_e32 v21, 0x2800, v6
	v_add_u32_e32 v24, 0x27f8, v6
	v_add_u32_e32 v25, 0x27f0, v6
	;; [unrolled: 1-line block ×5, first 2 shown]
	v_cndmask_b32_e32 v6, v2, v4, vcc
	v_cndmask_b32_e32 v8, v4, v2, vcc
	s_addc_u32 s71, s67, 0
	s_lshl_b32 s90, s89, 4
	v_mov_b32_e32 v35, 64
	v_mov_b32_e32 v33, s28
	;; [unrolled: 1-line block ×3, first 2 shown]
	s_movk_i32 s91, 0x2ff
	v_cmp_ne_u32_e64 s[24:25], 1, v10
	v_mov_b32_e32 v34, 1
	s_branch .LBB56_20
.LBB56_19:                              ;   in Loop: Header=BB56_20 Depth=1
	s_or_b64 exec, exec, s[26:27]
	s_barrier
	ds_read_b32 v10, v0 offset:10496
	v_add_u32_e32 v33, v12, v33
	s_waitcnt lgkmcnt(0)
	s_barrier
	v_cmp_le_i32_e32 vcc, s69, v10
	v_readfirstlane_b32 s92, v10
	v_add_u32_e32 v35, 64, v10
	s_cbranch_vccnz .LBB56_101
.LBB56_20:                              ; =>This Loop Header: Depth=1
                                        ;     Child Loop BB56_23 Depth 2
                                        ;     Child Loop BB56_29 Depth 2
                                        ;       Child Loop BB56_43 Depth 3
                                        ;         Child Loop BB56_52 Depth 4
                                        ;         Child Loop BB56_57 Depth 4
                                        ;     Child Loop BB56_68 Depth 2
                                        ;     Child Loop BB56_77 Depth 2
	;; [unrolled: 1-line block ×3, first 2 shown]
	s_and_saveexec_b64 s[26:27], s[0:1]
	s_cbranch_execz .LBB56_22
; %bb.21:                               ;   in Loop: Header=BB56_20 Depth=1
	ds_write_b32 v23, v0
.LBB56_22:                              ;   in Loop: Header=BB56_20 Depth=1
	s_or_b64 exec, exec, s[26:27]
	s_mov_b64 s[26:27], 0
	v_mov_b32_e32 v10, v5
	v_mov_b32_e32 v11, v29
.LBB56_23:                              ;   Parent Loop BB56_20 Depth=1
                                        ; =>  This Inner Loop Header: Depth=2
	v_add_u32_e32 v11, 0x100, v11
	v_cmp_lt_u32_e32 vcc, s91, v11
	ds_write_b64 v10, v[0:1]
	s_or_b64 s[26:27], vcc, s[26:27]
	v_add_u32_e32 v10, 0x800, v10
	s_andn2_b64 exec, exec, s[26:27]
	s_cbranch_execnz .LBB56_23
; %bb.24:                               ;   in Loop: Header=BB56_20 Depth=1
	s_or_b64 exec, exec, s[26:27]
	s_and_saveexec_b64 s[26:27], s[2:3]
	s_cbranch_execz .LBB56_26
; %bb.25:                               ;   in Loop: Header=BB56_20 Depth=1
	v_mov_b32_e32 v10, s69
	ds_write_b32 v0, v10 offset:10496
.LBB56_26:                              ;   in Loop: Header=BB56_20 Depth=1
	s_or_b64 exec, exec, s[26:27]
	s_and_b64 vcc, exec, s[24:25]
	v_mov_b32_e32 v36, s69
	s_waitcnt lgkmcnt(0)
	s_barrier
	s_cbranch_vccnz .LBB56_63
; %bb.27:                               ;   in Loop: Header=BB56_20 Depth=1
	s_cmp_lg_u32 s92, 0
	s_cselect_b64 s[60:61], -1, 0
	v_mov_b32_e32 v36, s69
	s_mov_b32 s93, s88
	s_branch .LBB56_29
.LBB56_28:                              ;   in Loop: Header=BB56_29 Depth=2
	s_or_b64 exec, exec, s[28:29]
	s_add_i32 s93, s93, 16
	s_cmp_lt_i32 s93, s87
	s_cbranch_scc0 .LBB56_63
.LBB56_29:                              ;   Parent Loop BB56_20 Depth=1
                                        ; =>  This Loop Header: Depth=2
                                        ;       Child Loop BB56_43 Depth 3
                                        ;         Child Loop BB56_52 Depth 4
                                        ;         Child Loop BB56_57 Depth 4
	v_add_u32_e32 v10, s93, v3
	v_cmp_gt_i32_e64 s[26:27], s87, v10
	s_barrier
	s_and_saveexec_b64 s[28:29], s[26:27]
	s_cbranch_execz .LBB56_34
; %bb.30:                               ;   in Loop: Header=BB56_29 Depth=2
	s_and_saveexec_b64 s[72:73], s[6:7]
	s_xor_b64 s[72:73], exec, s[72:73]
	s_cbranch_execz .LBB56_32
; %bb.31:                               ;   in Loop: Header=BB56_29 Depth=2
	ds_write_b64 v7, v[0:1]
.LBB56_32:                              ;   in Loop: Header=BB56_29 Depth=2
	s_andn2_saveexec_b64 s[72:73], s[72:73]
	s_cbranch_execz .LBB56_34
; %bb.33:                               ;   in Loop: Header=BB56_29 Depth=2
	v_mad_u64_u32 v[12:13], s[72:73], v10, s70, v[4:5]
	v_mad_u64_u32 v[12:13], s[72:73], v12, s70, v[2:3]
	v_ashrrev_i32_e32 v13, 31, v12
	v_lshlrev_b64 v[12:13], 3, v[12:13]
	v_mov_b32_e32 v11, s65
	v_add_co_u32_e32 v12, vcc, s64, v12
	v_addc_co_u32_e32 v13, vcc, v11, v13, vcc
	global_load_dwordx2 v[12:13], v[12:13], off
	s_waitcnt vmcnt(0)
	ds_write_b64 v7, v[12:13]
.LBB56_34:                              ;   in Loop: Header=BB56_29 Depth=2
	s_or_b64 exec, exec, s[28:29]
	v_mov_b32_e32 v37, 0
	s_waitcnt lgkmcnt(0)
	s_barrier
	s_and_saveexec_b64 s[72:73], s[26:27]
	s_cbranch_execz .LBB56_60
; %bb.35:                               ;   in Loop: Header=BB56_29 Depth=2
	v_ashrrev_i32_e32 v11, 31, v10
	v_lshlrev_b64 v[14:15], 2, v[10:11]
	v_mov_b32_e32 v11, s63
	v_add_co_u32_e32 v12, vcc, s62, v14
	v_addc_co_u32_e32 v13, vcc, v11, v15, vcc
	global_load_dword v11, v[12:13], off
	s_and_b64 vcc, exec, s[60:61]
	s_waitcnt vmcnt(0)
	v_subrev_u32_e32 v12, s40, v11
	v_ashrrev_i32_e32 v13, 31, v12
	s_cbranch_vccz .LBB56_62
; %bb.36:                               ;   in Loop: Header=BB56_29 Depth=2
	v_mov_b32_e32 v11, s39
	v_add_co_u32_e32 v14, vcc, s38, v14
	v_addc_co_u32_e32 v15, vcc, v11, v15, vcc
	global_load_dword v37, v[14:15], off
	s_cbranch_execnz .LBB56_38
.LBB56_37:                              ;   in Loop: Header=BB56_29 Depth=2
	v_lshlrev_b64 v[14:15], 2, v[12:13]
	v_mov_b32_e32 v11, s67
	v_add_co_u32_e32 v14, vcc, s66, v14
	v_addc_co_u32_e32 v15, vcc, v11, v15, vcc
	global_load_dword v11, v[14:15], off
	s_waitcnt vmcnt(0)
	v_subrev_u32_e32 v37, s41, v11
.LBB56_38:                              ;   in Loop: Header=BB56_29 Depth=2
	v_lshlrev_b64 v[12:13], 2, v[12:13]
	v_mov_b32_e32 v11, s71
	v_add_co_u32_e32 v12, vcc, s68, v12
	v_addc_co_u32_e32 v13, vcc, v11, v13, vcc
	global_load_dword v11, v[12:13], off
	s_waitcnt vmcnt(0)
	v_subrev_u32_e32 v11, s41, v11
	v_cmp_lt_i32_e32 vcc, v37, v11
	s_and_saveexec_b64 s[74:75], vcc
	s_cbranch_execz .LBB56_59
; %bb.39:                               ;   in Loop: Header=BB56_29 Depth=2
	v_mad_u64_u32 v[12:13], s[28:29], s70, v37, v[2:3]
	v_mul_lo_u32 v38, s70, v12
	v_mad_u64_u32 v[12:13], s[28:29], s89, v37, v[2:3]
	s_mov_b64 s[76:77], 0
	v_mov_b32_e32 v14, v37
	s_branch .LBB56_43
.LBB56_40:                              ;   in Loop: Header=BB56_43 Depth=3
	v_lshlrev_b32_e32 v13, 4, v13
	v_or3_b32 v13, v13, v9, v2
	v_mul_f32_e64 v15, v17, -s31
	v_lshlrev_b32_e32 v13, 3, v13
	v_fmac_f32_e32 v15, s33, v16
	v_mul_f32_e32 v17, s33, v17
	v_fmac_f32_e32 v17, s31, v16
	ds_add_f32 v13, v15
	ds_add_f32 v13, v17 offset:4
.LBB56_41:                              ;   in Loop: Header=BB56_43 Depth=3
	s_or_b64 exec, exec, s[82:83]
	s_or_b64 s[78:79], s[78:79], exec
.LBB56_42:                              ;   in Loop: Header=BB56_43 Depth=3
	s_or_b64 exec, exec, s[80:81]
	v_add_u32_e32 v14, 1, v14
	v_cmp_ge_i32_e32 vcc, v14, v11
	s_xor_b64 s[28:29], s[78:79], -1
	s_or_b64 s[28:29], s[28:29], vcc
	s_and_b64 s[28:29], exec, s[28:29]
	v_add_u32_e32 v38, s89, v38
	s_or_b64 s[76:77], s[28:29], s[76:77]
	v_add_u32_e32 v12, s89, v12
	s_andn2_b64 exec, exec, s[76:77]
	s_cbranch_execz .LBB56_58
.LBB56_43:                              ;   Parent Loop BB56_20 Depth=1
                                        ;     Parent Loop BB56_29 Depth=2
                                        ; =>    This Loop Header: Depth=3
                                        ;         Child Loop BB56_52 Depth 4
                                        ;         Child Loop BB56_57 Depth 4
	v_ashrrev_i32_e32 v15, 31, v14
	v_lshlrev_b64 v[16:17], 2, v[14:15]
	v_mov_b32_e32 v13, s53
	v_add_co_u32_e32 v16, vcc, s52, v16
	v_addc_co_u32_e32 v17, vcc, v13, v17, vcc
	global_load_dword v13, v[16:17], off
                                        ; implicit-def: $sgpr78_sgpr79
	s_waitcnt vmcnt(0)
	v_subrev_u32_e32 v13, s41, v13
	v_cmp_gt_i32_e64 s[28:29], s92, v13
	v_cmp_ge_i32_e32 vcc, v13, v35
	s_or_b64 s[28:29], s[28:29], vcc
	s_and_saveexec_b64 s[80:81], s[28:29]
	s_xor_b64 s[28:29], exec, s[80:81]
	s_cbranch_execz .LBB56_47
; %bb.44:                               ;   in Loop: Header=BB56_43 Depth=3
	s_mov_b64 s[78:79], -1
	s_and_saveexec_b64 s[80:81], vcc
; %bb.45:                               ;   in Loop: Header=BB56_43 Depth=3
	v_min_i32_e32 v36, v13, v36
	s_xor_b64 s[78:79], exec, -1
	v_mov_b32_e32 v37, v14
; %bb.46:                               ;   in Loop: Header=BB56_43 Depth=3
	s_or_b64 exec, exec, s[80:81]
	s_and_b64 s[78:79], s[78:79], exec
                                        ; implicit-def: $vgpr13
.LBB56_47:                              ;   in Loop: Header=BB56_43 Depth=3
	s_andn2_saveexec_b64 s[80:81], s[28:29]
	s_cbranch_execz .LBB56_42
; %bb.48:                               ;   in Loop: Header=BB56_43 Depth=3
	v_subrev_u32_e32 v13, s92, v13
	v_lshlrev_b32_e32 v15, 2, v13
	ds_write_b32 v15, v34 offset:10240
	s_and_saveexec_b64 s[82:83], s[4:5]
	s_cbranch_execz .LBB56_41
; %bb.49:                               ;   in Loop: Header=BB56_43 Depth=3
	v_cndmask_b32_e64 v15, 0, 1, s[56:57]
	s_andn2_b64 vcc, exec, s[48:49]
	v_cmp_ne_u32_e64 s[28:29], 1, v15
	s_cbranch_vccnz .LBB56_54
; %bb.50:                               ;   in Loop: Header=BB56_43 Depth=3
	v_mov_b32_e32 v17, 0
	s_and_b64 vcc, exec, s[28:29]
	v_mov_b32_e32 v16, v17
	s_cbranch_vccnz .LBB56_53
; %bb.51:                               ;   in Loop: Header=BB56_43 Depth=3
	v_mov_b32_e32 v16, 0
	v_mov_b32_e32 v18, v38
	s_mov_b32 s84, s70
	v_mov_b32_e32 v15, v30
	v_mov_b32_e32 v17, v16
.LBB56_52:                              ;   Parent Loop BB56_20 Depth=1
                                        ;     Parent Loop BB56_29 Depth=2
                                        ;       Parent Loop BB56_43 Depth=3
                                        ; =>      This Inner Loop Header: Depth=4
	v_ashrrev_i32_e32 v19, 31, v18
	v_lshlrev_b64 v[40:41], 3, v[18:19]
	v_mov_b32_e32 v39, s55
	v_add_co_u32_e32 v40, vcc, s54, v40
	v_addc_co_u32_e32 v41, vcc, v39, v41, vcc
	global_load_dwordx2 v[40:41], v[40:41], off
	ds_read_b64 v[42:43], v15
	s_add_i32 s84, s84, -1
	v_add_u32_e32 v15, 32, v15
	v_add_u32_e32 v18, 1, v18
	s_cmp_lg_u32 s84, 0
	s_waitcnt vmcnt(0) lgkmcnt(0)
	v_pk_fma_f32 v[16:17], v[42:43], v[40:41], v[16:17] op_sel_hi:[1,0,1]
	v_pk_fma_f32 v[16:17], v[42:43], v[40:41], v[16:17] op_sel:[1,1,0] op_sel_hi:[0,1,1] neg_lo:[1,0,0]
	s_cbranch_scc1 .LBB56_52
.LBB56_53:                              ;   in Loop: Header=BB56_43 Depth=3
	s_cbranch_execnz .LBB56_40
	s_branch .LBB56_55
.LBB56_54:                              ;   in Loop: Header=BB56_43 Depth=3
                                        ; implicit-def: $vgpr17
.LBB56_55:                              ;   in Loop: Header=BB56_43 Depth=3
	v_mov_b32_e32 v17, 0
	s_and_b64 vcc, exec, s[28:29]
	v_mov_b32_e32 v16, v17
	s_cbranch_vccnz .LBB56_40
; %bb.56:                               ;   in Loop: Header=BB56_43 Depth=3
	v_mov_b32_e32 v16, 0
	v_mov_b32_e32 v15, v31
	;; [unrolled: 1-line block ×3, first 2 shown]
	s_mov_b32 s28, s70
	v_mov_b32_e32 v17, v16
.LBB56_57:                              ;   Parent Loop BB56_20 Depth=1
                                        ;     Parent Loop BB56_29 Depth=2
                                        ;       Parent Loop BB56_43 Depth=3
                                        ; =>      This Inner Loop Header: Depth=4
	v_ashrrev_i32_e32 v19, 31, v18
	v_lshlrev_b64 v[40:41], 3, v[18:19]
	v_mov_b32_e32 v39, s55
	v_add_co_u32_e32 v40, vcc, s54, v40
	v_addc_co_u32_e32 v41, vcc, v39, v41, vcc
	global_load_dwordx2 v[40:41], v[40:41], off
	ds_read_b64 v[42:43], v15
	s_add_i32 s28, s28, -1
	v_add_u32_e32 v15, 8, v15
	v_add_u32_e32 v18, s70, v18
	s_cmp_eq_u32 s28, 0
	s_waitcnt vmcnt(0) lgkmcnt(0)
	v_pk_fma_f32 v[16:17], v[42:43], v[40:41], v[16:17] op_sel_hi:[1,0,1]
	v_pk_fma_f32 v[16:17], v[42:43], v[40:41], v[16:17] op_sel:[1,1,0] op_sel_hi:[0,1,1] neg_lo:[1,0,0]
	s_cbranch_scc0 .LBB56_57
	s_branch .LBB56_40
.LBB56_58:                              ;   in Loop: Header=BB56_29 Depth=2
	s_or_b64 exec, exec, s[76:77]
.LBB56_59:                              ;   in Loop: Header=BB56_29 Depth=2
	s_or_b64 exec, exec, s[74:75]
.LBB56_60:                              ;   in Loop: Header=BB56_29 Depth=2
	s_or_b64 exec, exec, s[72:73]
	s_waitcnt lgkmcnt(0)
	s_barrier
	s_and_saveexec_b64 s[28:29], s[26:27]
	s_cbranch_execz .LBB56_28
; %bb.61:                               ;   in Loop: Header=BB56_29 Depth=2
	v_ashrrev_i32_e32 v11, 31, v10
	v_lshlrev_b64 v[10:11], 2, v[10:11]
	v_mov_b32_e32 v12, s39
	v_add_co_u32_e32 v10, vcc, s38, v10
	v_addc_co_u32_e32 v11, vcc, v12, v11, vcc
	global_store_dword v[10:11], v37, off
	s_branch .LBB56_28
.LBB56_62:                              ;   in Loop: Header=BB56_29 Depth=2
                                        ; implicit-def: $vgpr37
	s_branch .LBB56_37
.LBB56_63:                              ;   in Loop: Header=BB56_20 Depth=1
	s_andn2_b64 vcc, exec, s[34:35]
	s_cbranch_vccnz .LBB56_75
; %bb.64:                               ;   in Loop: Header=BB56_20 Depth=1
	s_load_dwordx2 s[26:27], s[58:59], 0x0
	s_waitcnt lgkmcnt(0)
	s_sub_i32 s76, s27, s43
	v_add_u32_e32 v10, s26, v20
	v_cmp_gt_i32_e32 vcc, s76, v10
	s_and_saveexec_b64 s[60:61], vcc
	s_cbranch_execz .LBB56_74
; %bb.65:                               ;   in Loop: Header=BB56_20 Depth=1
	v_mad_u64_u32 v[12:13], s[26:27], s70, v10, v[6:7]
	v_mad_u64_u32 v[12:13], s[26:27], s70, v12, v[8:9]
	s_mov_b64 s[72:73], 0
	s_branch .LBB56_68
.LBB56_66:                              ;   in Loop: Header=BB56_68 Depth=2
	s_or_b64 exec, exec, s[74:75]
	s_or_b64 s[26:27], s[26:27], exec
.LBB56_67:                              ;   in Loop: Header=BB56_68 Depth=2
	s_or_b64 exec, exec, s[28:29]
	v_add_u32_e32 v10, 16, v10
	v_cmp_le_i32_e32 vcc, s76, v10
	s_xor_b64 s[26:27], s[26:27], -1
	s_or_b64 s[26:27], vcc, s[26:27]
	s_and_b64 s[26:27], exec, s[26:27]
	s_or_b64 s[72:73], s[26:27], s[72:73]
	v_add_u32_e32 v12, s90, v12
	s_andn2_b64 exec, exec, s[72:73]
	s_cbranch_execz .LBB56_73
.LBB56_68:                              ;   Parent Loop BB56_20 Depth=1
                                        ; =>  This Inner Loop Header: Depth=2
	v_ashrrev_i32_e32 v11, 31, v10
	v_lshlrev_b64 v[14:15], 2, v[10:11]
	v_mov_b32_e32 v11, s45
	v_add_co_u32_e32 v14, vcc, s44, v14
	v_addc_co_u32_e32 v15, vcc, v11, v15, vcc
	global_load_dword v11, v[14:15], off
	s_waitcnt vmcnt(0)
	v_subrev_u32_e32 v11, s43, v11
	v_cmp_gt_i32_e64 s[26:27], s92, v11
	v_cmp_ge_i32_e64 s[28:29], v11, v35
	v_cmp_lt_i32_e32 vcc, v11, v35
	s_or_b64 s[28:29], s[26:27], s[28:29]
                                        ; implicit-def: $sgpr26_sgpr27
	s_and_saveexec_b64 s[74:75], s[28:29]
	s_xor_b64 s[28:29], exec, s[74:75]
; %bb.69:                               ;   in Loop: Header=BB56_68 Depth=2
	v_min_i32_e32 v11, v11, v36
	v_cndmask_b32_e32 v36, v11, v36, vcc
	s_and_b64 s[26:27], vcc, exec
                                        ; implicit-def: $vgpr11
; %bb.70:                               ;   in Loop: Header=BB56_68 Depth=2
	s_andn2_saveexec_b64 s[28:29], s[28:29]
	s_cbranch_execz .LBB56_67
; %bb.71:                               ;   in Loop: Header=BB56_68 Depth=2
	v_subrev_u32_e32 v11, s92, v11
	v_lshlrev_b32_e32 v13, 2, v11
	ds_write_b32 v13, v34 offset:10240
	s_and_saveexec_b64 s[74:75], s[4:5]
	s_cbranch_execz .LBB56_66
; %bb.72:                               ;   in Loop: Header=BB56_68 Depth=2
	v_ashrrev_i32_e32 v13, 31, v12
	v_lshlrev_b64 v[14:15], 3, v[12:13]
	v_mov_b32_e32 v13, s47
	v_add_co_u32_e32 v14, vcc, s46, v14
	v_addc_co_u32_e32 v15, vcc, v13, v15, vcc
	global_load_dwordx2 v[14:15], v[14:15], off
	v_lshlrev_b32_e32 v11, 4, v11
	v_or3_b32 v11, v11, v9, v2
	v_lshlrev_b32_e32 v11, 3, v11
	s_waitcnt vmcnt(0)
	v_mul_f32_e64 v13, v15, -s86
	v_mul_f32_e32 v15, s30, v15
	v_fmac_f32_e32 v13, s30, v14
	v_fmac_f32_e32 v15, s86, v14
	ds_add_f32 v11, v13
	ds_add_f32 v11, v15 offset:4
	s_branch .LBB56_66
.LBB56_73:                              ;   in Loop: Header=BB56_20 Depth=1
	s_or_b64 exec, exec, s[72:73]
.LBB56_74:                              ;   in Loop: Header=BB56_20 Depth=1
	s_or_b64 exec, exec, s[60:61]
.LBB56_75:                              ;   in Loop: Header=BB56_20 Depth=1
	s_and_saveexec_b64 s[26:27], s[8:9]
	s_cbranch_execz .LBB56_80
; %bb.76:                               ;   in Loop: Header=BB56_20 Depth=1
	s_mov_b64 s[28:29], exec
	s_brev_b32 s60, -2
.LBB56_77:                              ;   Parent Loop BB56_20 Depth=1
                                        ; =>  This Inner Loop Header: Depth=2
	s_ff1_i32_b64 s61, s[28:29]
	v_readlane_b32 s74, v36, s61
	s_lshl_b64 s[72:73], 1, s61
	s_min_i32 s60, s60, s74
	s_andn2_b64 s[28:29], s[28:29], s[72:73]
	s_cmp_lg_u64 s[28:29], 0
	s_cbranch_scc1 .LBB56_77
; %bb.78:                               ;   in Loop: Header=BB56_20 Depth=1
	v_mbcnt_lo_u32_b32 v10, exec_lo, 0
	v_mbcnt_hi_u32_b32 v10, exec_hi, v10
	v_cmp_eq_u32_e32 vcc, 0, v10
	s_and_saveexec_b64 s[28:29], vcc
	s_xor_b64 s[28:29], exec, s[28:29]
	s_cbranch_execz .LBB56_80
; %bb.79:                               ;   in Loop: Header=BB56_20 Depth=1
	v_mov_b32_e32 v10, s60
	ds_min_i32 v0, v10 offset:10496
.LBB56_80:                              ;   in Loop: Header=BB56_20 Depth=1
	s_or_b64 exec, exec, s[26:27]
	s_waitcnt lgkmcnt(0)
	s_barrier
	ds_read_b32 v10, v21
	s_waitcnt lgkmcnt(0)
	s_barrier
	s_and_saveexec_b64 s[26:27], s[12:13]
	s_cbranch_execz .LBB56_82
; %bb.81:                               ;   in Loop: Header=BB56_20 Depth=1
	ds_read_b32 v11, v22
	s_waitcnt lgkmcnt(0)
	v_add_u32_e32 v10, v11, v10
.LBB56_82:                              ;   in Loop: Header=BB56_20 Depth=1
	s_or_b64 exec, exec, s[26:27]
	s_barrier
	ds_write_b32 v21, v10
	s_waitcnt lgkmcnt(0)
	s_barrier
	s_and_saveexec_b64 s[26:27], s[14:15]
	s_cbranch_execz .LBB56_84
; %bb.83:                               ;   in Loop: Header=BB56_20 Depth=1
	ds_read_b32 v11, v24
	s_waitcnt lgkmcnt(0)
	v_add_u32_e32 v10, v11, v10
.LBB56_84:                              ;   in Loop: Header=BB56_20 Depth=1
	s_or_b64 exec, exec, s[26:27]
	s_barrier
	ds_write_b32 v21, v10
	;; [unrolled: 12-line block ×6, first 2 shown]
	s_waitcnt lgkmcnt(0)
	s_barrier
	ds_read_b32 v12, v0 offset:10492
	v_mov_b32_e32 v11, 0
	s_and_saveexec_b64 s[26:27], s[10:11]
	s_cbranch_execz .LBB56_94
; %bb.93:                               ;   in Loop: Header=BB56_20 Depth=1
	ds_read_b32 v11, v22
.LBB56_94:                              ;   in Loop: Header=BB56_20 Depth=1
	s_or_b64 exec, exec, s[26:27]
	s_waitcnt lgkmcnt(0)
	v_cmp_eq_u32_e32 vcc, v10, v11
	s_and_b64 s[28:29], s[10:11], vcc
	s_barrier
	s_and_saveexec_b64 s[26:27], s[28:29]
	s_cbranch_execz .LBB56_96
; %bb.95:                               ;   in Loop: Header=BB56_20 Depth=1
	ds_write_b32 v21, v0
.LBB56_96:                              ;   in Loop: Header=BB56_20 Depth=1
	s_or_b64 exec, exec, s[26:27]
	v_add_u32_e32 v13, -1, v33
	s_add_i32 s60, s42, s92
	s_mov_b64 s[26:27], 0
	v_mov_b32_e32 v14, v32
	v_mov_b32_e32 v15, v5
	v_mov_b32_e32 v16, v3
	s_waitcnt lgkmcnt(0)
	s_barrier
	s_branch .LBB56_98
.LBB56_97:                              ;   in Loop: Header=BB56_98 Depth=2
	s_or_b64 exec, exec, s[28:29]
	v_add_u32_e32 v10, 16, v16
	v_cmp_lt_u32_e32 vcc, 47, v16
	v_add_u32_e32 v15, 0x800, v15
	v_add_u32_e32 v14, 64, v14
	s_or_b64 s[26:27], vcc, s[26:27]
	v_mov_b32_e32 v16, v10
	s_andn2_b64 exec, exec, s[26:27]
	s_cbranch_execz .LBB56_19
.LBB56_98:                              ;   Parent Loop BB56_20 Depth=1
                                        ; =>  This Inner Loop Header: Depth=2
	ds_read_b32 v10, v14
	s_waitcnt lgkmcnt(0)
	v_cmp_ne_u32_e32 vcc, 0, v10
	s_and_saveexec_b64 s[28:29], vcc
	s_cbranch_execz .LBB56_97
; %bb.99:                               ;   in Loop: Header=BB56_98 Depth=2
	v_add_u32_e32 v10, v13, v10
	v_ashrrev_i32_e32 v11, 31, v10
	v_lshlrev_b64 v[18:19], 2, v[10:11]
	v_mov_b32_e32 v11, s51
	v_add_co_u32_e32 v18, vcc, s50, v18
	v_add_u32_e32 v17, s60, v16
	v_addc_co_u32_e32 v19, vcc, v11, v19, vcc
	global_store_dword v[18:19], v17, off
	s_and_b64 exec, exec, s[4:5]
	s_cbranch_execz .LBB56_97
; %bb.100:                              ;   in Loop: Header=BB56_98 Depth=2
	v_mad_u64_u32 v[10:11], s[72:73], v10, s70, v[6:7]
	ds_read_b64 v[18:19], v15
	v_mad_u64_u32 v[10:11], s[72:73], v10, s70, v[8:9]
	v_ashrrev_i32_e32 v11, 31, v10
	v_lshlrev_b64 v[10:11], 3, v[10:11]
	v_mov_b32_e32 v17, s37
	v_add_co_u32_e32 v10, vcc, s36, v10
	v_addc_co_u32_e32 v11, vcc, v17, v11, vcc
	s_waitcnt lgkmcnt(0)
	global_store_dwordx2 v[10:11], v[18:19], off
	s_branch .LBB56_97
.LBB56_101:
	s_endpgm
	.section	.rodata,"a",@progbits
	.p2align	6, 0x0
	.amdhsa_kernel _ZN9rocsparseL38bsrgemm_block_per_row_atomic_multipassILj256ELj64ELj4Eii21rocsparse_complex_numIfEEEv20rocsparse_direction_T3_S4_PKS4_S6_NS_24const_host_device_scalarIT4_EEPKT2_S6_PKS8_SC_S6_SE_S9_SC_S6_SE_SC_PS4_PS8_PSA_21rocsparse_index_base_SI_SI_SI_bbb
		.amdhsa_group_segment_fixed_size 10500
		.amdhsa_private_segment_fixed_size 0
		.amdhsa_kernarg_size 172
		.amdhsa_user_sgpr_count 6
		.amdhsa_user_sgpr_private_segment_buffer 1
		.amdhsa_user_sgpr_dispatch_ptr 0
		.amdhsa_user_sgpr_queue_ptr 0
		.amdhsa_user_sgpr_kernarg_segment_ptr 1
		.amdhsa_user_sgpr_dispatch_id 0
		.amdhsa_user_sgpr_flat_scratch_init 0
		.amdhsa_user_sgpr_kernarg_preload_length 0
		.amdhsa_user_sgpr_kernarg_preload_offset 0
		.amdhsa_user_sgpr_private_segment_size 0
		.amdhsa_uses_dynamic_stack 0
		.amdhsa_system_sgpr_private_segment_wavefront_offset 0
		.amdhsa_system_sgpr_workgroup_id_x 1
		.amdhsa_system_sgpr_workgroup_id_y 0
		.amdhsa_system_sgpr_workgroup_id_z 0
		.amdhsa_system_sgpr_workgroup_info 0
		.amdhsa_system_vgpr_workitem_id 0
		.amdhsa_next_free_vgpr 44
		.amdhsa_next_free_sgpr 94
		.amdhsa_accum_offset 44
		.amdhsa_reserve_vcc 1
		.amdhsa_reserve_flat_scratch 0
		.amdhsa_float_round_mode_32 0
		.amdhsa_float_round_mode_16_64 0
		.amdhsa_float_denorm_mode_32 3
		.amdhsa_float_denorm_mode_16_64 3
		.amdhsa_dx10_clamp 1
		.amdhsa_ieee_mode 1
		.amdhsa_fp16_overflow 0
		.amdhsa_tg_split 0
		.amdhsa_exception_fp_ieee_invalid_op 0
		.amdhsa_exception_fp_denorm_src 0
		.amdhsa_exception_fp_ieee_div_zero 0
		.amdhsa_exception_fp_ieee_overflow 0
		.amdhsa_exception_fp_ieee_underflow 0
		.amdhsa_exception_fp_ieee_inexact 0
		.amdhsa_exception_int_div_zero 0
	.end_amdhsa_kernel
	.section	.text._ZN9rocsparseL38bsrgemm_block_per_row_atomic_multipassILj256ELj64ELj4Eii21rocsparse_complex_numIfEEEv20rocsparse_direction_T3_S4_PKS4_S6_NS_24const_host_device_scalarIT4_EEPKT2_S6_PKS8_SC_S6_SE_S9_SC_S6_SE_SC_PS4_PS8_PSA_21rocsparse_index_base_SI_SI_SI_bbb,"axG",@progbits,_ZN9rocsparseL38bsrgemm_block_per_row_atomic_multipassILj256ELj64ELj4Eii21rocsparse_complex_numIfEEEv20rocsparse_direction_T3_S4_PKS4_S6_NS_24const_host_device_scalarIT4_EEPKT2_S6_PKS8_SC_S6_SE_S9_SC_S6_SE_SC_PS4_PS8_PSA_21rocsparse_index_base_SI_SI_SI_bbb,comdat
.Lfunc_end56:
	.size	_ZN9rocsparseL38bsrgemm_block_per_row_atomic_multipassILj256ELj64ELj4Eii21rocsparse_complex_numIfEEEv20rocsparse_direction_T3_S4_PKS4_S6_NS_24const_host_device_scalarIT4_EEPKT2_S6_PKS8_SC_S6_SE_S9_SC_S6_SE_SC_PS4_PS8_PSA_21rocsparse_index_base_SI_SI_SI_bbb, .Lfunc_end56-_ZN9rocsparseL38bsrgemm_block_per_row_atomic_multipassILj256ELj64ELj4Eii21rocsparse_complex_numIfEEEv20rocsparse_direction_T3_S4_PKS4_S6_NS_24const_host_device_scalarIT4_EEPKT2_S6_PKS8_SC_S6_SE_S9_SC_S6_SE_SC_PS4_PS8_PSA_21rocsparse_index_base_SI_SI_SI_bbb
                                        ; -- End function
	.section	.AMDGPU.csdata,"",@progbits
; Kernel info:
; codeLenInByte = 2980
; NumSgprs: 98
; NumVgprs: 44
; NumAgprs: 0
; TotalNumVgprs: 44
; ScratchSize: 0
; MemoryBound: 0
; FloatMode: 240
; IeeeMode: 1
; LDSByteSize: 10500 bytes/workgroup (compile time only)
; SGPRBlocks: 12
; VGPRBlocks: 5
; NumSGPRsForWavesPerEU: 98
; NumVGPRsForWavesPerEU: 44
; AccumOffset: 44
; Occupancy: 6
; WaveLimiterHint : 1
; COMPUTE_PGM_RSRC2:SCRATCH_EN: 0
; COMPUTE_PGM_RSRC2:USER_SGPR: 6
; COMPUTE_PGM_RSRC2:TRAP_HANDLER: 0
; COMPUTE_PGM_RSRC2:TGID_X_EN: 1
; COMPUTE_PGM_RSRC2:TGID_Y_EN: 0
; COMPUTE_PGM_RSRC2:TGID_Z_EN: 0
; COMPUTE_PGM_RSRC2:TIDIG_COMP_CNT: 0
; COMPUTE_PGM_RSRC3_GFX90A:ACCUM_OFFSET: 10
; COMPUTE_PGM_RSRC3_GFX90A:TG_SPLIT: 0
	.section	.text._ZN9rocsparseL38bsrgemm_block_per_row_atomic_multipassILj256ELj128ELj4Eii21rocsparse_complex_numIfEEEv20rocsparse_direction_T3_S4_PKS4_S6_NS_24const_host_device_scalarIT4_EEPKT2_S6_PKS8_SC_S6_SE_S9_SC_S6_SE_SC_PS4_PS8_PSA_21rocsparse_index_base_SI_SI_SI_bbb,"axG",@progbits,_ZN9rocsparseL38bsrgemm_block_per_row_atomic_multipassILj256ELj128ELj4Eii21rocsparse_complex_numIfEEEv20rocsparse_direction_T3_S4_PKS4_S6_NS_24const_host_device_scalarIT4_EEPKT2_S6_PKS8_SC_S6_SE_S9_SC_S6_SE_SC_PS4_PS8_PSA_21rocsparse_index_base_SI_SI_SI_bbb,comdat
	.globl	_ZN9rocsparseL38bsrgemm_block_per_row_atomic_multipassILj256ELj128ELj4Eii21rocsparse_complex_numIfEEEv20rocsparse_direction_T3_S4_PKS4_S6_NS_24const_host_device_scalarIT4_EEPKT2_S6_PKS8_SC_S6_SE_S9_SC_S6_SE_SC_PS4_PS8_PSA_21rocsparse_index_base_SI_SI_SI_bbb ; -- Begin function _ZN9rocsparseL38bsrgemm_block_per_row_atomic_multipassILj256ELj128ELj4Eii21rocsparse_complex_numIfEEEv20rocsparse_direction_T3_S4_PKS4_S6_NS_24const_host_device_scalarIT4_EEPKT2_S6_PKS8_SC_S6_SE_S9_SC_S6_SE_SC_PS4_PS8_PSA_21rocsparse_index_base_SI_SI_SI_bbb
	.p2align	8
	.type	_ZN9rocsparseL38bsrgemm_block_per_row_atomic_multipassILj256ELj128ELj4Eii21rocsparse_complex_numIfEEEv20rocsparse_direction_T3_S4_PKS4_S6_NS_24const_host_device_scalarIT4_EEPKT2_S6_PKS8_SC_S6_SE_S9_SC_S6_SE_SC_PS4_PS8_PSA_21rocsparse_index_base_SI_SI_SI_bbb,@function
_ZN9rocsparseL38bsrgemm_block_per_row_atomic_multipassILj256ELj128ELj4Eii21rocsparse_complex_numIfEEEv20rocsparse_direction_T3_S4_PKS4_S6_NS_24const_host_device_scalarIT4_EEPKT2_S6_PKS8_SC_S6_SE_S9_SC_S6_SE_SC_PS4_PS8_PSA_21rocsparse_index_base_SI_SI_SI_bbb: ; @_ZN9rocsparseL38bsrgemm_block_per_row_atomic_multipassILj256ELj128ELj4Eii21rocsparse_complex_numIfEEEv20rocsparse_direction_T3_S4_PKS4_S6_NS_24const_host_device_scalarIT4_EEPKT2_S6_PKS8_SC_S6_SE_S9_SC_S6_SE_SC_PS4_PS8_PSA_21rocsparse_index_base_SI_SI_SI_bbb
; %bb.0:
	s_load_dwordx8 s[40:47], s[4:5], 0x88
	s_load_dword s2, s[4:5], 0xa8
	s_load_dwordx8 s[48:55], s[4:5], 0x68
	s_load_dwordx8 s[56:63], s[4:5], 0x48
	s_load_dwordx4 s[8:11], s[4:5], 0x10
	s_load_dwordx8 s[64:71], s[4:5], 0x28
	s_waitcnt lgkmcnt(0)
	s_bitcmp1_b32 s2, 0
	s_cselect_b64 s[34:35], -1, 0
	s_bitcmp1_b32 s2, 16
	s_cselect_b64 s[0:1], -1, 0
	s_xor_b64 s[0:1], s[0:1], -1
	v_cndmask_b32_e64 v1, 0, 1, s[0:1]
	s_mov_b32 s77, 0
	s_bitcmp0_b32 s2, 0
	v_cmp_ne_u32_e64 s[0:1], 1, v1
	s_mov_b32 s33, 0
	s_cbranch_scc1 .LBB57_5
; %bb.1:
	s_load_dwordx2 s[76:77], s[4:5], 0x20
	s_and_b64 vcc, exec, s[0:1]
	s_waitcnt lgkmcnt(0)
	s_mov_b32 s33, s76
	s_cbranch_vccnz .LBB57_3
; %bb.2:
	s_load_dword s33, s[76:77], 0x0
.LBB57_3:
	s_and_b64 vcc, exec, s[0:1]
	s_cbranch_vccnz .LBB57_5
; %bb.4:
	s_load_dword s77, s[76:77], 0x4
.LBB57_5:
	s_bitcmp1_b32 s2, 8
	s_cselect_b64 s[78:79], -1, 0
	s_bfe_u32 s2, s2, 0x10008
	s_mov_b32 s94, 0
	s_cmp_eq_u32 s2, 0
	s_mov_b32 s76, 0
	s_cbranch_scc1 .LBB57_11
; %bb.6:
	s_and_b64 vcc, exec, s[0:1]
	s_mov_b32 s76, s60
	s_cbranch_vccnz .LBB57_8
; %bb.7:
	s_load_dword s76, s[60:61], 0x0
.LBB57_8:
	s_and_b64 vcc, exec, s[0:1]
	s_cbranch_vccnz .LBB57_10
; %bb.9:
	s_load_dword s61, s[60:61], 0x4
.LBB57_10:
	s_waitcnt lgkmcnt(0)
	s_mov_b32 s94, s61
.LBB57_11:
	s_cmp_eq_u64 s[10:11], 0
	s_cbranch_scc1 .LBB57_13
; %bb.12:
	s_load_dword s0, s[8:9], 0x0
	s_mov_b32 s1, 0
	s_waitcnt lgkmcnt(0)
	s_add_i32 s0, s0, s6
	s_lshl_b64 s[0:1], s[0:1], 2
	s_add_u32 s0, s10, s0
	s_addc_u32 s1, s11, s1
	s_load_dword s6, s[0:1], 0x0
.LBB57_13:
	v_cndmask_b32_e64 v1, 0, 1, s[34:35]
	s_mov_b32 s95, 0
	v_cmp_ne_u32_e64 s[0:1], 1, v1
	s_andn2_b64 vcc, exec, s[34:35]
	s_mov_b32 s30, 0
	s_cbranch_vccz .LBB57_16
; %bb.14:
	s_and_b64 vcc, exec, s[0:1]
	s_cbranch_vccz .LBB57_17
.LBB57_15:
	s_load_dwordx4 s[72:75], s[4:5], 0x0
	s_waitcnt lgkmcnt(0)
	s_cmp_lt_i32 s73, 1
	s_cbranch_scc0 .LBB57_18
	s_branch .LBB57_107
.LBB57_16:
	s_waitcnt lgkmcnt(0)
	s_ashr_i32 s7, s6, 31
	s_lshl_b64 s[2:3], s[6:7], 2
	s_add_u32 s2, s64, s2
	s_addc_u32 s3, s65, s3
	s_load_dword s2, s[2:3], 0x0
	s_waitcnt lgkmcnt(0)
	s_sub_i32 s30, s2, s44
	s_and_b64 vcc, exec, s[0:1]
	s_cbranch_vccnz .LBB57_15
.LBB57_17:
	s_waitcnt lgkmcnt(0)
	s_ashr_i32 s7, s6, 31
	s_lshl_b64 s[0:1], s[6:7], 2
	s_add_u32 s0, s64, s0
	s_addc_u32 s1, s65, s1
	s_load_dword s0, s[0:1], 0x4
	s_waitcnt lgkmcnt(0)
	s_sub_i32 s95, s0, s44
	s_load_dwordx4 s[72:75], s[4:5], 0x0
	s_waitcnt lgkmcnt(0)
	s_cmp_lt_i32 s73, 1
	s_cbranch_scc1 .LBB57_107
.LBB57_18:
	s_ashr_i32 s7, s6, 31
	s_lshl_b64 s[8:9], s[6:7], 2
	s_add_u32 s0, s52, s8
	s_addc_u32 s1, s53, s9
	s_load_dword s0, s[0:1], 0x0
	v_and_b32_e32 v1, 15, v0
	s_movk_i32 s31, 0x200
	v_and_b32_e32 v2, 3, v0
	v_bfe_u32 v4, v0, 2, 2
	s_waitcnt lgkmcnt(0)
	s_sub_i32 s38, s0, s46
	s_cmp_lt_i32 s30, s95
	s_cselect_b64 s[28:29], -1, 0
	s_cmp_eq_u32 s72, 0
	s_cselect_b64 vcc, -1, 0
	s_cmp_lg_u32 s72, 0
	s_cselect_b64 s[52:53], -1, 0
	s_cmp_gt_i32 s74, 0
	s_cselect_b64 s[36:37], -1, 0
	s_add_u32 s60, s62, s8
	s_addc_u32 s61, s63, s9
	v_cmp_eq_u32_e64 s[8:9], 15, v1
	v_and_b32_e32 v1, 0x7f, v0
	v_cmp_gt_u32_e64 s[62:63], s31, v0
                                        ; implicit-def: $vgpr46 : SGPR spill to VGPR lane
	v_lshrrev_b32_e32 v3, 4, v0
	s_movk_i32 s0, 0x80
	v_max_i32_e32 v5, v2, v4
	v_lshlrev_b32_e32 v6, 2, v1
	v_add_co_u32_e64 v8, s[10:11], -1, v1
	v_mov_b32_e32 v10, 0x4800
	v_cmp_ne_u32_e64 s[12:13], 0, v1
	v_cmp_lt_u32_e64 s[14:15], 1, v1
	v_cmp_lt_u32_e64 s[16:17], 3, v1
	v_cmp_lt_u32_e64 s[18:19], 7, v1
	v_cmp_lt_u32_e64 s[20:21], 15, v1
	v_cmp_lt_u32_e64 s[22:23], 31, v1
	v_cmp_lt_u32_e64 s[24:25], 63, v1
	v_or_b32_e32 v1, 0x400, v0
	s_movk_i32 s26, 0x700
	v_writelane_b32 v46, s62, 0
	s_movk_i32 s31, 0x100
	v_cmp_gt_u32_e64 s[0:1], s0, v0
	s_mov_b32 s64, 0
	v_cmp_eq_u32_e64 s[2:3], 0, v0
	v_cmp_gt_i32_e64 s[4:5], s74, v5
	v_cmp_le_i32_e64 s[6:7], s74, v5
	v_lshlrev_b32_e32 v5, 3, v0
	s_movk_i32 s39, 0x4000
	v_and_b32_e32 v9, 12, v0
	v_lshl_or_b32 v25, v0, 2, v10
	v_cmp_gt_u32_e64 s[26:27], s26, v1
	v_writelane_b32 v46, s63, 1
	v_cmp_gt_u32_e64 s[62:63], s31, v0
	s_and_b64 s[34:35], s[34:35], s[28:29]
	v_lshlrev_b32_e32 v0, 7, v3
	v_lshlrev_b32_e32 v1, 3, v4
	s_add_u32 s31, s70, 4
	v_or3_b32 v32, v0, v1, s39
	s_mul_i32 s75, s74, s74
	v_and_b32_e32 v0, 0x7e0, v5
	s_mov_b32 s65, s64
	v_cndmask_b32_e64 v1, 0, 1, s[34:35]
	v_or_b32_e32 v7, 0x4000, v5
	v_subrev_u32_e32 v22, s47, v3
	v_or_b32_e32 v23, 0x4800, v6
	v_lshl_add_u32 v24, v8, 2, v10
	v_add_u32_e32 v26, 0x47f8, v6
	v_add_u32_e32 v27, 0x47f0, v6
	;; [unrolled: 1-line block ×6, first 2 shown]
	v_cndmask_b32_e32 v6, v2, v4, vcc
	v_cndmask_b32_e32 v8, v4, v2, vcc
	v_writelane_b32 v46, s62, 2
	s_addc_u32 s72, s71, 0
	v_or_b32_e32 v33, 0x4000, v0
	s_lshl_b32 s28, s75, 4
	v_lshl_or_b32 v34, v3, 2, v10
	v_mov_b32_e32 v38, 0x80
	v_mov_b32_e32 v35, s38
	;; [unrolled: 1-line block ×3, first 2 shown]
	v_pk_mov_b32 v[10:11], s[64:65], s[64:65] op_sel:[0,1]
	v_mov_b32_e32 v36, 1
	v_cndmask_b32_e64 v37, 0, 1, s[36:37]
	s_movk_i32 s29, 0x6f
	v_cmp_ne_u32_e64 s[34:35], 1, v1
	v_writelane_b32 v46, s63, 3
	s_branch .LBB57_20
.LBB57_19:                              ;   in Loop: Header=BB57_20 Depth=1
	s_or_b64 exec, exec, s[36:37]
	s_barrier
	ds_read_b32 v1, v0 offset:18944
	v_add_u32_e32 v35, v14, v35
	s_waitcnt lgkmcnt(0)
	s_barrier
	v_cmp_le_i32_e32 vcc, s73, v1
	v_readfirstlane_b32 s64, v1
	v_add_u32_e32 v38, 0x80, v1
	s_cbranch_vccnz .LBB57_107
.LBB57_20:                              ; =>This Loop Header: Depth=1
                                        ;     Child Loop BB57_33 Depth 2
                                        ;       Child Loop BB57_47 Depth 3
                                        ;         Child Loop BB57_56 Depth 4
                                        ;         Child Loop BB57_61 Depth 4
                                        ;     Child Loop BB57_72 Depth 2
                                        ;     Child Loop BB57_81 Depth 2
	;; [unrolled: 1-line block ×3, first 2 shown]
	s_and_saveexec_b64 s[36:37], s[0:1]
	s_cbranch_execz .LBB57_22
; %bb.21:                               ;   in Loop: Header=BB57_20 Depth=1
	ds_write_b32 v25, v0
.LBB57_22:                              ;   in Loop: Header=BB57_20 Depth=1
	s_or_b64 exec, exec, s[36:37]
	ds_write2st64_b64 v5, v[10:11], v[10:11] offset1:4
	ds_write2st64_b64 v5, v[10:11], v[10:11] offset0:8 offset1:12
	ds_write_b64 v5, v[10:11] offset:8192
	s_and_saveexec_b64 s[36:37], s[26:27]
	s_xor_b64 s[36:37], exec, s[36:37]
	s_cbranch_execz .LBB57_28
; %bb.23:                               ;   in Loop: Header=BB57_20 Depth=1
	v_mov_b32_e32 v1, v0
	ds_write_b64 v5, v[0:1] offset:10240
	s_mov_b64 s[38:39], exec
	v_readlane_b32 s62, v46, 0
	v_readlane_b32 s63, v46, 1
	s_and_b64 s[62:63], s[38:39], s[62:63]
	s_xor_b64 s[38:39], s[62:63], s[38:39]
	s_mov_b64 exec, s[62:63]
	s_cbranch_execz .LBB57_27
; %bb.24:                               ;   in Loop: Header=BB57_20 Depth=1
	ds_write_b64 v5, v[0:1] offset:12288
	s_mov_b64 s[62:63], exec
	v_readlane_b32 s80, v46, 2
	v_readlane_b32 s81, v46, 3
	s_and_b64 s[80:81], s[62:63], s[80:81]
	s_xor_b64 s[62:63], s[80:81], s[62:63]
	s_mov_b64 exec, s[80:81]
	s_cbranch_execz .LBB57_26
; %bb.25:                               ;   in Loop: Header=BB57_20 Depth=1
	v_mov_b32_e32 v1, v0
	ds_write_b64 v5, v[0:1] offset:14336
.LBB57_26:                              ;   in Loop: Header=BB57_20 Depth=1
	s_or_b64 exec, exec, s[62:63]
.LBB57_27:                              ;   in Loop: Header=BB57_20 Depth=1
	s_or_b64 exec, exec, s[38:39]
.LBB57_28:                              ;   in Loop: Header=BB57_20 Depth=1
	s_or_b64 exec, exec, s[36:37]
	s_and_saveexec_b64 s[36:37], s[2:3]
	s_cbranch_execz .LBB57_30
; %bb.29:                               ;   in Loop: Header=BB57_20 Depth=1
	v_mov_b32_e32 v1, s73
	ds_write_b32 v0, v1 offset:18944
.LBB57_30:                              ;   in Loop: Header=BB57_20 Depth=1
	s_or_b64 exec, exec, s[36:37]
	s_and_b64 vcc, exec, s[34:35]
	v_mov_b32_e32 v39, s73
	s_waitcnt lgkmcnt(0)
	s_barrier
	s_cbranch_vccnz .LBB57_67
; %bb.31:                               ;   in Loop: Header=BB57_20 Depth=1
	s_cmp_lg_u32 s64, 0
	s_cselect_b64 s[62:63], -1, 0
	v_mov_b32_e32 v39, s73
	s_mov_b32 s65, s30
	s_branch .LBB57_33
.LBB57_32:                              ;   in Loop: Header=BB57_33 Depth=2
	s_or_b64 exec, exec, s[38:39]
	s_add_i32 s65, s65, 16
	s_cmp_lt_i32 s65, s95
	s_cbranch_scc0 .LBB57_67
.LBB57_33:                              ;   Parent Loop BB57_20 Depth=1
                                        ; =>  This Loop Header: Depth=2
                                        ;       Child Loop BB57_47 Depth 3
                                        ;         Child Loop BB57_56 Depth 4
                                        ;         Child Loop BB57_61 Depth 4
	v_add_u32_e32 v12, s65, v3
	v_cmp_gt_i32_e64 s[36:37], s95, v12
	s_barrier
	s_and_saveexec_b64 s[38:39], s[36:37]
	s_cbranch_execz .LBB57_38
; %bb.34:                               ;   in Loop: Header=BB57_33 Depth=2
	s_and_saveexec_b64 s[80:81], s[6:7]
	s_xor_b64 s[80:81], exec, s[80:81]
	s_cbranch_execz .LBB57_36
; %bb.35:                               ;   in Loop: Header=BB57_33 Depth=2
	v_mov_b32_e32 v1, v0
	ds_write_b64 v7, v[0:1]
.LBB57_36:                              ;   in Loop: Header=BB57_33 Depth=2
	s_andn2_saveexec_b64 s[80:81], s[80:81]
	s_cbranch_execz .LBB57_38
; %bb.37:                               ;   in Loop: Header=BB57_33 Depth=2
	v_mad_u64_u32 v[14:15], s[80:81], v12, s74, v[4:5]
	v_mad_u64_u32 v[14:15], s[80:81], v14, s74, v[2:3]
	v_ashrrev_i32_e32 v15, 31, v14
	v_lshlrev_b64 v[14:15], 3, v[14:15]
	v_mov_b32_e32 v1, s69
	v_add_co_u32_e32 v14, vcc, s68, v14
	v_addc_co_u32_e32 v15, vcc, v1, v15, vcc
	global_load_dwordx2 v[14:15], v[14:15], off
	s_waitcnt vmcnt(0)
	ds_write_b64 v7, v[14:15]
.LBB57_38:                              ;   in Loop: Header=BB57_33 Depth=2
	s_or_b64 exec, exec, s[38:39]
	v_mov_b32_e32 v1, 0
	s_waitcnt lgkmcnt(0)
	s_barrier
	s_and_saveexec_b64 s[80:81], s[36:37]
	s_cbranch_execz .LBB57_64
; %bb.39:                               ;   in Loop: Header=BB57_33 Depth=2
	v_ashrrev_i32_e32 v13, 31, v12
	v_lshlrev_b64 v[16:17], 2, v[12:13]
	v_mov_b32_e32 v1, s67
	v_add_co_u32_e32 v14, vcc, s66, v16
	v_addc_co_u32_e32 v15, vcc, v1, v17, vcc
	global_load_dword v1, v[14:15], off
	s_and_b64 vcc, exec, s[62:63]
	s_waitcnt vmcnt(0)
	v_subrev_u32_e32 v14, s44, v1
	v_ashrrev_i32_e32 v15, 31, v14
	s_cbranch_vccz .LBB57_66
; %bb.40:                               ;   in Loop: Header=BB57_33 Depth=2
	v_mov_b32_e32 v1, s43
	v_add_co_u32_e32 v16, vcc, s42, v16
	v_addc_co_u32_e32 v17, vcc, v1, v17, vcc
	global_load_dword v1, v[16:17], off
	s_cbranch_execnz .LBB57_42
.LBB57_41:                              ;   in Loop: Header=BB57_33 Depth=2
	v_lshlrev_b64 v[16:17], 2, v[14:15]
	s_waitcnt vmcnt(0)
	v_mov_b32_e32 v1, s71
	v_add_co_u32_e32 v16, vcc, s70, v16
	v_addc_co_u32_e32 v17, vcc, v1, v17, vcc
	global_load_dword v1, v[16:17], off
	s_waitcnt vmcnt(0)
	v_subrev_u32_e32 v1, s45, v1
.LBB57_42:                              ;   in Loop: Header=BB57_33 Depth=2
	v_lshlrev_b64 v[14:15], 2, v[14:15]
	v_mov_b32_e32 v13, s72
	v_add_co_u32_e32 v14, vcc, s31, v14
	v_addc_co_u32_e32 v15, vcc, v13, v15, vcc
	global_load_dword v13, v[14:15], off
	s_waitcnt vmcnt(0)
	v_subrev_u32_e32 v13, s45, v13
	v_cmp_lt_i32_e32 vcc, v1, v13
	s_and_saveexec_b64 s[82:83], vcc
	s_cbranch_execz .LBB57_63
; %bb.43:                               ;   in Loop: Header=BB57_33 Depth=2
	v_mad_u64_u32 v[14:15], s[38:39], s74, v1, v[2:3]
	v_mul_lo_u32 v40, s74, v14
	v_mad_u64_u32 v[14:15], s[38:39], s75, v1, v[2:3]
	s_mov_b64 s[84:85], 0
	v_mov_b32_e32 v16, v1
	s_branch .LBB57_47
.LBB57_44:                              ;   in Loop: Header=BB57_47 Depth=3
	v_lshlrev_b32_e32 v15, 4, v15
	v_or3_b32 v15, v15, v9, v2
	v_mul_f32_e64 v17, v19, -s77
	v_lshlrev_b32_e32 v15, 3, v15
	v_fmac_f32_e32 v17, s33, v18
	v_mul_f32_e32 v19, s33, v19
	v_fmac_f32_e32 v19, s77, v18
	ds_add_f32 v15, v17
	ds_add_f32 v15, v19 offset:4
.LBB57_45:                              ;   in Loop: Header=BB57_47 Depth=3
	s_or_b64 exec, exec, s[90:91]
	s_or_b64 s[86:87], s[86:87], exec
.LBB57_46:                              ;   in Loop: Header=BB57_47 Depth=3
	s_or_b64 exec, exec, s[88:89]
	v_add_u32_e32 v16, 1, v16
	v_cmp_ge_i32_e32 vcc, v16, v13
	s_xor_b64 s[38:39], s[86:87], -1
	s_or_b64 s[38:39], s[38:39], vcc
	s_and_b64 s[38:39], exec, s[38:39]
	v_add_u32_e32 v40, s75, v40
	s_or_b64 s[84:85], s[38:39], s[84:85]
	v_add_u32_e32 v14, s75, v14
	s_andn2_b64 exec, exec, s[84:85]
	s_cbranch_execz .LBB57_62
.LBB57_47:                              ;   Parent Loop BB57_20 Depth=1
                                        ;     Parent Loop BB57_33 Depth=2
                                        ; =>    This Loop Header: Depth=3
                                        ;         Child Loop BB57_56 Depth 4
                                        ;         Child Loop BB57_61 Depth 4
	v_ashrrev_i32_e32 v17, 31, v16
	v_lshlrev_b64 v[18:19], 2, v[16:17]
	v_mov_b32_e32 v15, s57
	v_add_co_u32_e32 v18, vcc, s56, v18
	v_addc_co_u32_e32 v19, vcc, v15, v19, vcc
	global_load_dword v15, v[18:19], off
                                        ; implicit-def: $sgpr86_sgpr87
	s_waitcnt vmcnt(0)
	v_subrev_u32_e32 v15, s45, v15
	v_cmp_gt_i32_e64 s[38:39], s64, v15
	v_cmp_ge_i32_e32 vcc, v15, v38
	s_or_b64 s[38:39], s[38:39], vcc
	s_and_saveexec_b64 s[88:89], s[38:39]
	s_xor_b64 s[38:39], exec, s[88:89]
	s_cbranch_execz .LBB57_51
; %bb.48:                               ;   in Loop: Header=BB57_47 Depth=3
	s_mov_b64 s[86:87], -1
	s_and_saveexec_b64 s[88:89], vcc
; %bb.49:                               ;   in Loop: Header=BB57_47 Depth=3
	v_min_i32_e32 v39, v15, v39
	s_xor_b64 s[86:87], exec, -1
	v_mov_b32_e32 v1, v16
; %bb.50:                               ;   in Loop: Header=BB57_47 Depth=3
	s_or_b64 exec, exec, s[88:89]
	s_and_b64 s[86:87], s[86:87], exec
                                        ; implicit-def: $vgpr15
.LBB57_51:                              ;   in Loop: Header=BB57_47 Depth=3
	s_andn2_saveexec_b64 s[88:89], s[38:39]
	s_cbranch_execz .LBB57_46
; %bb.52:                               ;   in Loop: Header=BB57_47 Depth=3
	v_subrev_u32_e32 v15, s64, v15
	v_lshlrev_b32_e32 v17, 2, v15
	ds_write_b32 v17, v36 offset:18432
	s_and_saveexec_b64 s[90:91], s[4:5]
	s_cbranch_execz .LBB57_45
; %bb.53:                               ;   in Loop: Header=BB57_47 Depth=3
	s_andn2_b64 vcc, exec, s[52:53]
	v_cmp_ne_u32_e64 s[38:39], 1, v37
	s_cbranch_vccnz .LBB57_58
; %bb.54:                               ;   in Loop: Header=BB57_47 Depth=3
	v_mov_b32_e32 v19, 0
	s_and_b64 vcc, exec, s[38:39]
	v_mov_b32_e32 v18, v19
	s_cbranch_vccnz .LBB57_57
; %bb.55:                               ;   in Loop: Header=BB57_47 Depth=3
	v_mov_b32_e32 v18, 0
	v_mov_b32_e32 v20, v40
	s_mov_b32 s92, s74
	v_mov_b32_e32 v17, v32
	v_mov_b32_e32 v19, v18
.LBB57_56:                              ;   Parent Loop BB57_20 Depth=1
                                        ;     Parent Loop BB57_33 Depth=2
                                        ;       Parent Loop BB57_47 Depth=3
                                        ; =>      This Inner Loop Header: Depth=4
	v_ashrrev_i32_e32 v21, 31, v20
	v_lshlrev_b64 v[42:43], 3, v[20:21]
	v_mov_b32_e32 v41, s59
	v_add_co_u32_e32 v42, vcc, s58, v42
	v_addc_co_u32_e32 v43, vcc, v41, v43, vcc
	global_load_dwordx2 v[42:43], v[42:43], off
	ds_read_b64 v[44:45], v17
	s_add_i32 s92, s92, -1
	v_add_u32_e32 v17, 32, v17
	v_add_u32_e32 v20, 1, v20
	s_cmp_lg_u32 s92, 0
	s_waitcnt vmcnt(0) lgkmcnt(0)
	v_pk_fma_f32 v[18:19], v[44:45], v[42:43], v[18:19] op_sel_hi:[1,0,1]
	v_pk_fma_f32 v[18:19], v[44:45], v[42:43], v[18:19] op_sel:[1,1,0] op_sel_hi:[0,1,1] neg_lo:[1,0,0]
	s_cbranch_scc1 .LBB57_56
.LBB57_57:                              ;   in Loop: Header=BB57_47 Depth=3
	s_cbranch_execnz .LBB57_44
	s_branch .LBB57_59
.LBB57_58:                              ;   in Loop: Header=BB57_47 Depth=3
                                        ; implicit-def: $vgpr19
.LBB57_59:                              ;   in Loop: Header=BB57_47 Depth=3
	v_mov_b32_e32 v19, 0
	s_and_b64 vcc, exec, s[38:39]
	v_mov_b32_e32 v18, v19
	s_cbranch_vccnz .LBB57_44
; %bb.60:                               ;   in Loop: Header=BB57_47 Depth=3
	v_mov_b32_e32 v18, 0
	v_mov_b32_e32 v17, v33
	;; [unrolled: 1-line block ×3, first 2 shown]
	s_mov_b32 s38, s74
	v_mov_b32_e32 v19, v18
.LBB57_61:                              ;   Parent Loop BB57_20 Depth=1
                                        ;     Parent Loop BB57_33 Depth=2
                                        ;       Parent Loop BB57_47 Depth=3
                                        ; =>      This Inner Loop Header: Depth=4
	v_ashrrev_i32_e32 v21, 31, v20
	v_lshlrev_b64 v[42:43], 3, v[20:21]
	v_mov_b32_e32 v41, s59
	v_add_co_u32_e32 v42, vcc, s58, v42
	v_addc_co_u32_e32 v43, vcc, v41, v43, vcc
	global_load_dwordx2 v[42:43], v[42:43], off
	ds_read_b64 v[44:45], v17
	s_add_i32 s38, s38, -1
	v_add_u32_e32 v17, 8, v17
	v_add_u32_e32 v20, s74, v20
	s_cmp_eq_u32 s38, 0
	s_waitcnt vmcnt(0) lgkmcnt(0)
	v_pk_fma_f32 v[18:19], v[44:45], v[42:43], v[18:19] op_sel_hi:[1,0,1]
	v_pk_fma_f32 v[18:19], v[44:45], v[42:43], v[18:19] op_sel:[1,1,0] op_sel_hi:[0,1,1] neg_lo:[1,0,0]
	s_cbranch_scc0 .LBB57_61
	s_branch .LBB57_44
.LBB57_62:                              ;   in Loop: Header=BB57_33 Depth=2
	s_or_b64 exec, exec, s[84:85]
.LBB57_63:                              ;   in Loop: Header=BB57_33 Depth=2
	s_or_b64 exec, exec, s[82:83]
.LBB57_64:                              ;   in Loop: Header=BB57_33 Depth=2
	s_or_b64 exec, exec, s[80:81]
	s_waitcnt lgkmcnt(0)
	s_barrier
	s_and_saveexec_b64 s[38:39], s[36:37]
	s_cbranch_execz .LBB57_32
; %bb.65:                               ;   in Loop: Header=BB57_33 Depth=2
	v_ashrrev_i32_e32 v13, 31, v12
	v_lshlrev_b64 v[12:13], 2, v[12:13]
	v_mov_b32_e32 v14, s43
	v_add_co_u32_e32 v12, vcc, s42, v12
	v_addc_co_u32_e32 v13, vcc, v14, v13, vcc
	global_store_dword v[12:13], v1, off
	s_branch .LBB57_32
.LBB57_66:                              ;   in Loop: Header=BB57_33 Depth=2
                                        ; implicit-def: $vgpr1
	s_branch .LBB57_41
.LBB57_67:                              ;   in Loop: Header=BB57_20 Depth=1
	s_andn2_b64 vcc, exec, s[78:79]
	s_cbranch_vccnz .LBB57_79
; %bb.68:                               ;   in Loop: Header=BB57_20 Depth=1
	s_load_dwordx2 s[36:37], s[60:61], 0x0
	s_waitcnt lgkmcnt(0)
	s_sub_i32 s65, s37, s47
	v_add_u32_e32 v12, s36, v22
	v_cmp_gt_i32_e32 vcc, s65, v12
	s_and_saveexec_b64 s[62:63], vcc
	s_cbranch_execz .LBB57_78
; %bb.69:                               ;   in Loop: Header=BB57_20 Depth=1
	v_mad_u64_u32 v[14:15], s[36:37], s74, v12, v[6:7]
	v_mad_u64_u32 v[14:15], s[36:37], s74, v14, v[8:9]
	s_mov_b64 s[80:81], 0
	s_branch .LBB57_72
.LBB57_70:                              ;   in Loop: Header=BB57_72 Depth=2
	s_or_b64 exec, exec, s[82:83]
	s_or_b64 s[36:37], s[36:37], exec
.LBB57_71:                              ;   in Loop: Header=BB57_72 Depth=2
	s_or_b64 exec, exec, s[38:39]
	v_add_u32_e32 v12, 16, v12
	v_cmp_le_i32_e32 vcc, s65, v12
	s_xor_b64 s[36:37], s[36:37], -1
	s_or_b64 s[36:37], vcc, s[36:37]
	s_and_b64 s[36:37], exec, s[36:37]
	s_or_b64 s[80:81], s[36:37], s[80:81]
	v_add_u32_e32 v14, s28, v14
	s_andn2_b64 exec, exec, s[80:81]
	s_cbranch_execz .LBB57_77
.LBB57_72:                              ;   Parent Loop BB57_20 Depth=1
                                        ; =>  This Inner Loop Header: Depth=2
	v_ashrrev_i32_e32 v13, 31, v12
	v_lshlrev_b64 v[16:17], 2, v[12:13]
	v_mov_b32_e32 v1, s49
	v_add_co_u32_e32 v16, vcc, s48, v16
	v_addc_co_u32_e32 v17, vcc, v1, v17, vcc
	global_load_dword v1, v[16:17], off
	s_waitcnt vmcnt(0)
	v_subrev_u32_e32 v1, s47, v1
	v_cmp_gt_i32_e64 s[36:37], s64, v1
	v_cmp_ge_i32_e64 s[38:39], v1, v38
	v_cmp_lt_i32_e32 vcc, v1, v38
	s_or_b64 s[38:39], s[36:37], s[38:39]
                                        ; implicit-def: $sgpr36_sgpr37
	s_and_saveexec_b64 s[82:83], s[38:39]
	s_xor_b64 s[38:39], exec, s[82:83]
; %bb.73:                               ;   in Loop: Header=BB57_72 Depth=2
	v_min_i32_e32 v1, v1, v39
	v_cndmask_b32_e32 v39, v1, v39, vcc
	s_and_b64 s[36:37], vcc, exec
                                        ; implicit-def: $vgpr1
; %bb.74:                               ;   in Loop: Header=BB57_72 Depth=2
	s_andn2_saveexec_b64 s[38:39], s[38:39]
	s_cbranch_execz .LBB57_71
; %bb.75:                               ;   in Loop: Header=BB57_72 Depth=2
	v_subrev_u32_e32 v1, s64, v1
	v_lshlrev_b32_e32 v13, 2, v1
	ds_write_b32 v13, v36 offset:18432
	s_and_saveexec_b64 s[82:83], s[4:5]
	s_cbranch_execz .LBB57_70
; %bb.76:                               ;   in Loop: Header=BB57_72 Depth=2
	v_ashrrev_i32_e32 v15, 31, v14
	v_lshlrev_b64 v[16:17], 3, v[14:15]
	v_mov_b32_e32 v13, s51
	v_add_co_u32_e32 v16, vcc, s50, v16
	v_addc_co_u32_e32 v17, vcc, v13, v17, vcc
	global_load_dwordx2 v[16:17], v[16:17], off
	v_lshlrev_b32_e32 v1, 4, v1
	v_or3_b32 v1, v1, v9, v2
	v_lshlrev_b32_e32 v1, 3, v1
	s_waitcnt vmcnt(0)
	v_mul_f32_e64 v13, v17, -s94
	v_mul_f32_e32 v15, s76, v17
	v_fmac_f32_e32 v13, s76, v16
	v_fmac_f32_e32 v15, s94, v16
	ds_add_f32 v1, v13
	ds_add_f32 v1, v15 offset:4
	s_branch .LBB57_70
.LBB57_77:                              ;   in Loop: Header=BB57_20 Depth=1
	s_or_b64 exec, exec, s[80:81]
.LBB57_78:                              ;   in Loop: Header=BB57_20 Depth=1
	s_or_b64 exec, exec, s[62:63]
.LBB57_79:                              ;   in Loop: Header=BB57_20 Depth=1
	s_and_saveexec_b64 s[36:37], s[8:9]
	s_cbranch_execz .LBB57_84
; %bb.80:                               ;   in Loop: Header=BB57_20 Depth=1
	s_mov_b64 s[38:39], exec
	s_brev_b32 s62, -2
.LBB57_81:                              ;   Parent Loop BB57_20 Depth=1
                                        ; =>  This Inner Loop Header: Depth=2
	s_ff1_i32_b64 s63, s[38:39]
	v_readlane_b32 s65, v39, s63
	s_lshl_b64 s[80:81], 1, s63
	s_min_i32 s62, s62, s65
	s_andn2_b64 s[38:39], s[38:39], s[80:81]
	s_cmp_lg_u64 s[38:39], 0
	s_cbranch_scc1 .LBB57_81
; %bb.82:                               ;   in Loop: Header=BB57_20 Depth=1
	v_mbcnt_lo_u32_b32 v1, exec_lo, 0
	v_mbcnt_hi_u32_b32 v1, exec_hi, v1
	v_cmp_eq_u32_e32 vcc, 0, v1
	s_and_saveexec_b64 s[38:39], vcc
	s_xor_b64 s[38:39], exec, s[38:39]
	s_cbranch_execz .LBB57_84
; %bb.83:                               ;   in Loop: Header=BB57_20 Depth=1
	v_mov_b32_e32 v1, s62
	ds_min_i32 v0, v1 offset:18944
.LBB57_84:                              ;   in Loop: Header=BB57_20 Depth=1
	s_or_b64 exec, exec, s[36:37]
	s_waitcnt lgkmcnt(0)
	s_barrier
	ds_read_b32 v1, v23
	s_waitcnt lgkmcnt(0)
	s_barrier
	s_and_saveexec_b64 s[36:37], s[12:13]
	s_cbranch_execz .LBB57_86
; %bb.85:                               ;   in Loop: Header=BB57_20 Depth=1
	ds_read_b32 v12, v24
	s_waitcnt lgkmcnt(0)
	v_add_u32_e32 v1, v12, v1
.LBB57_86:                              ;   in Loop: Header=BB57_20 Depth=1
	s_or_b64 exec, exec, s[36:37]
	s_barrier
	ds_write_b32 v23, v1
	s_waitcnt lgkmcnt(0)
	s_barrier
	s_and_saveexec_b64 s[36:37], s[14:15]
	s_cbranch_execz .LBB57_88
; %bb.87:                               ;   in Loop: Header=BB57_20 Depth=1
	ds_read_b32 v12, v26
	s_waitcnt lgkmcnt(0)
	v_add_u32_e32 v1, v12, v1
.LBB57_88:                              ;   in Loop: Header=BB57_20 Depth=1
	s_or_b64 exec, exec, s[36:37]
	s_barrier
	ds_write_b32 v23, v1
	;; [unrolled: 12-line block ×7, first 2 shown]
	s_waitcnt lgkmcnt(0)
	s_barrier
	ds_read_b32 v14, v0 offset:18940
	v_mov_b32_e32 v12, 0
	s_and_saveexec_b64 s[36:37], s[10:11]
	s_cbranch_execz .LBB57_100
; %bb.99:                               ;   in Loop: Header=BB57_20 Depth=1
	ds_read_b32 v12, v24
.LBB57_100:                             ;   in Loop: Header=BB57_20 Depth=1
	s_or_b64 exec, exec, s[36:37]
	s_waitcnt lgkmcnt(0)
	v_cmp_eq_u32_e32 vcc, v1, v12
	s_and_b64 s[38:39], s[10:11], vcc
	s_barrier
	s_and_saveexec_b64 s[36:37], s[38:39]
	s_cbranch_execz .LBB57_102
; %bb.101:                              ;   in Loop: Header=BB57_20 Depth=1
	ds_write_b32 v23, v0
.LBB57_102:                             ;   in Loop: Header=BB57_20 Depth=1
	s_or_b64 exec, exec, s[36:37]
	v_add_u32_e32 v1, -1, v35
	s_add_i32 s62, s46, s64
	s_mov_b64 s[36:37], 0
	v_mov_b32_e32 v15, v34
	v_mov_b32_e32 v16, v5
	;; [unrolled: 1-line block ×3, first 2 shown]
	s_waitcnt lgkmcnt(0)
	s_barrier
	s_branch .LBB57_104
.LBB57_103:                             ;   in Loop: Header=BB57_104 Depth=2
	s_or_b64 exec, exec, s[38:39]
	v_add_u32_e32 v12, 16, v17
	v_cmp_lt_u32_e32 vcc, s29, v17
	v_add_u32_e32 v16, 0x800, v16
	v_add_u32_e32 v15, 64, v15
	s_or_b64 s[36:37], vcc, s[36:37]
	v_mov_b32_e32 v17, v12
	s_andn2_b64 exec, exec, s[36:37]
	s_cbranch_execz .LBB57_19
.LBB57_104:                             ;   Parent Loop BB57_20 Depth=1
                                        ; =>  This Inner Loop Header: Depth=2
	ds_read_b32 v12, v15
	s_waitcnt lgkmcnt(0)
	v_cmp_ne_u32_e32 vcc, 0, v12
	s_and_saveexec_b64 s[38:39], vcc
	s_cbranch_execz .LBB57_103
; %bb.105:                              ;   in Loop: Header=BB57_104 Depth=2
	v_add_u32_e32 v12, v1, v12
	v_ashrrev_i32_e32 v13, 31, v12
	v_lshlrev_b64 v[18:19], 2, v[12:13]
	v_mov_b32_e32 v13, s55
	v_add_co_u32_e32 v18, vcc, s54, v18
	v_add_u32_e32 v20, s62, v17
	v_addc_co_u32_e32 v19, vcc, v13, v19, vcc
	global_store_dword v[18:19], v20, off
	s_and_b64 exec, exec, s[4:5]
	s_cbranch_execz .LBB57_103
; %bb.106:                              ;   in Loop: Header=BB57_104 Depth=2
	v_mad_u64_u32 v[12:13], s[64:65], v12, s74, v[6:7]
	ds_read_b64 v[18:19], v16
	v_mad_u64_u32 v[12:13], s[64:65], v12, s74, v[8:9]
	v_ashrrev_i32_e32 v13, 31, v12
	v_lshlrev_b64 v[12:13], 3, v[12:13]
	v_mov_b32_e32 v20, s41
	v_add_co_u32_e32 v12, vcc, s40, v12
	v_addc_co_u32_e32 v13, vcc, v20, v13, vcc
	s_waitcnt lgkmcnt(0)
	global_store_dwordx2 v[12:13], v[18:19], off
	s_branch .LBB57_103
.LBB57_107:
	s_endpgm
	.section	.rodata,"a",@progbits
	.p2align	6, 0x0
	.amdhsa_kernel _ZN9rocsparseL38bsrgemm_block_per_row_atomic_multipassILj256ELj128ELj4Eii21rocsparse_complex_numIfEEEv20rocsparse_direction_T3_S4_PKS4_S6_NS_24const_host_device_scalarIT4_EEPKT2_S6_PKS8_SC_S6_SE_S9_SC_S6_SE_SC_PS4_PS8_PSA_21rocsparse_index_base_SI_SI_SI_bbb
		.amdhsa_group_segment_fixed_size 18948
		.amdhsa_private_segment_fixed_size 0
		.amdhsa_kernarg_size 172
		.amdhsa_user_sgpr_count 6
		.amdhsa_user_sgpr_private_segment_buffer 1
		.amdhsa_user_sgpr_dispatch_ptr 0
		.amdhsa_user_sgpr_queue_ptr 0
		.amdhsa_user_sgpr_kernarg_segment_ptr 1
		.amdhsa_user_sgpr_dispatch_id 0
		.amdhsa_user_sgpr_flat_scratch_init 0
		.amdhsa_user_sgpr_kernarg_preload_length 0
		.amdhsa_user_sgpr_kernarg_preload_offset 0
		.amdhsa_user_sgpr_private_segment_size 0
		.amdhsa_uses_dynamic_stack 0
		.amdhsa_system_sgpr_private_segment_wavefront_offset 0
		.amdhsa_system_sgpr_workgroup_id_x 1
		.amdhsa_system_sgpr_workgroup_id_y 0
		.amdhsa_system_sgpr_workgroup_id_z 0
		.amdhsa_system_sgpr_workgroup_info 0
		.amdhsa_system_vgpr_workitem_id 0
		.amdhsa_next_free_vgpr 47
		.amdhsa_next_free_sgpr 96
		.amdhsa_accum_offset 48
		.amdhsa_reserve_vcc 1
		.amdhsa_reserve_flat_scratch 0
		.amdhsa_float_round_mode_32 0
		.amdhsa_float_round_mode_16_64 0
		.amdhsa_float_denorm_mode_32 3
		.amdhsa_float_denorm_mode_16_64 3
		.amdhsa_dx10_clamp 1
		.amdhsa_ieee_mode 1
		.amdhsa_fp16_overflow 0
		.amdhsa_tg_split 0
		.amdhsa_exception_fp_ieee_invalid_op 0
		.amdhsa_exception_fp_denorm_src 0
		.amdhsa_exception_fp_ieee_div_zero 0
		.amdhsa_exception_fp_ieee_overflow 0
		.amdhsa_exception_fp_ieee_underflow 0
		.amdhsa_exception_fp_ieee_inexact 0
		.amdhsa_exception_int_div_zero 0
	.end_amdhsa_kernel
	.section	.text._ZN9rocsparseL38bsrgemm_block_per_row_atomic_multipassILj256ELj128ELj4Eii21rocsparse_complex_numIfEEEv20rocsparse_direction_T3_S4_PKS4_S6_NS_24const_host_device_scalarIT4_EEPKT2_S6_PKS8_SC_S6_SE_S9_SC_S6_SE_SC_PS4_PS8_PSA_21rocsparse_index_base_SI_SI_SI_bbb,"axG",@progbits,_ZN9rocsparseL38bsrgemm_block_per_row_atomic_multipassILj256ELj128ELj4Eii21rocsparse_complex_numIfEEEv20rocsparse_direction_T3_S4_PKS4_S6_NS_24const_host_device_scalarIT4_EEPKT2_S6_PKS8_SC_S6_SE_S9_SC_S6_SE_SC_PS4_PS8_PSA_21rocsparse_index_base_SI_SI_SI_bbb,comdat
.Lfunc_end57:
	.size	_ZN9rocsparseL38bsrgemm_block_per_row_atomic_multipassILj256ELj128ELj4Eii21rocsparse_complex_numIfEEEv20rocsparse_direction_T3_S4_PKS4_S6_NS_24const_host_device_scalarIT4_EEPKT2_S6_PKS8_SC_S6_SE_S9_SC_S6_SE_SC_PS4_PS8_PSA_21rocsparse_index_base_SI_SI_SI_bbb, .Lfunc_end57-_ZN9rocsparseL38bsrgemm_block_per_row_atomic_multipassILj256ELj128ELj4Eii21rocsparse_complex_numIfEEEv20rocsparse_direction_T3_S4_PKS4_S6_NS_24const_host_device_scalarIT4_EEPKT2_S6_PKS8_SC_S6_SE_S9_SC_S6_SE_SC_PS4_PS8_PSA_21rocsparse_index_base_SI_SI_SI_bbb
                                        ; -- End function
	.section	.AMDGPU.csdata,"",@progbits
; Kernel info:
; codeLenInByte = 3240
; NumSgprs: 100
; NumVgprs: 47
; NumAgprs: 0
; TotalNumVgprs: 47
; ScratchSize: 0
; MemoryBound: 0
; FloatMode: 240
; IeeeMode: 1
; LDSByteSize: 18948 bytes/workgroup (compile time only)
; SGPRBlocks: 12
; VGPRBlocks: 5
; NumSGPRsForWavesPerEU: 100
; NumVGPRsForWavesPerEU: 47
; AccumOffset: 48
; Occupancy: 3
; WaveLimiterHint : 1
; COMPUTE_PGM_RSRC2:SCRATCH_EN: 0
; COMPUTE_PGM_RSRC2:USER_SGPR: 6
; COMPUTE_PGM_RSRC2:TRAP_HANDLER: 0
; COMPUTE_PGM_RSRC2:TGID_X_EN: 1
; COMPUTE_PGM_RSRC2:TGID_Y_EN: 0
; COMPUTE_PGM_RSRC2:TGID_Z_EN: 0
; COMPUTE_PGM_RSRC2:TIDIG_COMP_CNT: 0
; COMPUTE_PGM_RSRC3_GFX90A:ACCUM_OFFSET: 11
; COMPUTE_PGM_RSRC3_GFX90A:TG_SPLIT: 0
	.section	.text._ZN9rocsparseL23bsrgemm_fill_wf_per_rowILj256ELj64ELj8ELj137ELj8Eii21rocsparse_complex_numIfEEEv20rocsparse_direction_T5_S4_S4_PKS4_S6_NS_24const_host_device_scalarIT6_EEPKT4_S6_PKS8_SC_S6_SE_S9_SC_S6_SE_SC_PS4_PS8_21rocsparse_index_base_SH_SH_SH_bbb,"axG",@progbits,_ZN9rocsparseL23bsrgemm_fill_wf_per_rowILj256ELj64ELj8ELj137ELj8Eii21rocsparse_complex_numIfEEEv20rocsparse_direction_T5_S4_S4_PKS4_S6_NS_24const_host_device_scalarIT6_EEPKT4_S6_PKS8_SC_S6_SE_S9_SC_S6_SE_SC_PS4_PS8_21rocsparse_index_base_SH_SH_SH_bbb,comdat
	.globl	_ZN9rocsparseL23bsrgemm_fill_wf_per_rowILj256ELj64ELj8ELj137ELj8Eii21rocsparse_complex_numIfEEEv20rocsparse_direction_T5_S4_S4_PKS4_S6_NS_24const_host_device_scalarIT6_EEPKT4_S6_PKS8_SC_S6_SE_S9_SC_S6_SE_SC_PS4_PS8_21rocsparse_index_base_SH_SH_SH_bbb ; -- Begin function _ZN9rocsparseL23bsrgemm_fill_wf_per_rowILj256ELj64ELj8ELj137ELj8Eii21rocsparse_complex_numIfEEEv20rocsparse_direction_T5_S4_S4_PKS4_S6_NS_24const_host_device_scalarIT6_EEPKT4_S6_PKS8_SC_S6_SE_S9_SC_S6_SE_SC_PS4_PS8_21rocsparse_index_base_SH_SH_SH_bbb
	.p2align	8
	.type	_ZN9rocsparseL23bsrgemm_fill_wf_per_rowILj256ELj64ELj8ELj137ELj8Eii21rocsparse_complex_numIfEEEv20rocsparse_direction_T5_S4_S4_PKS4_S6_NS_24const_host_device_scalarIT6_EEPKT4_S6_PKS8_SC_S6_SE_S9_SC_S6_SE_SC_PS4_PS8_21rocsparse_index_base_SH_SH_SH_bbb,@function
_ZN9rocsparseL23bsrgemm_fill_wf_per_rowILj256ELj64ELj8ELj137ELj8Eii21rocsparse_complex_numIfEEEv20rocsparse_direction_T5_S4_S4_PKS4_S6_NS_24const_host_device_scalarIT6_EEPKT4_S6_PKS8_SC_S6_SE_S9_SC_S6_SE_SC_PS4_PS8_21rocsparse_index_base_SH_SH_SH_bbb: ; @_ZN9rocsparseL23bsrgemm_fill_wf_per_rowILj256ELj64ELj8ELj137ELj8Eii21rocsparse_complex_numIfEEEv20rocsparse_direction_T5_S4_S4_PKS4_S6_NS_24const_host_device_scalarIT6_EEPKT4_S6_PKS8_SC_S6_SE_S9_SC_S6_SE_SC_PS4_PS8_21rocsparse_index_base_SH_SH_SH_bbb
; %bb.0:
	s_load_dwordx8 s[8:15], s[4:5], 0x68
	s_load_dwordx8 s[16:23], s[4:5], 0x48
	s_load_dword s7, s[4:5], 0xa0
	s_load_dwordx4 s[44:47], s[4:5], 0x10
	s_load_dwordx8 s[24:31], s[4:5], 0x28
	s_load_dwordx2 s[34:35], s[4:5], 0x88
	s_load_dwordx4 s[36:39], s[4:5], 0x90
	s_waitcnt lgkmcnt(0)
	s_bitcmp1_b32 s7, 0
	s_cselect_b64 s[2:3], -1, 0
	s_bitcmp1_b32 s7, 16
	s_cselect_b64 s[0:1], -1, 0
	s_xor_b64 s[0:1], s[0:1], -1
	v_cndmask_b32_e64 v1, 0, 1, s[0:1]
	s_mov_b32 s49, 0
	s_bitcmp0_b32 s7, 0
	v_cmp_ne_u32_e64 s[0:1], 1, v1
	s_mov_b32 s64, 0
	s_cbranch_scc1 .LBB58_5
; %bb.1:
	s_load_dwordx2 s[48:49], s[4:5], 0x20
	s_and_b64 vcc, exec, s[0:1]
	s_waitcnt lgkmcnt(0)
	s_mov_b32 s64, s48
	s_cbranch_vccnz .LBB58_3
; %bb.2:
	s_load_dword s64, s[48:49], 0x0
.LBB58_3:
	s_and_b64 vcc, exec, s[0:1]
	s_cbranch_vccnz .LBB58_5
; %bb.4:
	s_load_dword s49, s[48:49], 0x4
.LBB58_5:
	s_bitcmp1_b32 s7, 8
	s_cselect_b64 s[50:51], -1, 0
	s_bfe_u32 s7, s7, 0x10008
	s_mov_b32 s48, 0
	s_cmp_eq_u32 s7, 0
	s_mov_b32 s33, 0
	s_cbranch_scc1 .LBB58_11
; %bb.6:
	s_and_b64 vcc, exec, s[0:1]
	s_mov_b32 s33, s20
	s_cbranch_vccnz .LBB58_8
; %bb.7:
	s_load_dword s33, s[20:21], 0x0
.LBB58_8:
	s_and_b64 vcc, exec, s[0:1]
	s_cbranch_vccnz .LBB58_10
; %bb.9:
	s_load_dword s21, s[20:21], 0x4
.LBB58_10:
	s_waitcnt lgkmcnt(0)
	s_mov_b32 s48, s21
.LBB58_11:
	s_load_dwordx4 s[40:43], s[4:5], 0x0
	v_and_b32_e32 v4, 63, v0
	v_lshrrev_b32_e32 v5, 6, v0
	v_mov_b32_e32 v1, 0x4000
	v_lshl_or_b32 v1, v5, 5, v1
	v_cmp_gt_u32_e32 vcc, 8, v4
	s_and_saveexec_b64 s[0:1], vcc
	s_cbranch_execz .LBB58_13
; %bb.12:
	v_lshl_add_u32 v2, v4, 2, v1
	s_waitcnt lgkmcnt(0)
	v_mov_b32_e32 v3, s42
	ds_write_b32 v2, v3
.LBB58_13:
	s_or_b64 exec, exec, s[0:1]
	v_lshlrev_b32_e32 v11, 3, v4
	v_mov_b32_e32 v2, 0
	v_or_b32_e32 v6, 0xffffffc0, v4
	v_lshl_or_b32 v7, v5, 12, v11
	s_mov_b64 s[0:1], 0
	v_mov_b32_e32 v3, v2
	s_movk_i32 s4, 0x1bf
.LBB58_14:                              ; =>This Inner Loop Header: Depth=1
	v_add_u32_e32 v6, 64, v6
	v_cmp_lt_u32_e32 vcc, s4, v6
	ds_write_b64 v7, v[2:3]
	s_or_b64 s[0:1], vcc, s[0:1]
	v_add_u32_e32 v7, 0x200, v7
	s_andn2_b64 exec, exec, s[0:1]
	s_cbranch_execnz .LBB58_14
; %bb.15:
	s_or_b64 exec, exec, s[0:1]
	v_lshl_or_b32 v2, s6, 2, v5
	s_waitcnt lgkmcnt(0)
	v_cmp_gt_i32_e32 vcc, s41, v2
	s_barrier
	s_and_saveexec_b64 s[0:1], vcc
	s_cbranch_execz .LBB58_90
; %bb.16:
	s_cmp_eq_u64 s[46:47], 0
	s_cbranch_scc1 .LBB58_18
; %bb.17:
	s_load_dword s0, s[44:45], 0x0
	v_mov_b32_e32 v5, s47
	s_waitcnt lgkmcnt(0)
	v_add_u32_e32 v2, s0, v2
	v_ashrrev_i32_e32 v3, 31, v2
	v_lshlrev_b64 v[2:3], 2, v[2:3]
	v_add_co_u32_e32 v2, vcc, s46, v2
	v_addc_co_u32_e32 v3, vcc, v5, v3, vcc
	global_load_dword v2, v[2:3], off
.LBB58_18:
	v_lshlrev_b32_e32 v3, 6, v0
	v_and_b32_e32 v9, 0x3000, v3
	s_waitcnt vmcnt(0)
	v_ashrrev_i32_e32 v3, 31, v2
	v_and_b32_e32 v8, 7, v0
	v_lshrrev_b32_e32 v10, 3, v4
	s_andn2_b64 vcc, exec, s[2:3]
	v_lshlrev_b64 v[2:3], 2, v[2:3]
	s_cbranch_vccnz .LBB58_48
; %bb.19:
	v_mov_b32_e32 v5, s25
	v_add_co_u32_e32 v4, vcc, s24, v2
	v_addc_co_u32_e32 v5, vcc, v5, v3, vcc
	global_load_dwordx2 v[4:5], v[4:5], off
	s_waitcnt vmcnt(0)
	v_cmp_lt_i32_e32 vcc, v4, v5
	s_and_saveexec_b64 s[6:7], vcc
	s_cbranch_execz .LBB58_47
; %bb.20:
	s_cmp_lg_u32 s40, 0
	v_subrev_u32_e32 v28, s36, v5
	v_max_i32_e32 v5, v8, v10
	s_cselect_b64 s[2:3], -1, 0
	s_cmp_gt_i32 s43, 0
	v_subrev_u32_e32 v4, s36, v4
	v_cmp_gt_i32_e64 s[0:1], s43, v5
	s_cselect_b64 s[4:5], -1, 0
	s_mul_i32 s41, s43, s43
	v_cndmask_b32_e64 v5, 0, 1, s[2:3]
	s_add_u32 s65, s18, 4
	v_mad_u64_u32 v[6:7], s[20:21], s41, v4, v[10:11]
	v_mad_u64_u32 v[12:13], s[20:21], s43, v4, v[10:11]
	v_cmp_ne_u32_e64 s[2:3], 1, v5
	v_cndmask_b32_e64 v5, 0, 1, s[4:5]
	s_addc_u32 s66, s19, 0
	v_mul_lo_u32 v12, s43, v12
	s_mov_b64 s[20:21], 0
	v_mov_b32_e32 v7, s27
	v_mov_b32_e32 v29, s31
	v_cmp_ne_u32_e64 s[4:5], 1, v5
	s_branch .LBB58_22
.LBB58_21:                              ;   in Loop: Header=BB58_22 Depth=1
	s_or_b64 exec, exec, s[24:25]
	v_add_u32_e32 v4, 1, v4
	v_cmp_ge_i32_e32 vcc, v4, v28
	v_add_u32_e32 v6, s41, v6
	s_or_b64 s[20:21], vcc, s[20:21]
	v_add_u32_e32 v12, s41, v12
	s_andn2_b64 exec, exec, s[20:21]
	s_cbranch_execz .LBB58_47
.LBB58_22:                              ; =>This Loop Header: Depth=1
                                        ;     Child Loop BB58_25 Depth 2
                                        ;       Child Loop BB58_29 Depth 3
                                        ;       Child Loop BB58_34 Depth 3
                                        ;       Child Loop BB58_37 Depth 3
	v_ashrrev_i32_e32 v5, 31, v4
	v_lshlrev_b64 v[14:15], 2, v[4:5]
	v_add_co_u32_e32 v14, vcc, s26, v14
	v_addc_co_u32_e32 v15, vcc, v7, v15, vcc
	global_load_dword v5, v[14:15], off
	s_waitcnt vmcnt(0)
	v_subrev_u32_e32 v14, s36, v5
	v_ashrrev_i32_e32 v15, 31, v14
	v_lshlrev_b64 v[14:15], 2, v[14:15]
	v_add_co_u32_e32 v14, vcc, s30, v14
	v_addc_co_u32_e32 v15, vcc, v29, v15, vcc
	global_load_dwordx2 v[16:17], v[14:15], off
	s_waitcnt vmcnt(0)
	v_cmp_lt_i32_e32 vcc, v16, v17
	s_and_saveexec_b64 s[24:25], vcc
	s_cbranch_execz .LBB58_21
; %bb.23:                               ;   in Loop: Header=BB58_22 Depth=1
	v_ashrrev_i32_e32 v13, 31, v12
	v_lshlrev_b64 v[14:15], 3, v[12:13]
	v_subrev_u32_e32 v16, s37, v16
	v_mov_b32_e32 v5, s29
	v_add_co_u32_e32 v14, vcc, s28, v14
	v_mad_u64_u32 v[18:19], s[44:45], s43, v16, v[8:9]
	v_mad_u64_u32 v[20:21], s[44:45], s41, v16, v[8:9]
	v_addc_co_u32_e32 v15, vcc, v5, v15, vcc
	v_subrev_u32_e32 v5, s37, v17
	v_mul_lo_u32 v18, s43, v18
	s_mov_b64 s[44:45], 0
	s_branch .LBB58_25
.LBB58_24:                              ;   in Loop: Header=BB58_25 Depth=2
	s_or_b64 exec, exec, s[46:47]
	v_add_u32_e32 v16, 1, v16
	v_cmp_ge_i32_e32 vcc, v16, v5
	v_add_u32_e32 v18, s41, v18
	s_or_b64 s[44:45], vcc, s[44:45]
	v_add_u32_e32 v20, s41, v20
	s_andn2_b64 exec, exec, s[44:45]
	s_cbranch_execz .LBB58_21
.LBB58_25:                              ;   Parent Loop BB58_22 Depth=1
                                        ; =>  This Loop Header: Depth=2
                                        ;       Child Loop BB58_29 Depth 3
                                        ;       Child Loop BB58_34 Depth 3
	;; [unrolled: 1-line block ×3, first 2 shown]
	s_and_saveexec_b64 s[46:47], s[0:1]
	s_cbranch_execz .LBB58_24
; %bb.26:                               ;   in Loop: Header=BB58_25 Depth=2
	v_ashrrev_i32_e32 v17, 31, v16
	v_lshlrev_b64 v[22:23], 2, v[16:17]
	v_mov_b32_e32 v13, s17
	v_add_co_u32_e32 v22, vcc, s16, v22
	v_addc_co_u32_e32 v23, vcc, v13, v23, vcc
	global_load_dword v13, v[22:23], off
	s_and_b64 vcc, exec, s[2:3]
	s_cbranch_vccnz .LBB58_31
; %bb.27:                               ;   in Loop: Header=BB58_25 Depth=2
	v_mov_b32_e32 v23, 0
	s_and_b64 vcc, exec, s[4:5]
	v_mov_b32_e32 v22, v23
	s_cbranch_vccnz .LBB58_30
; %bb.28:                               ;   in Loop: Header=BB58_25 Depth=2
	v_ashrrev_i32_e32 v19, 31, v18
	v_lshlrev_b64 v[22:23], 3, v[18:19]
	v_mov_b32_e32 v17, s66
	v_add_co_u32_e32 v24, vcc, s65, v22
	v_mov_b32_e32 v22, 0
	v_addc_co_u32_e32 v25, vcc, v17, v23, vcc
	v_mov_b32_e32 v26, v6
	s_mov_b32 s27, s43
	v_mov_b32_e32 v23, v22
.LBB58_29:                              ;   Parent Loop BB58_22 Depth=1
                                        ;     Parent Loop BB58_25 Depth=2
                                        ; =>    This Inner Loop Header: Depth=3
	v_ashrrev_i32_e32 v27, 31, v26
	v_lshlrev_b64 v[32:33], 3, v[26:27]
	v_mov_b32_e32 v17, s29
	v_add_co_u32_e32 v32, vcc, s28, v32
	v_addc_co_u32_e32 v33, vcc, v17, v33, vcc
	global_load_dwordx2 v[30:31], v[24:25], off offset:-4
	s_add_i32 s27, s27, -1
	global_load_dwordx2 v[32:33], v[32:33], off
	v_add_co_u32_e32 v24, vcc, 8, v24
	v_addc_co_u32_e32 v25, vcc, 0, v25, vcc
	v_add_u32_e32 v26, s43, v26
	s_cmp_lg_u32 s27, 0
	s_waitcnt vmcnt(0)
	v_pk_fma_f32 v[22:23], v[32:33], v[30:31], v[22:23] op_sel_hi:[1,0,1]
	v_pk_fma_f32 v[22:23], v[32:33], v[30:31], v[22:23] op_sel:[1,1,0] op_sel_hi:[0,1,1] neg_lo:[1,0,0]
	s_cbranch_scc1 .LBB58_29
.LBB58_30:                              ;   in Loop: Header=BB58_25 Depth=2
	s_cbranch_execz .LBB58_32
	s_branch .LBB58_35
.LBB58_31:                              ;   in Loop: Header=BB58_25 Depth=2
                                        ; implicit-def: $vgpr23
.LBB58_32:                              ;   in Loop: Header=BB58_25 Depth=2
	v_mov_b32_e32 v23, 0
	s_and_b64 vcc, exec, s[4:5]
	v_mov_b32_e32 v22, v23
	s_cbranch_vccnz .LBB58_35
; %bb.33:                               ;   in Loop: Header=BB58_25 Depth=2
	v_mov_b32_e32 v22, 0
	v_pk_mov_b32 v[24:25], v[14:15], v[14:15] op_sel:[0,1]
	v_mov_b32_e32 v26, v20
	s_mov_b32 s27, s43
	v_mov_b32_e32 v23, v22
.LBB58_34:                              ;   Parent Loop BB58_22 Depth=1
                                        ;     Parent Loop BB58_25 Depth=2
                                        ; =>    This Inner Loop Header: Depth=3
	v_ashrrev_i32_e32 v27, 31, v26
	v_lshlrev_b64 v[32:33], 3, v[26:27]
	v_mov_b32_e32 v17, s19
	v_add_co_u32_e32 v32, vcc, s18, v32
	v_addc_co_u32_e32 v33, vcc, v17, v33, vcc
	global_load_dwordx2 v[30:31], v[24:25], off
	s_add_i32 s27, s27, -1
	global_load_dwordx2 v[32:33], v[32:33], off
	v_add_co_u32_e32 v24, vcc, 8, v24
	v_addc_co_u32_e32 v25, vcc, 0, v25, vcc
	v_add_u32_e32 v26, s43, v26
	s_cmp_eq_u32 s27, 0
	s_waitcnt vmcnt(0)
	v_pk_fma_f32 v[22:23], v[30:31], v[32:33], v[22:23] op_sel_hi:[1,0,1]
	v_pk_fma_f32 v[22:23], v[30:31], v[32:33], v[22:23] op_sel:[1,1,0] op_sel_hi:[0,1,1] neg_lo:[1,0,0]
	s_cbranch_scc0 .LBB58_34
.LBB58_35:                              ;   in Loop: Header=BB58_25 Depth=2
	s_waitcnt vmcnt(0)
	v_subrev_u32_e32 v13, s37, v13
	v_mul_f32_e64 v17, v23, -s49
	v_mul_f32_e32 v19, s64, v23
	v_fmac_f32_e32 v17, s64, v22
	v_fmac_f32_e32 v19, s49, v22
	v_and_b32_e32 v21, 7, v13
	s_mov_b64 s[52:53], 0
	s_branch .LBB58_37
.LBB58_36:                              ;   in Loop: Header=BB58_37 Depth=3
	s_or_b64 exec, exec, s[54:55]
	s_xor_b64 s[54:55], s[56:57], -1
	s_and_b64 s[54:55], exec, s[54:55]
	s_or_b64 s[52:53], s[54:55], s[52:53]
	s_andn2_b64 exec, exec, s[52:53]
	s_cbranch_execz .LBB58_24
.LBB58_37:                              ;   Parent Loop BB58_22 Depth=1
                                        ;     Parent Loop BB58_25 Depth=2
                                        ; =>    This Inner Loop Header: Depth=3
	v_lshl_add_u32 v22, v21, 2, v1
	ds_read_b32 v23, v22
                                        ; implicit-def: $sgpr56_sgpr57
	s_waitcnt lgkmcnt(0)
	v_cmp_ne_u32_e32 vcc, v23, v13
	s_and_saveexec_b64 s[54:55], vcc
	s_xor_b64 s[54:55], exec, s[54:55]
	s_cbranch_execz .LBB58_45
; %bb.38:                               ;   in Loop: Header=BB58_37 Depth=3
	v_cmp_ne_u32_e32 vcc, s42, v23
                                        ; implicit-def: $sgpr56_sgpr57
	s_and_saveexec_b64 s[58:59], vcc
	s_xor_b64 s[58:59], exec, s[58:59]
; %bb.39:                               ;   in Loop: Header=BB58_37 Depth=3
	v_add_u32_e32 v21, 1, v21
	v_and_b32_e32 v21, 7, v21
	s_mov_b64 s[56:57], -1
                                        ; implicit-def: $vgpr22
; %bb.40:                               ;   in Loop: Header=BB58_37 Depth=3
	s_andn2_saveexec_b64 s[58:59], s[58:59]
	s_cbranch_execz .LBB58_44
; %bb.41:                               ;   in Loop: Header=BB58_37 Depth=3
	v_mov_b32_e32 v23, s42
	ds_cmpst_rtn_b32 v22, v22, v23, v13
	s_mov_b64 s[62:63], -1
	s_waitcnt lgkmcnt(0)
	v_cmp_eq_u32_e32 vcc, s42, v22
	s_and_saveexec_b64 s[60:61], vcc
	s_cbranch_execz .LBB58_43
; %bb.42:                               ;   in Loop: Header=BB58_37 Depth=3
	v_lshl_or_b32 v22, v21, 9, v11
	v_add_u32_e32 v22, v9, v22
	ds_add_f32 v22, v17
	ds_add_f32 v22, v19 offset:4
	s_xor_b64 s[62:63], exec, -1
.LBB58_43:                              ;   in Loop: Header=BB58_37 Depth=3
	s_or_b64 exec, exec, s[60:61]
	s_andn2_b64 s[56:57], s[56:57], exec
	s_and_b64 s[60:61], s[62:63], exec
	s_or_b64 s[56:57], s[56:57], s[60:61]
.LBB58_44:                              ;   in Loop: Header=BB58_37 Depth=3
	s_or_b64 exec, exec, s[58:59]
	s_and_b64 s[56:57], s[56:57], exec
.LBB58_45:                              ;   in Loop: Header=BB58_37 Depth=3
	s_andn2_saveexec_b64 s[54:55], s[54:55]
	s_cbranch_execz .LBB58_36
; %bb.46:                               ;   in Loop: Header=BB58_37 Depth=3
	v_lshl_or_b32 v22, v21, 9, v11
	v_add_u32_e32 v22, v9, v22
	ds_add_f32 v22, v17
	ds_add_f32 v22, v19 offset:4
	s_andn2_b64 s[56:57], s[56:57], exec
	s_branch .LBB58_36
.LBB58_47:
	s_or_b64 exec, exec, s[6:7]
.LBB58_48:
	s_andn2_b64 vcc, exec, s[50:51]
	s_waitcnt lgkmcnt(0)
	s_barrier
	s_cbranch_vccnz .LBB58_66
; %bb.49:
	v_mov_b32_e32 v5, s23
	v_add_co_u32_e32 v4, vcc, s22, v2
	v_addc_co_u32_e32 v5, vcc, v5, v3, vcc
	global_load_dwordx2 v[4:5], v[4:5], off
	s_waitcnt vmcnt(0)
	v_cmp_lt_i32_e32 vcc, v4, v5
	s_and_saveexec_b64 s[2:3], vcc
	s_cbranch_execz .LBB58_65
; %bb.50:
	s_cmp_eq_u32 s40, 0
	v_subrev_u32_e32 v7, s39, v5
	v_max_i32_e32 v5, v8, v10
	s_cselect_b64 s[0:1], -1, 0
	v_subrev_u32_e32 v4, s39, v4
	v_cmp_gt_i32_e32 vcc, s43, v5
	v_cndmask_b32_e64 v6, v8, v10, s[0:1]
	v_cndmask_b32_e64 v12, v10, v8, s[0:1]
	s_mov_b64 s[4:5], 0
	s_branch .LBB58_52
.LBB58_51:                              ;   in Loop: Header=BB58_52 Depth=1
	s_or_b64 exec, exec, s[6:7]
	v_add_u32_e32 v4, 1, v4
	v_cmp_ge_i32_e64 s[0:1], v4, v7
	s_or_b64 s[4:5], s[0:1], s[4:5]
	s_andn2_b64 exec, exec, s[4:5]
	s_cbranch_execz .LBB58_65
.LBB58_52:                              ; =>This Loop Header: Depth=1
                                        ;     Child Loop BB58_55 Depth 2
	s_and_saveexec_b64 s[6:7], vcc
	s_cbranch_execz .LBB58_51
; %bb.53:                               ;   in Loop: Header=BB58_52 Depth=1
	v_ashrrev_i32_e32 v5, 31, v4
	v_lshlrev_b64 v[14:15], 2, v[4:5]
	v_mov_b32_e32 v5, s9
	v_add_co_u32_e64 v14, s[0:1], s8, v14
	v_addc_co_u32_e64 v15, s[0:1], v5, v15, s[0:1]
	global_load_dword v5, v[14:15], off
	v_mad_u64_u32 v[14:15], s[0:1], v4, s43, v[6:7]
	v_mad_u64_u32 v[14:15], s[0:1], v14, s43, v[12:13]
	v_ashrrev_i32_e32 v15, 31, v14
	v_lshlrev_b64 v[14:15], 3, v[14:15]
	v_mov_b32_e32 v13, s11
	v_add_co_u32_e64 v14, s[0:1], s10, v14
	v_addc_co_u32_e64 v15, s[0:1], v13, v15, s[0:1]
	global_load_dwordx2 v[16:17], v[14:15], off
	s_mov_b64 s[16:17], 0
	s_waitcnt vmcnt(1)
	v_subrev_u32_e32 v5, s39, v5
	v_and_b32_e32 v14, 7, v5
	s_waitcnt vmcnt(0)
	v_mul_f32_e64 v13, v17, -s48
	v_mul_f32_e32 v15, s33, v17
	v_fmac_f32_e32 v13, s33, v16
	v_fmac_f32_e32 v15, s48, v16
	s_branch .LBB58_55
.LBB58_54:                              ;   in Loop: Header=BB58_55 Depth=2
	s_or_b64 exec, exec, s[0:1]
	s_xor_b64 s[0:1], s[20:21], -1
	s_and_b64 s[0:1], exec, s[0:1]
	s_or_b64 s[16:17], s[0:1], s[16:17]
	s_andn2_b64 exec, exec, s[16:17]
	s_cbranch_execz .LBB58_51
.LBB58_55:                              ;   Parent Loop BB58_52 Depth=1
                                        ; =>  This Inner Loop Header: Depth=2
	v_lshl_add_u32 v16, v14, 2, v1
	ds_read_b32 v17, v16
                                        ; implicit-def: $sgpr20_sgpr21
	s_waitcnt lgkmcnt(0)
	v_cmp_ne_u32_e64 s[0:1], v17, v5
	s_and_saveexec_b64 s[18:19], s[0:1]
	s_xor_b64 s[18:19], exec, s[18:19]
	s_cbranch_execz .LBB58_63
; %bb.56:                               ;   in Loop: Header=BB58_55 Depth=2
	v_cmp_ne_u32_e64 s[0:1], s42, v17
                                        ; implicit-def: $sgpr20_sgpr21
	s_and_saveexec_b64 s[22:23], s[0:1]
	s_xor_b64 s[0:1], exec, s[22:23]
; %bb.57:                               ;   in Loop: Header=BB58_55 Depth=2
	v_add_u32_e32 v14, 1, v14
	v_and_b32_e32 v14, 7, v14
	s_mov_b64 s[20:21], -1
                                        ; implicit-def: $vgpr16
; %bb.58:                               ;   in Loop: Header=BB58_55 Depth=2
	s_andn2_saveexec_b64 s[22:23], s[0:1]
	s_cbranch_execz .LBB58_62
; %bb.59:                               ;   in Loop: Header=BB58_55 Depth=2
	v_mov_b32_e32 v17, s42
	ds_cmpst_rtn_b32 v16, v16, v17, v5
	s_mov_b64 s[26:27], -1
	s_waitcnt lgkmcnt(0)
	v_cmp_eq_u32_e64 s[0:1], s42, v16
	s_and_saveexec_b64 s[24:25], s[0:1]
	s_cbranch_execz .LBB58_61
; %bb.60:                               ;   in Loop: Header=BB58_55 Depth=2
	v_lshl_or_b32 v16, v14, 9, v11
	v_add_u32_e32 v16, v9, v16
	ds_add_f32 v16, v13
	ds_add_f32 v16, v15 offset:4
	s_xor_b64 s[26:27], exec, -1
.LBB58_61:                              ;   in Loop: Header=BB58_55 Depth=2
	s_or_b64 exec, exec, s[24:25]
	s_andn2_b64 s[0:1], s[20:21], exec
	s_and_b64 s[20:21], s[26:27], exec
	s_or_b64 s[20:21], s[0:1], s[20:21]
.LBB58_62:                              ;   in Loop: Header=BB58_55 Depth=2
	s_or_b64 exec, exec, s[22:23]
	s_and_b64 s[20:21], s[20:21], exec
.LBB58_63:                              ;   in Loop: Header=BB58_55 Depth=2
	s_andn2_saveexec_b64 s[0:1], s[18:19]
	s_cbranch_execz .LBB58_54
; %bb.64:                               ;   in Loop: Header=BB58_55 Depth=2
	v_lshl_or_b32 v16, v14, 9, v11
	v_add_u32_e32 v16, v9, v16
	ds_add_f32 v16, v13
	ds_add_f32 v16, v15 offset:4
	s_andn2_b64 s[20:21], s[20:21], exec
	s_branch .LBB58_54
.LBB58_65:
	s_or_b64 exec, exec, s[2:3]
.LBB58_66:
	v_mov_b32_e32 v4, s13
	v_add_co_u32_e32 v2, vcc, s12, v2
	v_addc_co_u32_e32 v3, vcc, v4, v3, vcc
	s_waitcnt lgkmcnt(0)
	s_barrier
	global_load_dword v12, v[2:3], off
	v_and_b32_e32 v14, 56, v0
	ds_read_b128 v[4:7], v1
	ds_read_b128 v[0:3], v1 offset:16
	s_cmp_eq_u32 s40, 0
	v_max_i32_e32 v11, v8, v10
	v_lshlrev_b32_e32 v13, 3, v8
	s_cselect_b64 s[0:1], -1, 0
	v_cmp_gt_i32_e32 vcc, s43, v11
	v_cndmask_b32_e64 v11, v13, v14, s[0:1]
	v_cndmask_b32_e64 v14, v10, v8, s[0:1]
	s_waitcnt lgkmcnt(1)
	v_cmp_gt_i32_e64 s[0:1], s42, v4
	s_waitcnt vmcnt(0)
	v_subrev_u32_e32 v15, s38, v12
	s_and_saveexec_b64 s[2:3], s[0:1]
	s_cbranch_execz .LBB58_69
; %bb.67:
	v_cmp_gt_i32_e64 s[0:1], v4, v5
	v_addc_co_u32_e64 v12, s[0:1], 0, v15, s[0:1]
	v_cmp_gt_i32_e64 s[0:1], v4, v6
	v_cndmask_b32_e64 v13, 0, 1, s[0:1]
	v_cmp_gt_i32_e64 s[0:1], v4, v7
	v_addc_co_u32_e64 v12, s[0:1], v12, v13, s[0:1]
	s_waitcnt lgkmcnt(0)
	v_cmp_gt_i32_e64 s[0:1], v4, v0
	v_cndmask_b32_e64 v13, 0, 1, s[0:1]
	v_cmp_gt_i32_e64 s[0:1], v4, v1
	v_addc_co_u32_e64 v12, s[0:1], v12, v13, s[0:1]
	v_cmp_gt_i32_e64 s[0:1], v4, v2
	v_cndmask_b32_e64 v13, 0, 1, s[0:1]
	v_cmp_gt_i32_e64 s[0:1], v4, v3
	v_addc_co_u32_e64 v12, s[0:1], v12, v13, s[0:1]
	v_ashrrev_i32_e32 v13, 31, v12
	v_lshlrev_b64 v[16:17], 2, v[12:13]
	v_mov_b32_e32 v13, s15
	v_add_co_u32_e64 v16, s[0:1], s14, v16
	v_add_u32_e32 v18, s38, v4
	v_addc_co_u32_e64 v17, s[0:1], v13, v17, s[0:1]
	global_store_dword v[16:17], v18, off
	s_and_b64 exec, exec, vcc
	s_cbranch_execz .LBB58_69
; %bb.68:
	v_or_b32_e32 v16, v11, v14
	v_mad_u64_u32 v[12:13], s[0:1], v12, s43, v[10:11]
	v_lshl_add_u32 v16, v16, 3, v9
	v_mad_u64_u32 v[12:13], s[0:1], v12, s43, v[8:9]
	ds_read_b64 v[16:17], v16
	v_ashrrev_i32_e32 v13, 31, v12
	v_lshlrev_b64 v[12:13], 3, v[12:13]
	v_mov_b32_e32 v18, s35
	v_add_co_u32_e64 v12, s[0:1], s34, v12
	v_addc_co_u32_e64 v13, s[0:1], v18, v13, s[0:1]
	s_waitcnt lgkmcnt(0)
	global_store_dwordx2 v[12:13], v[16:17], off
.LBB58_69:
	s_or_b64 exec, exec, s[2:3]
	v_cmp_gt_i32_e64 s[0:1], s42, v5
	s_and_saveexec_b64 s[2:3], s[0:1]
	s_cbranch_execz .LBB58_72
; %bb.70:
	v_cmp_gt_i32_e64 s[0:1], v5, v4
	v_addc_co_u32_e64 v12, s[0:1], 0, v15, s[0:1]
	v_cmp_gt_i32_e64 s[0:1], v5, v6
	v_cndmask_b32_e64 v13, 0, 1, s[0:1]
	v_cmp_gt_i32_e64 s[0:1], v5, v7
	v_addc_co_u32_e64 v12, s[0:1], v12, v13, s[0:1]
	s_waitcnt lgkmcnt(0)
	v_cmp_gt_i32_e64 s[0:1], v5, v0
	v_cndmask_b32_e64 v13, 0, 1, s[0:1]
	v_cmp_gt_i32_e64 s[0:1], v5, v1
	v_addc_co_u32_e64 v12, s[0:1], v12, v13, s[0:1]
	v_cmp_gt_i32_e64 s[0:1], v5, v2
	v_cndmask_b32_e64 v13, 0, 1, s[0:1]
	v_cmp_gt_i32_e64 s[0:1], v5, v3
	v_addc_co_u32_e64 v12, s[0:1], v12, v13, s[0:1]
	v_ashrrev_i32_e32 v13, 31, v12
	v_lshlrev_b64 v[16:17], 2, v[12:13]
	v_mov_b32_e32 v13, s15
	v_add_co_u32_e64 v16, s[0:1], s14, v16
	v_add_u32_e32 v18, s38, v5
	v_addc_co_u32_e64 v17, s[0:1], v13, v17, s[0:1]
	global_store_dword v[16:17], v18, off
	s_and_b64 exec, exec, vcc
	s_cbranch_execz .LBB58_72
; %bb.71:
	v_or_b32_e32 v16, v11, v14
	v_mad_u64_u32 v[12:13], s[0:1], v12, s43, v[10:11]
	v_lshl_add_u32 v16, v16, 3, v9
	v_mad_u64_u32 v[12:13], s[0:1], v12, s43, v[8:9]
	ds_read_b64 v[16:17], v16 offset:512
	v_ashrrev_i32_e32 v13, 31, v12
	v_lshlrev_b64 v[12:13], 3, v[12:13]
	v_mov_b32_e32 v18, s35
	v_add_co_u32_e64 v12, s[0:1], s34, v12
	v_addc_co_u32_e64 v13, s[0:1], v18, v13, s[0:1]
	s_waitcnt lgkmcnt(0)
	global_store_dwordx2 v[12:13], v[16:17], off
.LBB58_72:
	s_or_b64 exec, exec, s[2:3]
	v_cmp_gt_i32_e64 s[0:1], s42, v6
	s_and_saveexec_b64 s[2:3], s[0:1]
	s_cbranch_execz .LBB58_75
; %bb.73:
	v_cmp_gt_i32_e64 s[0:1], v6, v4
	v_addc_co_u32_e64 v12, s[0:1], 0, v15, s[0:1]
	v_cmp_gt_i32_e64 s[0:1], v6, v5
	v_cndmask_b32_e64 v13, 0, 1, s[0:1]
	v_cmp_gt_i32_e64 s[0:1], v6, v7
	v_addc_co_u32_e64 v12, s[0:1], v12, v13, s[0:1]
	s_waitcnt lgkmcnt(0)
	v_cmp_gt_i32_e64 s[0:1], v6, v0
	v_cndmask_b32_e64 v13, 0, 1, s[0:1]
	v_cmp_gt_i32_e64 s[0:1], v6, v1
	v_addc_co_u32_e64 v12, s[0:1], v12, v13, s[0:1]
	v_cmp_gt_i32_e64 s[0:1], v6, v2
	v_cndmask_b32_e64 v13, 0, 1, s[0:1]
	v_cmp_gt_i32_e64 s[0:1], v6, v3
	v_addc_co_u32_e64 v12, s[0:1], v12, v13, s[0:1]
	v_ashrrev_i32_e32 v13, 31, v12
	v_lshlrev_b64 v[16:17], 2, v[12:13]
	v_mov_b32_e32 v13, s15
	v_add_co_u32_e64 v16, s[0:1], s14, v16
	v_add_u32_e32 v18, s38, v6
	v_addc_co_u32_e64 v17, s[0:1], v13, v17, s[0:1]
	global_store_dword v[16:17], v18, off
	s_and_b64 exec, exec, vcc
	s_cbranch_execz .LBB58_75
; %bb.74:
	v_or_b32_e32 v16, v11, v14
	v_mad_u64_u32 v[12:13], s[0:1], v12, s43, v[10:11]
	v_lshl_add_u32 v16, v16, 3, v9
	v_mad_u64_u32 v[12:13], s[0:1], v12, s43, v[8:9]
	ds_read_b64 v[16:17], v16 offset:1024
	v_ashrrev_i32_e32 v13, 31, v12
	v_lshlrev_b64 v[12:13], 3, v[12:13]
	v_mov_b32_e32 v18, s35
	v_add_co_u32_e64 v12, s[0:1], s34, v12
	v_addc_co_u32_e64 v13, s[0:1], v18, v13, s[0:1]
	s_waitcnt lgkmcnt(0)
	global_store_dwordx2 v[12:13], v[16:17], off
.LBB58_75:
	;; [unrolled: 43-line block ×3, first 2 shown]
	s_or_b64 exec, exec, s[2:3]
	s_waitcnt lgkmcnt(0)
	v_cmp_gt_i32_e64 s[0:1], s42, v0
	s_and_saveexec_b64 s[2:3], s[0:1]
	s_cbranch_execz .LBB58_81
; %bb.79:
	v_cmp_gt_i32_e64 s[0:1], v0, v4
	v_addc_co_u32_e64 v12, s[0:1], 0, v15, s[0:1]
	v_cmp_gt_i32_e64 s[0:1], v0, v5
	v_cndmask_b32_e64 v13, 0, 1, s[0:1]
	v_cmp_gt_i32_e64 s[0:1], v0, v6
	v_addc_co_u32_e64 v12, s[0:1], v12, v13, s[0:1]
	v_cmp_gt_i32_e64 s[0:1], v0, v7
	v_cndmask_b32_e64 v13, 0, 1, s[0:1]
	v_cmp_gt_i32_e64 s[0:1], v0, v1
	v_addc_co_u32_e64 v12, s[0:1], v12, v13, s[0:1]
	v_cmp_gt_i32_e64 s[0:1], v0, v2
	v_cndmask_b32_e64 v13, 0, 1, s[0:1]
	v_cmp_gt_i32_e64 s[0:1], v0, v3
	v_addc_co_u32_e64 v12, s[0:1], v12, v13, s[0:1]
	v_ashrrev_i32_e32 v13, 31, v12
	v_lshlrev_b64 v[16:17], 2, v[12:13]
	v_mov_b32_e32 v13, s15
	v_add_co_u32_e64 v16, s[0:1], s14, v16
	v_add_u32_e32 v18, s38, v0
	v_addc_co_u32_e64 v17, s[0:1], v13, v17, s[0:1]
	global_store_dword v[16:17], v18, off
	s_and_b64 exec, exec, vcc
	s_cbranch_execz .LBB58_81
; %bb.80:
	v_or_b32_e32 v16, v11, v14
	v_mad_u64_u32 v[12:13], s[0:1], v12, s43, v[10:11]
	v_lshl_add_u32 v16, v16, 3, v9
	v_mad_u64_u32 v[12:13], s[0:1], v12, s43, v[8:9]
	ds_read_b64 v[16:17], v16 offset:2048
	v_ashrrev_i32_e32 v13, 31, v12
	v_lshlrev_b64 v[12:13], 3, v[12:13]
	v_mov_b32_e32 v18, s35
	v_add_co_u32_e64 v12, s[0:1], s34, v12
	v_addc_co_u32_e64 v13, s[0:1], v18, v13, s[0:1]
	s_waitcnt lgkmcnt(0)
	global_store_dwordx2 v[12:13], v[16:17], off
.LBB58_81:
	s_or_b64 exec, exec, s[2:3]
	v_cmp_gt_i32_e64 s[0:1], s42, v1
	s_and_saveexec_b64 s[2:3], s[0:1]
	s_cbranch_execz .LBB58_84
; %bb.82:
	v_cmp_gt_i32_e64 s[0:1], v1, v4
	v_addc_co_u32_e64 v12, s[0:1], 0, v15, s[0:1]
	v_cmp_gt_i32_e64 s[0:1], v1, v5
	v_cndmask_b32_e64 v13, 0, 1, s[0:1]
	v_cmp_gt_i32_e64 s[0:1], v1, v6
	v_addc_co_u32_e64 v12, s[0:1], v12, v13, s[0:1]
	v_cmp_gt_i32_e64 s[0:1], v1, v7
	v_cndmask_b32_e64 v13, 0, 1, s[0:1]
	v_cmp_gt_i32_e64 s[0:1], v1, v0
	v_addc_co_u32_e64 v12, s[0:1], v12, v13, s[0:1]
	v_cmp_gt_i32_e64 s[0:1], v1, v2
	v_cndmask_b32_e64 v13, 0, 1, s[0:1]
	v_cmp_gt_i32_e64 s[0:1], v1, v3
	v_addc_co_u32_e64 v12, s[0:1], v12, v13, s[0:1]
	v_ashrrev_i32_e32 v13, 31, v12
	v_lshlrev_b64 v[16:17], 2, v[12:13]
	v_mov_b32_e32 v13, s15
	v_add_co_u32_e64 v16, s[0:1], s14, v16
	v_add_u32_e32 v18, s38, v1
	v_addc_co_u32_e64 v17, s[0:1], v13, v17, s[0:1]
	global_store_dword v[16:17], v18, off
	s_and_b64 exec, exec, vcc
	s_cbranch_execz .LBB58_84
; %bb.83:
	v_or_b32_e32 v16, v11, v14
	v_mad_u64_u32 v[12:13], s[0:1], v12, s43, v[10:11]
	v_lshl_add_u32 v16, v16, 3, v9
	v_mad_u64_u32 v[12:13], s[0:1], v12, s43, v[8:9]
	ds_read_b64 v[16:17], v16 offset:2560
	v_ashrrev_i32_e32 v13, 31, v12
	v_lshlrev_b64 v[12:13], 3, v[12:13]
	v_mov_b32_e32 v18, s35
	v_add_co_u32_e64 v12, s[0:1], s34, v12
	v_addc_co_u32_e64 v13, s[0:1], v18, v13, s[0:1]
	s_waitcnt lgkmcnt(0)
	global_store_dwordx2 v[12:13], v[16:17], off
.LBB58_84:
	s_or_b64 exec, exec, s[2:3]
	;; [unrolled: 42-line block ×3, first 2 shown]
	v_cmp_gt_i32_e64 s[0:1], s42, v3
	s_and_b64 exec, exec, s[0:1]
	s_cbranch_execz .LBB58_90
; %bb.88:
	v_cmp_gt_i32_e64 s[0:1], v3, v4
	v_addc_co_u32_e64 v4, s[0:1], 0, v15, s[0:1]
	v_cmp_gt_i32_e64 s[0:1], v3, v5
	v_cndmask_b32_e64 v5, 0, 1, s[0:1]
	v_cmp_gt_i32_e64 s[0:1], v3, v6
	v_addc_co_u32_e64 v4, s[0:1], v4, v5, s[0:1]
	v_cmp_gt_i32_e64 s[0:1], v3, v7
	v_cndmask_b32_e64 v5, 0, 1, s[0:1]
	v_cmp_gt_i32_e64 s[0:1], v3, v0
	v_addc_co_u32_e64 v0, s[0:1], v4, v5, s[0:1]
	v_cmp_gt_i32_e64 s[0:1], v3, v1
	v_cndmask_b32_e64 v1, 0, 1, s[0:1]
	v_cmp_gt_i32_e64 s[0:1], v3, v2
	v_addc_co_u32_e64 v0, s[0:1], v0, v1, s[0:1]
	v_ashrrev_i32_e32 v1, 31, v0
	v_add_u32_e32 v4, s38, v3
	v_lshlrev_b64 v[2:3], 2, v[0:1]
	v_mov_b32_e32 v1, s15
	v_add_co_u32_e64 v2, s[0:1], s14, v2
	v_addc_co_u32_e64 v3, s[0:1], v1, v3, s[0:1]
	global_store_dword v[2:3], v4, off
	s_and_b64 exec, exec, vcc
	s_cbranch_execz .LBB58_90
; %bb.89:
	v_or_b32_e32 v2, v11, v14
	v_mad_u64_u32 v[0:1], s[0:1], v0, s43, v[10:11]
	v_lshl_add_u32 v2, v2, 3, v9
	v_mad_u64_u32 v[0:1], s[0:1], v0, s43, v[8:9]
	ds_read_b64 v[2:3], v2 offset:3584
	v_ashrrev_i32_e32 v1, 31, v0
	v_lshlrev_b64 v[0:1], 3, v[0:1]
	v_mov_b32_e32 v4, s35
	v_add_co_u32_e32 v0, vcc, s34, v0
	v_addc_co_u32_e32 v1, vcc, v4, v1, vcc
	s_waitcnt lgkmcnt(0)
	global_store_dwordx2 v[0:1], v[2:3], off
.LBB58_90:
	s_endpgm
	.section	.rodata,"a",@progbits
	.p2align	6, 0x0
	.amdhsa_kernel _ZN9rocsparseL23bsrgemm_fill_wf_per_rowILj256ELj64ELj8ELj137ELj8Eii21rocsparse_complex_numIfEEEv20rocsparse_direction_T5_S4_S4_PKS4_S6_NS_24const_host_device_scalarIT6_EEPKT4_S6_PKS8_SC_S6_SE_S9_SC_S6_SE_SC_PS4_PS8_21rocsparse_index_base_SH_SH_SH_bbb
		.amdhsa_group_segment_fixed_size 16512
		.amdhsa_private_segment_fixed_size 0
		.amdhsa_kernarg_size 164
		.amdhsa_user_sgpr_count 6
		.amdhsa_user_sgpr_private_segment_buffer 1
		.amdhsa_user_sgpr_dispatch_ptr 0
		.amdhsa_user_sgpr_queue_ptr 0
		.amdhsa_user_sgpr_kernarg_segment_ptr 1
		.amdhsa_user_sgpr_dispatch_id 0
		.amdhsa_user_sgpr_flat_scratch_init 0
		.amdhsa_user_sgpr_kernarg_preload_length 0
		.amdhsa_user_sgpr_kernarg_preload_offset 0
		.amdhsa_user_sgpr_private_segment_size 0
		.amdhsa_uses_dynamic_stack 0
		.amdhsa_system_sgpr_private_segment_wavefront_offset 0
		.amdhsa_system_sgpr_workgroup_id_x 1
		.amdhsa_system_sgpr_workgroup_id_y 0
		.amdhsa_system_sgpr_workgroup_id_z 0
		.amdhsa_system_sgpr_workgroup_info 0
		.amdhsa_system_vgpr_workitem_id 0
		.amdhsa_next_free_vgpr 34
		.amdhsa_next_free_sgpr 67
		.amdhsa_accum_offset 36
		.amdhsa_reserve_vcc 1
		.amdhsa_reserve_flat_scratch 0
		.amdhsa_float_round_mode_32 0
		.amdhsa_float_round_mode_16_64 0
		.amdhsa_float_denorm_mode_32 3
		.amdhsa_float_denorm_mode_16_64 3
		.amdhsa_dx10_clamp 1
		.amdhsa_ieee_mode 1
		.amdhsa_fp16_overflow 0
		.amdhsa_tg_split 0
		.amdhsa_exception_fp_ieee_invalid_op 0
		.amdhsa_exception_fp_denorm_src 0
		.amdhsa_exception_fp_ieee_div_zero 0
		.amdhsa_exception_fp_ieee_overflow 0
		.amdhsa_exception_fp_ieee_underflow 0
		.amdhsa_exception_fp_ieee_inexact 0
		.amdhsa_exception_int_div_zero 0
	.end_amdhsa_kernel
	.section	.text._ZN9rocsparseL23bsrgemm_fill_wf_per_rowILj256ELj64ELj8ELj137ELj8Eii21rocsparse_complex_numIfEEEv20rocsparse_direction_T5_S4_S4_PKS4_S6_NS_24const_host_device_scalarIT6_EEPKT4_S6_PKS8_SC_S6_SE_S9_SC_S6_SE_SC_PS4_PS8_21rocsparse_index_base_SH_SH_SH_bbb,"axG",@progbits,_ZN9rocsparseL23bsrgemm_fill_wf_per_rowILj256ELj64ELj8ELj137ELj8Eii21rocsparse_complex_numIfEEEv20rocsparse_direction_T5_S4_S4_PKS4_S6_NS_24const_host_device_scalarIT6_EEPKT4_S6_PKS8_SC_S6_SE_S9_SC_S6_SE_SC_PS4_PS8_21rocsparse_index_base_SH_SH_SH_bbb,comdat
.Lfunc_end58:
	.size	_ZN9rocsparseL23bsrgemm_fill_wf_per_rowILj256ELj64ELj8ELj137ELj8Eii21rocsparse_complex_numIfEEEv20rocsparse_direction_T5_S4_S4_PKS4_S6_NS_24const_host_device_scalarIT6_EEPKT4_S6_PKS8_SC_S6_SE_S9_SC_S6_SE_SC_PS4_PS8_21rocsparse_index_base_SH_SH_SH_bbb, .Lfunc_end58-_ZN9rocsparseL23bsrgemm_fill_wf_per_rowILj256ELj64ELj8ELj137ELj8Eii21rocsparse_complex_numIfEEEv20rocsparse_direction_T5_S4_S4_PKS4_S6_NS_24const_host_device_scalarIT6_EEPKT4_S6_PKS8_SC_S6_SE_S9_SC_S6_SE_SC_PS4_PS8_21rocsparse_index_base_SH_SH_SH_bbb
                                        ; -- End function
	.section	.AMDGPU.csdata,"",@progbits
; Kernel info:
; codeLenInByte = 4200
; NumSgprs: 71
; NumVgprs: 34
; NumAgprs: 0
; TotalNumVgprs: 34
; ScratchSize: 0
; MemoryBound: 0
; FloatMode: 240
; IeeeMode: 1
; LDSByteSize: 16512 bytes/workgroup (compile time only)
; SGPRBlocks: 8
; VGPRBlocks: 4
; NumSGPRsForWavesPerEU: 71
; NumVGPRsForWavesPerEU: 34
; AccumOffset: 36
; Occupancy: 3
; WaveLimiterHint : 1
; COMPUTE_PGM_RSRC2:SCRATCH_EN: 0
; COMPUTE_PGM_RSRC2:USER_SGPR: 6
; COMPUTE_PGM_RSRC2:TRAP_HANDLER: 0
; COMPUTE_PGM_RSRC2:TGID_X_EN: 1
; COMPUTE_PGM_RSRC2:TGID_Y_EN: 0
; COMPUTE_PGM_RSRC2:TGID_Z_EN: 0
; COMPUTE_PGM_RSRC2:TIDIG_COMP_CNT: 0
; COMPUTE_PGM_RSRC3_GFX90A:ACCUM_OFFSET: 8
; COMPUTE_PGM_RSRC3_GFX90A:TG_SPLIT: 0
	.section	.text._ZN9rocsparseL38bsrgemm_block_per_row_atomic_multipassILj256ELj16ELj8Eii21rocsparse_complex_numIfEEEv20rocsparse_direction_T3_S4_PKS4_S6_NS_24const_host_device_scalarIT4_EEPKT2_S6_PKS8_SC_S6_SE_S9_SC_S6_SE_SC_PS4_PS8_PSA_21rocsparse_index_base_SI_SI_SI_bbb,"axG",@progbits,_ZN9rocsparseL38bsrgemm_block_per_row_atomic_multipassILj256ELj16ELj8Eii21rocsparse_complex_numIfEEEv20rocsparse_direction_T3_S4_PKS4_S6_NS_24const_host_device_scalarIT4_EEPKT2_S6_PKS8_SC_S6_SE_S9_SC_S6_SE_SC_PS4_PS8_PSA_21rocsparse_index_base_SI_SI_SI_bbb,comdat
	.globl	_ZN9rocsparseL38bsrgemm_block_per_row_atomic_multipassILj256ELj16ELj8Eii21rocsparse_complex_numIfEEEv20rocsparse_direction_T3_S4_PKS4_S6_NS_24const_host_device_scalarIT4_EEPKT2_S6_PKS8_SC_S6_SE_S9_SC_S6_SE_SC_PS4_PS8_PSA_21rocsparse_index_base_SI_SI_SI_bbb ; -- Begin function _ZN9rocsparseL38bsrgemm_block_per_row_atomic_multipassILj256ELj16ELj8Eii21rocsparse_complex_numIfEEEv20rocsparse_direction_T3_S4_PKS4_S6_NS_24const_host_device_scalarIT4_EEPKT2_S6_PKS8_SC_S6_SE_S9_SC_S6_SE_SC_PS4_PS8_PSA_21rocsparse_index_base_SI_SI_SI_bbb
	.p2align	8
	.type	_ZN9rocsparseL38bsrgemm_block_per_row_atomic_multipassILj256ELj16ELj8Eii21rocsparse_complex_numIfEEEv20rocsparse_direction_T3_S4_PKS4_S6_NS_24const_host_device_scalarIT4_EEPKT2_S6_PKS8_SC_S6_SE_S9_SC_S6_SE_SC_PS4_PS8_PSA_21rocsparse_index_base_SI_SI_SI_bbb,@function
_ZN9rocsparseL38bsrgemm_block_per_row_atomic_multipassILj256ELj16ELj8Eii21rocsparse_complex_numIfEEEv20rocsparse_direction_T3_S4_PKS4_S6_NS_24const_host_device_scalarIT4_EEPKT2_S6_PKS8_SC_S6_SE_S9_SC_S6_SE_SC_PS4_PS8_PSA_21rocsparse_index_base_SI_SI_SI_bbb: ; @_ZN9rocsparseL38bsrgemm_block_per_row_atomic_multipassILj256ELj16ELj8Eii21rocsparse_complex_numIfEEEv20rocsparse_direction_T3_S4_PKS4_S6_NS_24const_host_device_scalarIT4_EEPKT2_S6_PKS8_SC_S6_SE_S9_SC_S6_SE_SC_PS4_PS8_PSA_21rocsparse_index_base_SI_SI_SI_bbb
; %bb.0:
	s_load_dwordx8 s[36:43], s[4:5], 0x88
	s_load_dword s2, s[4:5], 0xa8
	s_load_dwordx8 s[44:51], s[4:5], 0x68
	s_load_dwordx8 s[52:59], s[4:5], 0x48
	s_load_dwordx4 s[8:11], s[4:5], 0x10
	s_load_dwordx8 s[24:31], s[4:5], 0x28
	s_waitcnt lgkmcnt(0)
	s_bitcmp1_b32 s2, 0
	s_cselect_b64 s[20:21], -1, 0
	s_bitcmp1_b32 s2, 16
	s_cselect_b64 s[0:1], -1, 0
	s_xor_b64 s[0:1], s[0:1], -1
	v_cndmask_b32_e64 v1, 0, 1, s[0:1]
	s_mov_b32 s35, 0
	s_bitcmp0_b32 s2, 0
	v_cmp_ne_u32_e64 s[0:1], 1, v1
	s_mov_b32 s33, 0
	s_cbranch_scc1 .LBB59_5
; %bb.1:
	s_load_dwordx2 s[34:35], s[4:5], 0x20
	s_and_b64 vcc, exec, s[0:1]
	s_waitcnt lgkmcnt(0)
	s_mov_b32 s33, s34
	s_cbranch_vccnz .LBB59_3
; %bb.2:
	s_load_dword s33, s[34:35], 0x0
.LBB59_3:
	s_and_b64 vcc, exec, s[0:1]
	s_cbranch_vccnz .LBB59_5
; %bb.4:
	s_load_dword s35, s[34:35], 0x4
.LBB59_5:
	s_bitcmp1_b32 s2, 8
	s_cselect_b64 s[64:65], -1, 0
	s_bfe_u32 s2, s2, 0x10008
	s_mov_b32 s82, 0
	s_cmp_eq_u32 s2, 0
	s_mov_b32 s34, 0
	s_cbranch_scc1 .LBB59_11
; %bb.6:
	s_and_b64 vcc, exec, s[0:1]
	s_mov_b32 s34, s56
	s_cbranch_vccnz .LBB59_8
; %bb.7:
	s_load_dword s34, s[56:57], 0x0
.LBB59_8:
	s_and_b64 vcc, exec, s[0:1]
	s_cbranch_vccnz .LBB59_10
; %bb.9:
	s_load_dword s57, s[56:57], 0x4
.LBB59_10:
	s_waitcnt lgkmcnt(0)
	s_mov_b32 s82, s57
.LBB59_11:
	s_cmp_eq_u64 s[10:11], 0
	s_cbranch_scc1 .LBB59_13
; %bb.12:
	s_load_dword s0, s[8:9], 0x0
	s_mov_b32 s1, 0
	s_waitcnt lgkmcnt(0)
	s_add_i32 s0, s0, s6
	s_lshl_b64 s[0:1], s[0:1], 2
	s_add_u32 s0, s10, s0
	s_addc_u32 s1, s11, s1
	s_load_dword s6, s[0:1], 0x0
.LBB59_13:
	v_cndmask_b32_e64 v1, 0, 1, s[20:21]
	s_mov_b32 s83, 0
	v_cmp_ne_u32_e64 s[0:1], 1, v1
	s_andn2_b64 vcc, exec, s[20:21]
	s_mov_b32 s84, 0
	s_cbranch_vccz .LBB59_16
; %bb.14:
	s_and_b64 vcc, exec, s[0:1]
	s_cbranch_vccz .LBB59_17
.LBB59_15:
	s_load_dwordx4 s[60:63], s[4:5], 0x0
	s_waitcnt lgkmcnt(0)
	s_cmp_lt_i32 s61, 1
	s_cbranch_scc0 .LBB59_18
	s_branch .LBB59_97
.LBB59_16:
	s_waitcnt lgkmcnt(0)
	s_ashr_i32 s7, s6, 31
	s_lshl_b64 s[2:3], s[6:7], 2
	s_add_u32 s2, s24, s2
	s_addc_u32 s3, s25, s3
	s_load_dword s2, s[2:3], 0x0
	s_waitcnt lgkmcnt(0)
	s_sub_i32 s84, s2, s40
	s_and_b64 vcc, exec, s[0:1]
	s_cbranch_vccnz .LBB59_15
.LBB59_17:
	s_waitcnt lgkmcnt(0)
	s_ashr_i32 s7, s6, 31
	s_lshl_b64 s[0:1], s[6:7], 2
	s_add_u32 s0, s24, s0
	s_addc_u32 s1, s25, s1
	s_load_dword s0, s[0:1], 0x4
	s_waitcnt lgkmcnt(0)
	s_sub_i32 s83, s0, s40
	s_load_dwordx4 s[60:63], s[4:5], 0x0
	s_waitcnt lgkmcnt(0)
	s_cmp_lt_i32 s61, 1
	s_cbranch_scc1 .LBB59_97
.LBB59_18:
	s_ashr_i32 s7, s6, 31
	s_lshl_b64 s[8:9], s[6:7], 2
	s_add_u32 s0, s48, s8
	s_addc_u32 s1, s49, s9
	s_load_dword s0, s[0:1], 0x0
	v_and_b32_e32 v2, 7, v0
	v_bfe_u32 v4, v0, 3, 3
	v_and_b32_e32 v1, 63, v0
	v_lshrrev_b32_e32 v3, 6, v0
	s_waitcnt lgkmcnt(0)
	s_sub_i32 s24, s0, s42
	s_cmp_lt_i32 s84, s83
	s_cselect_b64 s[22:23], -1, 0
	s_cmp_eq_u32 s60, 0
	s_cselect_b64 vcc, -1, 0
	s_cmp_lg_u32 s60, 0
	s_cselect_b64 s[48:49], -1, 0
	s_cmp_gt_i32 s62, 0
	v_max_i32_e32 v5, v2, v4
	s_cselect_b64 s[56:57], -1, 0
	s_add_u32 s58, s58, s8
	v_mov_b32_e32 v10, 0x2800
	v_cmp_gt_u32_e64 s[0:1], 16, v0
	v_cmp_eq_u32_e64 s[2:3], 0, v0
	v_cmp_gt_i32_e64 s[4:5], s62, v5
	v_cmp_le_i32_e64 s[6:7], s62, v5
	v_lshlrev_b32_e32 v5, 3, v0
	s_movk_i32 s25, 0x2000
	v_and_b32_e32 v9, 56, v0
	s_addc_u32 s59, s59, s9
	v_cmp_eq_u32_e64 s[8:9], 63, v1
	v_and_b32_e32 v1, 15, v0
	v_lshl_or_b32 v23, v0, 2, v10
	v_or_b32_e32 v27, 0xffffff00, v0
	v_lshlrev_b32_e32 v0, 9, v3
	v_add_co_u32_e64 v8, s[10:11], -1, v1
	s_and_b64 s[20:21], s[20:21], s[22:23]
	v_or3_b32 v28, v0, v9, s25
	v_and_b32_e32 v0, 0x7c0, v5
	v_lshlrev_b32_e32 v6, 2, v1
	v_lshl_add_u32 v22, v8, 2, v10
	s_add_u32 s60, s30, 4
	s_mul_i32 s85, s62, s62
	v_or_b32_e32 v29, 0x2000, v0
	v_lshl_or_b32 v30, v3, 2, v10
	v_mov_b32_e32 v0, 0
	v_cndmask_b32_e64 v10, 0, 1, s[20:21]
	s_mov_b32 s88, 0
	v_or_b32_e32 v7, 0x2000, v5
	v_subrev_u32_e32 v20, s43, v3
	v_or_b32_e32 v21, 0x2800, v6
	v_cmp_ne_u32_e64 s[12:13], 0, v1
	v_cmp_lt_u32_e64 s[14:15], 1, v1
	v_add_u32_e32 v24, 0x27f8, v6
	v_cmp_lt_u32_e64 s[16:17], 3, v1
	v_add_u32_e32 v25, 0x27f0, v6
	;; [unrolled: 2-line block ×3, first 2 shown]
	v_cndmask_b32_e32 v6, v2, v4, vcc
	v_cndmask_b32_e32 v8, v4, v2, vcc
	s_addc_u32 s63, s31, 0
	s_lshl_b32 s86, s85, 2
	v_mov_b32_e32 v33, 16
	v_mov_b32_e32 v31, s24
	;; [unrolled: 1-line block ×3, first 2 shown]
	s_movk_i32 s87, 0x2ff
	v_cmp_ne_u32_e64 s[20:21], 1, v10
	v_mov_b32_e32 v32, 1
	s_branch .LBB59_20
.LBB59_19:                              ;   in Loop: Header=BB59_20 Depth=1
	s_or_b64 exec, exec, s[22:23]
	s_barrier
	ds_read_b32 v10, v0 offset:10304
	v_add_u32_e32 v31, v12, v31
	s_waitcnt lgkmcnt(0)
	s_barrier
	v_cmp_le_i32_e32 vcc, s61, v10
	v_readfirstlane_b32 s88, v10
	v_add_u32_e32 v33, 16, v10
	s_cbranch_vccnz .LBB59_97
.LBB59_20:                              ; =>This Loop Header: Depth=1
                                        ;     Child Loop BB59_23 Depth 2
                                        ;     Child Loop BB59_29 Depth 2
                                        ;       Child Loop BB59_43 Depth 3
                                        ;         Child Loop BB59_52 Depth 4
                                        ;         Child Loop BB59_57 Depth 4
                                        ;     Child Loop BB59_68 Depth 2
                                        ;     Child Loop BB59_77 Depth 2
	;; [unrolled: 1-line block ×3, first 2 shown]
	s_and_saveexec_b64 s[22:23], s[0:1]
	s_cbranch_execz .LBB59_22
; %bb.21:                               ;   in Loop: Header=BB59_20 Depth=1
	ds_write_b32 v23, v0
.LBB59_22:                              ;   in Loop: Header=BB59_20 Depth=1
	s_or_b64 exec, exec, s[22:23]
	s_mov_b64 s[22:23], 0
	v_mov_b32_e32 v10, v5
	v_mov_b32_e32 v11, v27
.LBB59_23:                              ;   Parent Loop BB59_20 Depth=1
                                        ; =>  This Inner Loop Header: Depth=2
	v_add_u32_e32 v11, 0x100, v11
	v_cmp_lt_u32_e32 vcc, s87, v11
	ds_write_b64 v10, v[0:1]
	s_or_b64 s[22:23], vcc, s[22:23]
	v_add_u32_e32 v10, 0x800, v10
	s_andn2_b64 exec, exec, s[22:23]
	s_cbranch_execnz .LBB59_23
; %bb.24:                               ;   in Loop: Header=BB59_20 Depth=1
	s_or_b64 exec, exec, s[22:23]
	s_and_saveexec_b64 s[22:23], s[2:3]
	s_cbranch_execz .LBB59_26
; %bb.25:                               ;   in Loop: Header=BB59_20 Depth=1
	v_mov_b32_e32 v10, s61
	ds_write_b32 v0, v10 offset:10304
.LBB59_26:                              ;   in Loop: Header=BB59_20 Depth=1
	s_or_b64 exec, exec, s[22:23]
	s_and_b64 vcc, exec, s[20:21]
	v_mov_b32_e32 v34, s61
	s_waitcnt lgkmcnt(0)
	s_barrier
	s_cbranch_vccnz .LBB59_63
; %bb.27:                               ;   in Loop: Header=BB59_20 Depth=1
	s_cmp_lg_u32 s88, 0
	s_cselect_b64 s[66:67], -1, 0
	v_mov_b32_e32 v34, s61
	s_mov_b32 s89, s84
	s_branch .LBB59_29
.LBB59_28:                              ;   in Loop: Header=BB59_29 Depth=2
	s_or_b64 exec, exec, s[24:25]
	s_add_i32 s89, s89, 4
	s_cmp_lt_i32 s89, s83
	s_cbranch_scc0 .LBB59_63
.LBB59_29:                              ;   Parent Loop BB59_20 Depth=1
                                        ; =>  This Loop Header: Depth=2
                                        ;       Child Loop BB59_43 Depth 3
                                        ;         Child Loop BB59_52 Depth 4
                                        ;         Child Loop BB59_57 Depth 4
	v_add_u32_e32 v10, s89, v3
	v_cmp_gt_i32_e64 s[22:23], s83, v10
	s_barrier
	s_and_saveexec_b64 s[24:25], s[22:23]
	s_cbranch_execz .LBB59_34
; %bb.30:                               ;   in Loop: Header=BB59_29 Depth=2
	s_and_saveexec_b64 s[68:69], s[6:7]
	s_xor_b64 s[68:69], exec, s[68:69]
	s_cbranch_execz .LBB59_32
; %bb.31:                               ;   in Loop: Header=BB59_29 Depth=2
	ds_write_b64 v7, v[0:1]
.LBB59_32:                              ;   in Loop: Header=BB59_29 Depth=2
	s_andn2_saveexec_b64 s[68:69], s[68:69]
	s_cbranch_execz .LBB59_34
; %bb.33:                               ;   in Loop: Header=BB59_29 Depth=2
	v_mad_u64_u32 v[12:13], s[68:69], v10, s62, v[4:5]
	v_mad_u64_u32 v[12:13], s[68:69], v12, s62, v[2:3]
	v_ashrrev_i32_e32 v13, 31, v12
	v_lshlrev_b64 v[12:13], 3, v[12:13]
	v_mov_b32_e32 v11, s29
	v_add_co_u32_e32 v12, vcc, s28, v12
	v_addc_co_u32_e32 v13, vcc, v11, v13, vcc
	global_load_dwordx2 v[12:13], v[12:13], off
	s_waitcnt vmcnt(0)
	ds_write_b64 v7, v[12:13]
.LBB59_34:                              ;   in Loop: Header=BB59_29 Depth=2
	s_or_b64 exec, exec, s[24:25]
	v_mov_b32_e32 v35, 0
	s_waitcnt lgkmcnt(0)
	s_barrier
	s_and_saveexec_b64 s[68:69], s[22:23]
	s_cbranch_execz .LBB59_60
; %bb.35:                               ;   in Loop: Header=BB59_29 Depth=2
	v_ashrrev_i32_e32 v11, 31, v10
	v_lshlrev_b64 v[14:15], 2, v[10:11]
	v_mov_b32_e32 v11, s27
	v_add_co_u32_e32 v12, vcc, s26, v14
	v_addc_co_u32_e32 v13, vcc, v11, v15, vcc
	global_load_dword v11, v[12:13], off
	s_and_b64 vcc, exec, s[66:67]
	s_waitcnt vmcnt(0)
	v_subrev_u32_e32 v12, s40, v11
	v_ashrrev_i32_e32 v13, 31, v12
	s_cbranch_vccz .LBB59_62
; %bb.36:                               ;   in Loop: Header=BB59_29 Depth=2
	v_mov_b32_e32 v11, s39
	v_add_co_u32_e32 v14, vcc, s38, v14
	v_addc_co_u32_e32 v15, vcc, v11, v15, vcc
	global_load_dword v35, v[14:15], off
	s_cbranch_execnz .LBB59_38
.LBB59_37:                              ;   in Loop: Header=BB59_29 Depth=2
	v_lshlrev_b64 v[14:15], 2, v[12:13]
	v_mov_b32_e32 v11, s31
	v_add_co_u32_e32 v14, vcc, s30, v14
	v_addc_co_u32_e32 v15, vcc, v11, v15, vcc
	global_load_dword v11, v[14:15], off
	s_waitcnt vmcnt(0)
	v_subrev_u32_e32 v35, s41, v11
.LBB59_38:                              ;   in Loop: Header=BB59_29 Depth=2
	v_lshlrev_b64 v[12:13], 2, v[12:13]
	v_mov_b32_e32 v11, s63
	v_add_co_u32_e32 v12, vcc, s60, v12
	v_addc_co_u32_e32 v13, vcc, v11, v13, vcc
	global_load_dword v11, v[12:13], off
	s_waitcnt vmcnt(0)
	v_subrev_u32_e32 v11, s41, v11
	v_cmp_lt_i32_e32 vcc, v35, v11
	s_and_saveexec_b64 s[70:71], vcc
	s_cbranch_execz .LBB59_59
; %bb.39:                               ;   in Loop: Header=BB59_29 Depth=2
	v_mad_u64_u32 v[12:13], s[24:25], s62, v35, v[2:3]
	v_mul_lo_u32 v36, s62, v12
	v_mad_u64_u32 v[12:13], s[24:25], s85, v35, v[2:3]
	s_mov_b64 s[72:73], 0
	v_mov_b32_e32 v14, v35
	s_branch .LBB59_43
.LBB59_40:                              ;   in Loop: Header=BB59_43 Depth=3
	v_lshlrev_b32_e32 v13, 6, v13
	v_or3_b32 v13, v13, v9, v2
	v_mul_f32_e64 v15, v17, -s35
	v_lshlrev_b32_e32 v13, 3, v13
	v_fmac_f32_e32 v15, s33, v16
	v_mul_f32_e32 v17, s33, v17
	v_fmac_f32_e32 v17, s35, v16
	ds_add_f32 v13, v15
	ds_add_f32 v13, v17 offset:4
.LBB59_41:                              ;   in Loop: Header=BB59_43 Depth=3
	s_or_b64 exec, exec, s[78:79]
	s_or_b64 s[74:75], s[74:75], exec
.LBB59_42:                              ;   in Loop: Header=BB59_43 Depth=3
	s_or_b64 exec, exec, s[76:77]
	v_add_u32_e32 v14, 1, v14
	v_cmp_ge_i32_e32 vcc, v14, v11
	s_xor_b64 s[24:25], s[74:75], -1
	s_or_b64 s[24:25], s[24:25], vcc
	s_and_b64 s[24:25], exec, s[24:25]
	v_add_u32_e32 v36, s85, v36
	s_or_b64 s[72:73], s[24:25], s[72:73]
	v_add_u32_e32 v12, s85, v12
	s_andn2_b64 exec, exec, s[72:73]
	s_cbranch_execz .LBB59_58
.LBB59_43:                              ;   Parent Loop BB59_20 Depth=1
                                        ;     Parent Loop BB59_29 Depth=2
                                        ; =>    This Loop Header: Depth=3
                                        ;         Child Loop BB59_52 Depth 4
                                        ;         Child Loop BB59_57 Depth 4
	v_ashrrev_i32_e32 v15, 31, v14
	v_lshlrev_b64 v[16:17], 2, v[14:15]
	v_mov_b32_e32 v13, s53
	v_add_co_u32_e32 v16, vcc, s52, v16
	v_addc_co_u32_e32 v17, vcc, v13, v17, vcc
	global_load_dword v13, v[16:17], off
                                        ; implicit-def: $sgpr74_sgpr75
	s_waitcnt vmcnt(0)
	v_subrev_u32_e32 v13, s41, v13
	v_cmp_gt_i32_e64 s[24:25], s88, v13
	v_cmp_ge_i32_e32 vcc, v13, v33
	s_or_b64 s[24:25], s[24:25], vcc
	s_and_saveexec_b64 s[76:77], s[24:25]
	s_xor_b64 s[24:25], exec, s[76:77]
	s_cbranch_execz .LBB59_47
; %bb.44:                               ;   in Loop: Header=BB59_43 Depth=3
	s_mov_b64 s[74:75], -1
	s_and_saveexec_b64 s[76:77], vcc
; %bb.45:                               ;   in Loop: Header=BB59_43 Depth=3
	v_min_i32_e32 v34, v13, v34
	s_xor_b64 s[74:75], exec, -1
	v_mov_b32_e32 v35, v14
; %bb.46:                               ;   in Loop: Header=BB59_43 Depth=3
	s_or_b64 exec, exec, s[76:77]
	s_and_b64 s[74:75], s[74:75], exec
                                        ; implicit-def: $vgpr13
.LBB59_47:                              ;   in Loop: Header=BB59_43 Depth=3
	s_andn2_saveexec_b64 s[76:77], s[24:25]
	s_cbranch_execz .LBB59_42
; %bb.48:                               ;   in Loop: Header=BB59_43 Depth=3
	v_subrev_u32_e32 v13, s88, v13
	v_lshlrev_b32_e32 v15, 2, v13
	ds_write_b32 v15, v32 offset:10240
	s_and_saveexec_b64 s[78:79], s[4:5]
	s_cbranch_execz .LBB59_41
; %bb.49:                               ;   in Loop: Header=BB59_43 Depth=3
	v_cndmask_b32_e64 v15, 0, 1, s[56:57]
	s_andn2_b64 vcc, exec, s[48:49]
	v_cmp_ne_u32_e64 s[24:25], 1, v15
	s_cbranch_vccnz .LBB59_54
; %bb.50:                               ;   in Loop: Header=BB59_43 Depth=3
	v_mov_b32_e32 v17, 0
	s_and_b64 vcc, exec, s[24:25]
	v_mov_b32_e32 v16, v17
	s_cbranch_vccnz .LBB59_53
; %bb.51:                               ;   in Loop: Header=BB59_43 Depth=3
	v_mov_b32_e32 v16, 0
	v_mov_b32_e32 v18, v36
	s_mov_b32 s80, s62
	v_mov_b32_e32 v15, v28
	v_mov_b32_e32 v17, v16
.LBB59_52:                              ;   Parent Loop BB59_20 Depth=1
                                        ;     Parent Loop BB59_29 Depth=2
                                        ;       Parent Loop BB59_43 Depth=3
                                        ; =>      This Inner Loop Header: Depth=4
	v_ashrrev_i32_e32 v19, 31, v18
	v_lshlrev_b64 v[38:39], 3, v[18:19]
	v_mov_b32_e32 v37, s55
	v_add_co_u32_e32 v38, vcc, s54, v38
	v_addc_co_u32_e32 v39, vcc, v37, v39, vcc
	global_load_dwordx2 v[38:39], v[38:39], off
	ds_read_b64 v[40:41], v15
	s_add_i32 s80, s80, -1
	v_add_u32_e32 v15, 64, v15
	v_add_u32_e32 v18, 1, v18
	s_cmp_lg_u32 s80, 0
	s_waitcnt vmcnt(0) lgkmcnt(0)
	v_pk_fma_f32 v[16:17], v[40:41], v[38:39], v[16:17] op_sel_hi:[1,0,1]
	v_pk_fma_f32 v[16:17], v[40:41], v[38:39], v[16:17] op_sel:[1,1,0] op_sel_hi:[0,1,1] neg_lo:[1,0,0]
	s_cbranch_scc1 .LBB59_52
.LBB59_53:                              ;   in Loop: Header=BB59_43 Depth=3
	s_cbranch_execnz .LBB59_40
	s_branch .LBB59_55
.LBB59_54:                              ;   in Loop: Header=BB59_43 Depth=3
                                        ; implicit-def: $vgpr17
.LBB59_55:                              ;   in Loop: Header=BB59_43 Depth=3
	v_mov_b32_e32 v17, 0
	s_and_b64 vcc, exec, s[24:25]
	v_mov_b32_e32 v16, v17
	s_cbranch_vccnz .LBB59_40
; %bb.56:                               ;   in Loop: Header=BB59_43 Depth=3
	v_mov_b32_e32 v16, 0
	v_mov_b32_e32 v15, v29
	;; [unrolled: 1-line block ×3, first 2 shown]
	s_mov_b32 s24, s62
	v_mov_b32_e32 v17, v16
.LBB59_57:                              ;   Parent Loop BB59_20 Depth=1
                                        ;     Parent Loop BB59_29 Depth=2
                                        ;       Parent Loop BB59_43 Depth=3
                                        ; =>      This Inner Loop Header: Depth=4
	v_ashrrev_i32_e32 v19, 31, v18
	v_lshlrev_b64 v[38:39], 3, v[18:19]
	v_mov_b32_e32 v37, s55
	v_add_co_u32_e32 v38, vcc, s54, v38
	v_addc_co_u32_e32 v39, vcc, v37, v39, vcc
	global_load_dwordx2 v[38:39], v[38:39], off
	ds_read_b64 v[40:41], v15
	s_add_i32 s24, s24, -1
	v_add_u32_e32 v15, 8, v15
	v_add_u32_e32 v18, s62, v18
	s_cmp_eq_u32 s24, 0
	s_waitcnt vmcnt(0) lgkmcnt(0)
	v_pk_fma_f32 v[16:17], v[40:41], v[38:39], v[16:17] op_sel_hi:[1,0,1]
	v_pk_fma_f32 v[16:17], v[40:41], v[38:39], v[16:17] op_sel:[1,1,0] op_sel_hi:[0,1,1] neg_lo:[1,0,0]
	s_cbranch_scc0 .LBB59_57
	s_branch .LBB59_40
.LBB59_58:                              ;   in Loop: Header=BB59_29 Depth=2
	s_or_b64 exec, exec, s[72:73]
.LBB59_59:                              ;   in Loop: Header=BB59_29 Depth=2
	s_or_b64 exec, exec, s[70:71]
.LBB59_60:                              ;   in Loop: Header=BB59_29 Depth=2
	s_or_b64 exec, exec, s[68:69]
	s_waitcnt lgkmcnt(0)
	s_barrier
	s_and_saveexec_b64 s[24:25], s[22:23]
	s_cbranch_execz .LBB59_28
; %bb.61:                               ;   in Loop: Header=BB59_29 Depth=2
	v_ashrrev_i32_e32 v11, 31, v10
	v_lshlrev_b64 v[10:11], 2, v[10:11]
	v_mov_b32_e32 v12, s39
	v_add_co_u32_e32 v10, vcc, s38, v10
	v_addc_co_u32_e32 v11, vcc, v12, v11, vcc
	global_store_dword v[10:11], v35, off
	s_branch .LBB59_28
.LBB59_62:                              ;   in Loop: Header=BB59_29 Depth=2
                                        ; implicit-def: $vgpr35
	s_branch .LBB59_37
.LBB59_63:                              ;   in Loop: Header=BB59_20 Depth=1
	s_andn2_b64 vcc, exec, s[64:65]
	s_cbranch_vccnz .LBB59_75
; %bb.64:                               ;   in Loop: Header=BB59_20 Depth=1
	s_load_dwordx2 s[22:23], s[58:59], 0x0
	s_waitcnt lgkmcnt(0)
	s_sub_i32 s72, s23, s43
	v_add_u32_e32 v10, s22, v20
	v_cmp_gt_i32_e32 vcc, s72, v10
	s_and_saveexec_b64 s[66:67], vcc
	s_cbranch_execz .LBB59_74
; %bb.65:                               ;   in Loop: Header=BB59_20 Depth=1
	v_mad_u64_u32 v[12:13], s[22:23], s62, v10, v[6:7]
	v_mad_u64_u32 v[12:13], s[22:23], s62, v12, v[8:9]
	s_mov_b64 s[68:69], 0
	s_branch .LBB59_68
.LBB59_66:                              ;   in Loop: Header=BB59_68 Depth=2
	s_or_b64 exec, exec, s[70:71]
	s_or_b64 s[22:23], s[22:23], exec
.LBB59_67:                              ;   in Loop: Header=BB59_68 Depth=2
	s_or_b64 exec, exec, s[24:25]
	v_add_u32_e32 v10, 4, v10
	v_cmp_le_i32_e32 vcc, s72, v10
	s_xor_b64 s[22:23], s[22:23], -1
	s_or_b64 s[22:23], vcc, s[22:23]
	s_and_b64 s[22:23], exec, s[22:23]
	s_or_b64 s[68:69], s[22:23], s[68:69]
	v_add_u32_e32 v12, s86, v12
	s_andn2_b64 exec, exec, s[68:69]
	s_cbranch_execz .LBB59_73
.LBB59_68:                              ;   Parent Loop BB59_20 Depth=1
                                        ; =>  This Inner Loop Header: Depth=2
	v_ashrrev_i32_e32 v11, 31, v10
	v_lshlrev_b64 v[14:15], 2, v[10:11]
	v_mov_b32_e32 v11, s45
	v_add_co_u32_e32 v14, vcc, s44, v14
	v_addc_co_u32_e32 v15, vcc, v11, v15, vcc
	global_load_dword v11, v[14:15], off
	s_waitcnt vmcnt(0)
	v_subrev_u32_e32 v11, s43, v11
	v_cmp_gt_i32_e64 s[22:23], s88, v11
	v_cmp_ge_i32_e64 s[24:25], v11, v33
	v_cmp_lt_i32_e32 vcc, v11, v33
	s_or_b64 s[24:25], s[22:23], s[24:25]
                                        ; implicit-def: $sgpr22_sgpr23
	s_and_saveexec_b64 s[70:71], s[24:25]
	s_xor_b64 s[24:25], exec, s[70:71]
; %bb.69:                               ;   in Loop: Header=BB59_68 Depth=2
	v_min_i32_e32 v11, v11, v34
	v_cndmask_b32_e32 v34, v11, v34, vcc
	s_and_b64 s[22:23], vcc, exec
                                        ; implicit-def: $vgpr11
; %bb.70:                               ;   in Loop: Header=BB59_68 Depth=2
	s_andn2_saveexec_b64 s[24:25], s[24:25]
	s_cbranch_execz .LBB59_67
; %bb.71:                               ;   in Loop: Header=BB59_68 Depth=2
	v_subrev_u32_e32 v11, s88, v11
	v_lshlrev_b32_e32 v13, 2, v11
	ds_write_b32 v13, v32 offset:10240
	s_and_saveexec_b64 s[70:71], s[4:5]
	s_cbranch_execz .LBB59_66
; %bb.72:                               ;   in Loop: Header=BB59_68 Depth=2
	v_ashrrev_i32_e32 v13, 31, v12
	v_lshlrev_b64 v[14:15], 3, v[12:13]
	v_mov_b32_e32 v13, s47
	v_add_co_u32_e32 v14, vcc, s46, v14
	v_addc_co_u32_e32 v15, vcc, v13, v15, vcc
	global_load_dwordx2 v[14:15], v[14:15], off
	v_lshlrev_b32_e32 v11, 6, v11
	v_or3_b32 v11, v11, v9, v2
	v_lshlrev_b32_e32 v11, 3, v11
	s_waitcnt vmcnt(0)
	v_mul_f32_e64 v13, v15, -s82
	v_mul_f32_e32 v15, s34, v15
	v_fmac_f32_e32 v13, s34, v14
	v_fmac_f32_e32 v15, s82, v14
	ds_add_f32 v11, v13
	ds_add_f32 v11, v15 offset:4
	s_branch .LBB59_66
.LBB59_73:                              ;   in Loop: Header=BB59_20 Depth=1
	s_or_b64 exec, exec, s[68:69]
.LBB59_74:                              ;   in Loop: Header=BB59_20 Depth=1
	s_or_b64 exec, exec, s[66:67]
.LBB59_75:                              ;   in Loop: Header=BB59_20 Depth=1
	s_and_saveexec_b64 s[22:23], s[8:9]
	s_cbranch_execz .LBB59_80
; %bb.76:                               ;   in Loop: Header=BB59_20 Depth=1
	s_mov_b64 s[24:25], exec
	s_brev_b32 s66, -2
.LBB59_77:                              ;   Parent Loop BB59_20 Depth=1
                                        ; =>  This Inner Loop Header: Depth=2
	s_ff1_i32_b64 s67, s[24:25]
	v_readlane_b32 s70, v34, s67
	s_lshl_b64 s[68:69], 1, s67
	s_min_i32 s66, s66, s70
	s_andn2_b64 s[24:25], s[24:25], s[68:69]
	s_cmp_lg_u64 s[24:25], 0
	s_cbranch_scc1 .LBB59_77
; %bb.78:                               ;   in Loop: Header=BB59_20 Depth=1
	v_mbcnt_lo_u32_b32 v10, exec_lo, 0
	v_mbcnt_hi_u32_b32 v10, exec_hi, v10
	v_cmp_eq_u32_e32 vcc, 0, v10
	s_and_saveexec_b64 s[24:25], vcc
	s_xor_b64 s[24:25], exec, s[24:25]
	s_cbranch_execz .LBB59_80
; %bb.79:                               ;   in Loop: Header=BB59_20 Depth=1
	v_mov_b32_e32 v10, s66
	ds_min_i32 v0, v10 offset:10304
.LBB59_80:                              ;   in Loop: Header=BB59_20 Depth=1
	s_or_b64 exec, exec, s[22:23]
	s_waitcnt lgkmcnt(0)
	s_barrier
	ds_read_b32 v10, v21
	s_waitcnt lgkmcnt(0)
	s_barrier
	s_and_saveexec_b64 s[22:23], s[12:13]
	s_cbranch_execz .LBB59_82
; %bb.81:                               ;   in Loop: Header=BB59_20 Depth=1
	ds_read_b32 v11, v22
	s_waitcnt lgkmcnt(0)
	v_add_u32_e32 v10, v11, v10
.LBB59_82:                              ;   in Loop: Header=BB59_20 Depth=1
	s_or_b64 exec, exec, s[22:23]
	s_barrier
	ds_write_b32 v21, v10
	s_waitcnt lgkmcnt(0)
	s_barrier
	s_and_saveexec_b64 s[22:23], s[14:15]
	s_cbranch_execz .LBB59_84
; %bb.83:                               ;   in Loop: Header=BB59_20 Depth=1
	ds_read_b32 v11, v24
	s_waitcnt lgkmcnt(0)
	v_add_u32_e32 v10, v11, v10
.LBB59_84:                              ;   in Loop: Header=BB59_20 Depth=1
	s_or_b64 exec, exec, s[22:23]
	s_barrier
	ds_write_b32 v21, v10
	;; [unrolled: 12-line block ×4, first 2 shown]
	s_waitcnt lgkmcnt(0)
	s_barrier
	ds_read_b32 v12, v0 offset:10300
	v_mov_b32_e32 v11, 0
	s_and_saveexec_b64 s[22:23], s[10:11]
	s_cbranch_execz .LBB59_90
; %bb.89:                               ;   in Loop: Header=BB59_20 Depth=1
	ds_read_b32 v11, v22
.LBB59_90:                              ;   in Loop: Header=BB59_20 Depth=1
	s_or_b64 exec, exec, s[22:23]
	s_waitcnt lgkmcnt(0)
	v_cmp_eq_u32_e32 vcc, v10, v11
	s_and_b64 s[24:25], s[10:11], vcc
	s_barrier
	s_and_saveexec_b64 s[22:23], s[24:25]
	s_cbranch_execz .LBB59_92
; %bb.91:                               ;   in Loop: Header=BB59_20 Depth=1
	ds_write_b32 v21, v0
.LBB59_92:                              ;   in Loop: Header=BB59_20 Depth=1
	s_or_b64 exec, exec, s[22:23]
	v_add_u32_e32 v13, -1, v31
	s_add_i32 s66, s42, s88
	s_mov_b64 s[22:23], 0
	v_mov_b32_e32 v14, v30
	v_mov_b32_e32 v15, v5
	;; [unrolled: 1-line block ×3, first 2 shown]
	s_waitcnt lgkmcnt(0)
	s_barrier
	s_branch .LBB59_94
.LBB59_93:                              ;   in Loop: Header=BB59_94 Depth=2
	s_or_b64 exec, exec, s[24:25]
	v_add_u32_e32 v10, 4, v16
	v_cmp_lt_u32_e32 vcc, 11, v16
	v_add_u32_e32 v15, 0x800, v15
	v_add_u32_e32 v14, 16, v14
	s_or_b64 s[22:23], vcc, s[22:23]
	v_mov_b32_e32 v16, v10
	s_andn2_b64 exec, exec, s[22:23]
	s_cbranch_execz .LBB59_19
.LBB59_94:                              ;   Parent Loop BB59_20 Depth=1
                                        ; =>  This Inner Loop Header: Depth=2
	ds_read_b32 v10, v14
	s_waitcnt lgkmcnt(0)
	v_cmp_ne_u32_e32 vcc, 0, v10
	s_and_saveexec_b64 s[24:25], vcc
	s_cbranch_execz .LBB59_93
; %bb.95:                               ;   in Loop: Header=BB59_94 Depth=2
	v_add_u32_e32 v10, v13, v10
	v_ashrrev_i32_e32 v11, 31, v10
	v_lshlrev_b64 v[18:19], 2, v[10:11]
	v_mov_b32_e32 v11, s51
	v_add_co_u32_e32 v18, vcc, s50, v18
	v_add_u32_e32 v17, s66, v16
	v_addc_co_u32_e32 v19, vcc, v11, v19, vcc
	global_store_dword v[18:19], v17, off
	s_and_b64 exec, exec, s[4:5]
	s_cbranch_execz .LBB59_93
; %bb.96:                               ;   in Loop: Header=BB59_94 Depth=2
	v_mad_u64_u32 v[10:11], s[68:69], v10, s62, v[6:7]
	ds_read_b64 v[18:19], v15
	v_mad_u64_u32 v[10:11], s[68:69], v10, s62, v[8:9]
	v_ashrrev_i32_e32 v11, 31, v10
	v_lshlrev_b64 v[10:11], 3, v[10:11]
	v_mov_b32_e32 v17, s37
	v_add_co_u32_e32 v10, vcc, s36, v10
	v_addc_co_u32_e32 v11, vcc, v17, v11, vcc
	s_waitcnt lgkmcnt(0)
	global_store_dwordx2 v[10:11], v[18:19], off
	s_branch .LBB59_93
.LBB59_97:
	s_endpgm
	.section	.rodata,"a",@progbits
	.p2align	6, 0x0
	.amdhsa_kernel _ZN9rocsparseL38bsrgemm_block_per_row_atomic_multipassILj256ELj16ELj8Eii21rocsparse_complex_numIfEEEv20rocsparse_direction_T3_S4_PKS4_S6_NS_24const_host_device_scalarIT4_EEPKT2_S6_PKS8_SC_S6_SE_S9_SC_S6_SE_SC_PS4_PS8_PSA_21rocsparse_index_base_SI_SI_SI_bbb
		.amdhsa_group_segment_fixed_size 10308
		.amdhsa_private_segment_fixed_size 0
		.amdhsa_kernarg_size 172
		.amdhsa_user_sgpr_count 6
		.amdhsa_user_sgpr_private_segment_buffer 1
		.amdhsa_user_sgpr_dispatch_ptr 0
		.amdhsa_user_sgpr_queue_ptr 0
		.amdhsa_user_sgpr_kernarg_segment_ptr 1
		.amdhsa_user_sgpr_dispatch_id 0
		.amdhsa_user_sgpr_flat_scratch_init 0
		.amdhsa_user_sgpr_kernarg_preload_length 0
		.amdhsa_user_sgpr_kernarg_preload_offset 0
		.amdhsa_user_sgpr_private_segment_size 0
		.amdhsa_uses_dynamic_stack 0
		.amdhsa_system_sgpr_private_segment_wavefront_offset 0
		.amdhsa_system_sgpr_workgroup_id_x 1
		.amdhsa_system_sgpr_workgroup_id_y 0
		.amdhsa_system_sgpr_workgroup_id_z 0
		.amdhsa_system_sgpr_workgroup_info 0
		.amdhsa_system_vgpr_workitem_id 0
		.amdhsa_next_free_vgpr 42
		.amdhsa_next_free_sgpr 90
		.amdhsa_accum_offset 44
		.amdhsa_reserve_vcc 1
		.amdhsa_reserve_flat_scratch 0
		.amdhsa_float_round_mode_32 0
		.amdhsa_float_round_mode_16_64 0
		.amdhsa_float_denorm_mode_32 3
		.amdhsa_float_denorm_mode_16_64 3
		.amdhsa_dx10_clamp 1
		.amdhsa_ieee_mode 1
		.amdhsa_fp16_overflow 0
		.amdhsa_tg_split 0
		.amdhsa_exception_fp_ieee_invalid_op 0
		.amdhsa_exception_fp_denorm_src 0
		.amdhsa_exception_fp_ieee_div_zero 0
		.amdhsa_exception_fp_ieee_overflow 0
		.amdhsa_exception_fp_ieee_underflow 0
		.amdhsa_exception_fp_ieee_inexact 0
		.amdhsa_exception_int_div_zero 0
	.end_amdhsa_kernel
	.section	.text._ZN9rocsparseL38bsrgemm_block_per_row_atomic_multipassILj256ELj16ELj8Eii21rocsparse_complex_numIfEEEv20rocsparse_direction_T3_S4_PKS4_S6_NS_24const_host_device_scalarIT4_EEPKT2_S6_PKS8_SC_S6_SE_S9_SC_S6_SE_SC_PS4_PS8_PSA_21rocsparse_index_base_SI_SI_SI_bbb,"axG",@progbits,_ZN9rocsparseL38bsrgemm_block_per_row_atomic_multipassILj256ELj16ELj8Eii21rocsparse_complex_numIfEEEv20rocsparse_direction_T3_S4_PKS4_S6_NS_24const_host_device_scalarIT4_EEPKT2_S6_PKS8_SC_S6_SE_S9_SC_S6_SE_SC_PS4_PS8_PSA_21rocsparse_index_base_SI_SI_SI_bbb,comdat
.Lfunc_end59:
	.size	_ZN9rocsparseL38bsrgemm_block_per_row_atomic_multipassILj256ELj16ELj8Eii21rocsparse_complex_numIfEEEv20rocsparse_direction_T3_S4_PKS4_S6_NS_24const_host_device_scalarIT4_EEPKT2_S6_PKS8_SC_S6_SE_S9_SC_S6_SE_SC_PS4_PS8_PSA_21rocsparse_index_base_SI_SI_SI_bbb, .Lfunc_end59-_ZN9rocsparseL38bsrgemm_block_per_row_atomic_multipassILj256ELj16ELj8Eii21rocsparse_complex_numIfEEEv20rocsparse_direction_T3_S4_PKS4_S6_NS_24const_host_device_scalarIT4_EEPKT2_S6_PKS8_SC_S6_SE_S9_SC_S6_SE_SC_PS4_PS8_PSA_21rocsparse_index_base_SI_SI_SI_bbb
                                        ; -- End function
	.section	.AMDGPU.csdata,"",@progbits
; Kernel info:
; codeLenInByte = 2848
; NumSgprs: 94
; NumVgprs: 42
; NumAgprs: 0
; TotalNumVgprs: 42
; ScratchSize: 0
; MemoryBound: 0
; FloatMode: 240
; IeeeMode: 1
; LDSByteSize: 10308 bytes/workgroup (compile time only)
; SGPRBlocks: 11
; VGPRBlocks: 5
; NumSGPRsForWavesPerEU: 94
; NumVGPRsForWavesPerEU: 42
; AccumOffset: 44
; Occupancy: 6
; WaveLimiterHint : 1
; COMPUTE_PGM_RSRC2:SCRATCH_EN: 0
; COMPUTE_PGM_RSRC2:USER_SGPR: 6
; COMPUTE_PGM_RSRC2:TRAP_HANDLER: 0
; COMPUTE_PGM_RSRC2:TGID_X_EN: 1
; COMPUTE_PGM_RSRC2:TGID_Y_EN: 0
; COMPUTE_PGM_RSRC2:TGID_Z_EN: 0
; COMPUTE_PGM_RSRC2:TIDIG_COMP_CNT: 0
; COMPUTE_PGM_RSRC3_GFX90A:ACCUM_OFFSET: 10
; COMPUTE_PGM_RSRC3_GFX90A:TG_SPLIT: 0
	.section	.text._ZN9rocsparseL38bsrgemm_block_per_row_atomic_multipassILj256ELj32ELj8Eii21rocsparse_complex_numIfEEEv20rocsparse_direction_T3_S4_PKS4_S6_NS_24const_host_device_scalarIT4_EEPKT2_S6_PKS8_SC_S6_SE_S9_SC_S6_SE_SC_PS4_PS8_PSA_21rocsparse_index_base_SI_SI_SI_bbb,"axG",@progbits,_ZN9rocsparseL38bsrgemm_block_per_row_atomic_multipassILj256ELj32ELj8Eii21rocsparse_complex_numIfEEEv20rocsparse_direction_T3_S4_PKS4_S6_NS_24const_host_device_scalarIT4_EEPKT2_S6_PKS8_SC_S6_SE_S9_SC_S6_SE_SC_PS4_PS8_PSA_21rocsparse_index_base_SI_SI_SI_bbb,comdat
	.globl	_ZN9rocsparseL38bsrgemm_block_per_row_atomic_multipassILj256ELj32ELj8Eii21rocsparse_complex_numIfEEEv20rocsparse_direction_T3_S4_PKS4_S6_NS_24const_host_device_scalarIT4_EEPKT2_S6_PKS8_SC_S6_SE_S9_SC_S6_SE_SC_PS4_PS8_PSA_21rocsparse_index_base_SI_SI_SI_bbb ; -- Begin function _ZN9rocsparseL38bsrgemm_block_per_row_atomic_multipassILj256ELj32ELj8Eii21rocsparse_complex_numIfEEEv20rocsparse_direction_T3_S4_PKS4_S6_NS_24const_host_device_scalarIT4_EEPKT2_S6_PKS8_SC_S6_SE_S9_SC_S6_SE_SC_PS4_PS8_PSA_21rocsparse_index_base_SI_SI_SI_bbb
	.p2align	8
	.type	_ZN9rocsparseL38bsrgemm_block_per_row_atomic_multipassILj256ELj32ELj8Eii21rocsparse_complex_numIfEEEv20rocsparse_direction_T3_S4_PKS4_S6_NS_24const_host_device_scalarIT4_EEPKT2_S6_PKS8_SC_S6_SE_S9_SC_S6_SE_SC_PS4_PS8_PSA_21rocsparse_index_base_SI_SI_SI_bbb,@function
_ZN9rocsparseL38bsrgemm_block_per_row_atomic_multipassILj256ELj32ELj8Eii21rocsparse_complex_numIfEEEv20rocsparse_direction_T3_S4_PKS4_S6_NS_24const_host_device_scalarIT4_EEPKT2_S6_PKS8_SC_S6_SE_S9_SC_S6_SE_SC_PS4_PS8_PSA_21rocsparse_index_base_SI_SI_SI_bbb: ; @_ZN9rocsparseL38bsrgemm_block_per_row_atomic_multipassILj256ELj32ELj8Eii21rocsparse_complex_numIfEEEv20rocsparse_direction_T3_S4_PKS4_S6_NS_24const_host_device_scalarIT4_EEPKT2_S6_PKS8_SC_S6_SE_S9_SC_S6_SE_SC_PS4_PS8_PSA_21rocsparse_index_base_SI_SI_SI_bbb
; %bb.0:
	s_load_dwordx8 s[36:43], s[4:5], 0x88
	s_load_dword s2, s[4:5], 0xa8
	s_load_dwordx8 s[44:51], s[4:5], 0x68
	s_load_dwordx8 s[52:59], s[4:5], 0x48
	s_load_dwordx4 s[8:11], s[4:5], 0x10
	s_load_dwordx8 s[60:67], s[4:5], 0x28
	s_waitcnt lgkmcnt(0)
	s_bitcmp1_b32 s2, 0
	s_cselect_b64 s[28:29], -1, 0
	s_bitcmp1_b32 s2, 16
	s_cselect_b64 s[0:1], -1, 0
	s_xor_b64 s[0:1], s[0:1], -1
	v_cndmask_b32_e64 v1, 0, 1, s[0:1]
	s_mov_b32 s73, 0
	s_bitcmp0_b32 s2, 0
	v_cmp_ne_u32_e64 s[0:1], 1, v1
	s_mov_b32 s33, 0
	s_cbranch_scc1 .LBB60_5
; %bb.1:
	s_load_dwordx2 s[72:73], s[4:5], 0x20
	s_and_b64 vcc, exec, s[0:1]
	s_waitcnt lgkmcnt(0)
	s_mov_b32 s33, s72
	s_cbranch_vccnz .LBB60_3
; %bb.2:
	s_load_dword s33, s[72:73], 0x0
.LBB60_3:
	s_and_b64 vcc, exec, s[0:1]
	s_cbranch_vccnz .LBB60_5
; %bb.4:
	s_load_dword s73, s[72:73], 0x4
.LBB60_5:
	s_bitcmp1_b32 s2, 8
	s_cselect_b64 s[74:75], -1, 0
	s_bfe_u32 s2, s2, 0x10008
	s_mov_b32 s90, 0
	s_cmp_eq_u32 s2, 0
	s_mov_b32 s72, 0
	s_cbranch_scc1 .LBB60_11
; %bb.6:
	s_and_b64 vcc, exec, s[0:1]
	s_mov_b32 s72, s56
	s_cbranch_vccnz .LBB60_8
; %bb.7:
	s_load_dword s72, s[56:57], 0x0
.LBB60_8:
	s_and_b64 vcc, exec, s[0:1]
	s_cbranch_vccnz .LBB60_10
; %bb.9:
	s_load_dword s57, s[56:57], 0x4
.LBB60_10:
	s_waitcnt lgkmcnt(0)
	s_mov_b32 s90, s57
.LBB60_11:
	s_cmp_eq_u64 s[10:11], 0
	s_cbranch_scc1 .LBB60_13
; %bb.12:
	s_load_dword s0, s[8:9], 0x0
	s_mov_b32 s1, 0
	s_waitcnt lgkmcnt(0)
	s_add_i32 s0, s0, s6
	s_lshl_b64 s[0:1], s[0:1], 2
	s_add_u32 s0, s10, s0
	s_addc_u32 s1, s11, s1
	s_load_dword s6, s[0:1], 0x0
.LBB60_13:
	v_cndmask_b32_e64 v1, 0, 1, s[28:29]
	s_mov_b32 s91, 0
	v_cmp_ne_u32_e64 s[0:1], 1, v1
	s_andn2_b64 vcc, exec, s[28:29]
	s_mov_b32 s92, 0
	s_cbranch_vccz .LBB60_16
; %bb.14:
	s_and_b64 vcc, exec, s[0:1]
	s_cbranch_vccz .LBB60_17
.LBB60_15:
	s_load_dwordx4 s[68:71], s[4:5], 0x0
	s_waitcnt lgkmcnt(0)
	s_cmp_lt_i32 s69, 1
	s_cbranch_scc0 .LBB60_18
	s_branch .LBB60_103
.LBB60_16:
	s_waitcnt lgkmcnt(0)
	s_ashr_i32 s7, s6, 31
	s_lshl_b64 s[2:3], s[6:7], 2
	s_add_u32 s2, s60, s2
	s_addc_u32 s3, s61, s3
	s_load_dword s2, s[2:3], 0x0
	s_waitcnt lgkmcnt(0)
	s_sub_i32 s92, s2, s40
	s_and_b64 vcc, exec, s[0:1]
	s_cbranch_vccnz .LBB60_15
.LBB60_17:
	s_waitcnt lgkmcnt(0)
	s_ashr_i32 s7, s6, 31
	s_lshl_b64 s[0:1], s[6:7], 2
	s_add_u32 s0, s60, s0
	s_addc_u32 s1, s61, s1
	s_load_dword s0, s[0:1], 0x4
	s_waitcnt lgkmcnt(0)
	s_sub_i32 s91, s0, s40
	s_load_dwordx4 s[68:71], s[4:5], 0x0
	s_waitcnt lgkmcnt(0)
	s_cmp_lt_i32 s69, 1
	s_cbranch_scc1 .LBB60_103
.LBB60_18:
	s_ashr_i32 s7, s6, 31
	s_lshl_b64 s[8:9], s[6:7], 2
	s_add_u32 s0, s48, s8
	s_addc_u32 s1, s49, s9
	s_load_dword s0, s[0:1], 0x0
	v_and_b32_e32 v1, 63, v0
	v_and_b32_e32 v2, 7, v0
	v_bfe_u32 v4, v0, 3, 3
	v_lshrrev_b32_e32 v3, 6, v0
	s_waitcnt lgkmcnt(0)
	s_sub_i32 s61, s0, s42
	s_cmp_lt_i32 s92, s91
	s_cselect_b64 s[30:31], -1, 0
	s_cmp_eq_u32 s68, 0
	s_cselect_b64 vcc, -1, 0
	s_cmp_lg_u32 s68, 0
	s_cselect_b64 s[48:49], -1, 0
	s_cmp_gt_i32 s70, 0
	s_cselect_b64 s[34:35], -1, 0
	s_add_u32 s56, s58, s8
	v_max_i32_e32 v5, v2, v4
	s_addc_u32 s57, s59, s9
	v_cmp_eq_u32_e64 s[8:9], 63, v1
	v_and_b32_e32 v1, 31, v0
	v_mov_b32_e32 v10, 0x4800
	s_movk_i32 s24, 0x200
	s_movk_i32 s26, 0x100
	v_cmp_gt_u32_e64 s[0:1], 32, v0
	s_mov_b32 s60, 0
	v_cmp_eq_u32_e64 s[2:3], 0, v0
	v_cmp_gt_i32_e64 s[4:5], s70, v5
	v_cmp_le_i32_e64 s[6:7], s70, v5
	v_lshlrev_b32_e32 v5, 3, v0
	s_movk_i32 s76, 0x4000
	v_and_b32_e32 v9, 56, v0
	v_lshlrev_b32_e32 v6, 2, v1
	v_add_co_u32_e64 v8, s[10:11], -1, v1
	v_lshl_or_b32 v25, v0, 2, v10
	v_cmp_ne_u32_e64 s[12:13], 0, v1
	v_cmp_lt_u32_e64 s[14:15], 1, v1
	v_cmp_lt_u32_e64 s[16:17], 3, v1
	;; [unrolled: 1-line block ×4, first 2 shown]
	v_or_b32_e32 v1, 0x400, v0
	s_movk_i32 s22, 0x700
	v_cmp_gt_u32_e64 s[24:25], s24, v0
	v_cmp_gt_u32_e64 s[26:27], s26, v0
	s_and_b64 s[28:29], s[28:29], s[30:31]
	v_lshlrev_b32_e32 v0, 9, v3
	v_cmp_gt_u32_e64 s[22:23], s22, v1
	s_add_u32 s68, s66, 4
	v_or3_b32 v30, v0, v9, s76
	s_mul_i32 s93, s70, s70
	v_and_b32_e32 v0, 0x7c0, v5
	v_mov_b32_e32 v33, s61
	s_mov_b32 s61, s60
	v_cndmask_b32_e64 v1, 0, 1, s[28:29]
	v_or_b32_e32 v7, 0x4000, v5
	v_subrev_u32_e32 v22, s43, v3
	v_or_b32_e32 v23, 0x4800, v6
	v_lshl_add_u32 v24, v8, 2, v10
	v_add_u32_e32 v26, 0x47f8, v6
	v_add_u32_e32 v27, 0x47f0, v6
	;; [unrolled: 1-line block ×4, first 2 shown]
	v_cndmask_b32_e32 v6, v2, v4, vcc
	v_cndmask_b32_e32 v8, v4, v2, vcc
	s_addc_u32 s71, s67, 0
	v_or_b32_e32 v31, 0x4000, v0
	s_lshl_b32 s94, s93, 2
	v_lshl_or_b32 v32, v3, 2, v10
	v_mov_b32_e32 v36, 32
	v_mov_b32_e32 v0, 0
	v_pk_mov_b32 v[10:11], s[60:61], s[60:61] op_sel:[0,1]
	v_cmp_ne_u32_e64 s[28:29], 1, v1
	v_mov_b32_e32 v34, 1
	v_cndmask_b32_e64 v35, 0, 1, s[34:35]
	s_branch .LBB60_20
.LBB60_19:                              ;   in Loop: Header=BB60_20 Depth=1
	s_or_b64 exec, exec, s[30:31]
	s_barrier
	ds_read_b32 v1, v0 offset:18560
	v_add_u32_e32 v33, v14, v33
	s_waitcnt lgkmcnt(0)
	s_barrier
	v_cmp_le_i32_e32 vcc, s69, v1
	v_readfirstlane_b32 s60, v1
	v_add_u32_e32 v36, 32, v1
	s_cbranch_vccnz .LBB60_103
.LBB60_20:                              ; =>This Loop Header: Depth=1
                                        ;     Child Loop BB60_33 Depth 2
                                        ;       Child Loop BB60_47 Depth 3
                                        ;         Child Loop BB60_56 Depth 4
                                        ;         Child Loop BB60_61 Depth 4
                                        ;     Child Loop BB60_72 Depth 2
                                        ;     Child Loop BB60_81 Depth 2
	;; [unrolled: 1-line block ×3, first 2 shown]
	s_and_saveexec_b64 s[30:31], s[0:1]
	s_cbranch_execz .LBB60_22
; %bb.21:                               ;   in Loop: Header=BB60_20 Depth=1
	ds_write_b32 v25, v0
.LBB60_22:                              ;   in Loop: Header=BB60_20 Depth=1
	s_or_b64 exec, exec, s[30:31]
	ds_write2st64_b64 v5, v[10:11], v[10:11] offset1:4
	ds_write2st64_b64 v5, v[10:11], v[10:11] offset0:8 offset1:12
	ds_write_b64 v5, v[10:11] offset:8192
	s_and_saveexec_b64 s[30:31], s[22:23]
	s_xor_b64 s[30:31], exec, s[30:31]
	s_cbranch_execz .LBB60_28
; %bb.23:                               ;   in Loop: Header=BB60_20 Depth=1
	v_mov_b32_e32 v1, v0
	ds_write_b64 v5, v[0:1] offset:10240
	s_and_saveexec_b64 s[34:35], s[24:25]
	s_xor_b64 s[34:35], exec, s[34:35]
	s_cbranch_execz .LBB60_27
; %bb.24:                               ;   in Loop: Header=BB60_20 Depth=1
	ds_write_b64 v5, v[0:1] offset:12288
	s_and_saveexec_b64 s[58:59], s[26:27]
	s_xor_b64 s[58:59], exec, s[58:59]
	s_cbranch_execz .LBB60_26
; %bb.25:                               ;   in Loop: Header=BB60_20 Depth=1
	v_mov_b32_e32 v1, v0
	ds_write_b64 v5, v[0:1] offset:14336
.LBB60_26:                              ;   in Loop: Header=BB60_20 Depth=1
	s_or_b64 exec, exec, s[58:59]
.LBB60_27:                              ;   in Loop: Header=BB60_20 Depth=1
	s_or_b64 exec, exec, s[34:35]
.LBB60_28:                              ;   in Loop: Header=BB60_20 Depth=1
	s_or_b64 exec, exec, s[30:31]
	s_and_saveexec_b64 s[30:31], s[2:3]
	s_cbranch_execz .LBB60_30
; %bb.29:                               ;   in Loop: Header=BB60_20 Depth=1
	v_mov_b32_e32 v1, s69
	ds_write_b32 v0, v1 offset:18560
.LBB60_30:                              ;   in Loop: Header=BB60_20 Depth=1
	s_or_b64 exec, exec, s[30:31]
	s_and_b64 vcc, exec, s[28:29]
	v_mov_b32_e32 v37, s69
	s_waitcnt lgkmcnt(0)
	s_barrier
	s_cbranch_vccnz .LBB60_67
; %bb.31:                               ;   in Loop: Header=BB60_20 Depth=1
	s_cmp_lg_u32 s60, 0
	s_cselect_b64 s[58:59], -1, 0
	v_mov_b32_e32 v37, s69
	s_mov_b32 s61, s92
	s_branch .LBB60_33
.LBB60_32:                              ;   in Loop: Header=BB60_33 Depth=2
	s_or_b64 exec, exec, s[34:35]
	s_add_i32 s61, s61, 4
	s_cmp_lt_i32 s61, s91
	s_cbranch_scc0 .LBB60_67
.LBB60_33:                              ;   Parent Loop BB60_20 Depth=1
                                        ; =>  This Loop Header: Depth=2
                                        ;       Child Loop BB60_47 Depth 3
                                        ;         Child Loop BB60_56 Depth 4
                                        ;         Child Loop BB60_61 Depth 4
	v_add_u32_e32 v12, s61, v3
	v_cmp_gt_i32_e64 s[30:31], s91, v12
	s_barrier
	s_and_saveexec_b64 s[34:35], s[30:31]
	s_cbranch_execz .LBB60_38
; %bb.34:                               ;   in Loop: Header=BB60_33 Depth=2
	s_and_saveexec_b64 s[76:77], s[6:7]
	s_xor_b64 s[76:77], exec, s[76:77]
	s_cbranch_execz .LBB60_36
; %bb.35:                               ;   in Loop: Header=BB60_33 Depth=2
	v_mov_b32_e32 v1, v0
	ds_write_b64 v7, v[0:1]
.LBB60_36:                              ;   in Loop: Header=BB60_33 Depth=2
	s_andn2_saveexec_b64 s[76:77], s[76:77]
	s_cbranch_execz .LBB60_38
; %bb.37:                               ;   in Loop: Header=BB60_33 Depth=2
	v_mad_u64_u32 v[14:15], s[76:77], v12, s70, v[4:5]
	v_mad_u64_u32 v[14:15], s[76:77], v14, s70, v[2:3]
	v_ashrrev_i32_e32 v15, 31, v14
	v_lshlrev_b64 v[14:15], 3, v[14:15]
	v_mov_b32_e32 v1, s65
	v_add_co_u32_e32 v14, vcc, s64, v14
	v_addc_co_u32_e32 v15, vcc, v1, v15, vcc
	global_load_dwordx2 v[14:15], v[14:15], off
	s_waitcnt vmcnt(0)
	ds_write_b64 v7, v[14:15]
.LBB60_38:                              ;   in Loop: Header=BB60_33 Depth=2
	s_or_b64 exec, exec, s[34:35]
	v_mov_b32_e32 v1, 0
	s_waitcnt lgkmcnt(0)
	s_barrier
	s_and_saveexec_b64 s[76:77], s[30:31]
	s_cbranch_execz .LBB60_64
; %bb.39:                               ;   in Loop: Header=BB60_33 Depth=2
	v_ashrrev_i32_e32 v13, 31, v12
	v_lshlrev_b64 v[16:17], 2, v[12:13]
	v_mov_b32_e32 v1, s63
	v_add_co_u32_e32 v14, vcc, s62, v16
	v_addc_co_u32_e32 v15, vcc, v1, v17, vcc
	global_load_dword v1, v[14:15], off
	s_and_b64 vcc, exec, s[58:59]
	s_waitcnt vmcnt(0)
	v_subrev_u32_e32 v14, s40, v1
	v_ashrrev_i32_e32 v15, 31, v14
	s_cbranch_vccz .LBB60_66
; %bb.40:                               ;   in Loop: Header=BB60_33 Depth=2
	v_mov_b32_e32 v1, s39
	v_add_co_u32_e32 v16, vcc, s38, v16
	v_addc_co_u32_e32 v17, vcc, v1, v17, vcc
	global_load_dword v1, v[16:17], off
	s_cbranch_execnz .LBB60_42
.LBB60_41:                              ;   in Loop: Header=BB60_33 Depth=2
	v_lshlrev_b64 v[16:17], 2, v[14:15]
	s_waitcnt vmcnt(0)
	v_mov_b32_e32 v1, s67
	v_add_co_u32_e32 v16, vcc, s66, v16
	v_addc_co_u32_e32 v17, vcc, v1, v17, vcc
	global_load_dword v1, v[16:17], off
	s_waitcnt vmcnt(0)
	v_subrev_u32_e32 v1, s41, v1
.LBB60_42:                              ;   in Loop: Header=BB60_33 Depth=2
	v_lshlrev_b64 v[14:15], 2, v[14:15]
	v_mov_b32_e32 v13, s71
	v_add_co_u32_e32 v14, vcc, s68, v14
	v_addc_co_u32_e32 v15, vcc, v13, v15, vcc
	global_load_dword v13, v[14:15], off
	s_waitcnt vmcnt(0)
	v_subrev_u32_e32 v13, s41, v13
	v_cmp_lt_i32_e32 vcc, v1, v13
	s_and_saveexec_b64 s[78:79], vcc
	s_cbranch_execz .LBB60_63
; %bb.43:                               ;   in Loop: Header=BB60_33 Depth=2
	v_mad_u64_u32 v[14:15], s[34:35], s70, v1, v[2:3]
	v_mul_lo_u32 v38, s70, v14
	v_mad_u64_u32 v[14:15], s[34:35], s93, v1, v[2:3]
	s_mov_b64 s[80:81], 0
	v_mov_b32_e32 v16, v1
	s_branch .LBB60_47
.LBB60_44:                              ;   in Loop: Header=BB60_47 Depth=3
	v_lshlrev_b32_e32 v15, 6, v15
	v_or3_b32 v15, v15, v9, v2
	v_mul_f32_e64 v17, v19, -s73
	v_lshlrev_b32_e32 v15, 3, v15
	v_fmac_f32_e32 v17, s33, v18
	v_mul_f32_e32 v19, s33, v19
	v_fmac_f32_e32 v19, s73, v18
	ds_add_f32 v15, v17
	ds_add_f32 v15, v19 offset:4
.LBB60_45:                              ;   in Loop: Header=BB60_47 Depth=3
	s_or_b64 exec, exec, s[86:87]
	s_or_b64 s[82:83], s[82:83], exec
.LBB60_46:                              ;   in Loop: Header=BB60_47 Depth=3
	s_or_b64 exec, exec, s[84:85]
	v_add_u32_e32 v16, 1, v16
	v_cmp_ge_i32_e32 vcc, v16, v13
	s_xor_b64 s[34:35], s[82:83], -1
	s_or_b64 s[34:35], s[34:35], vcc
	s_and_b64 s[34:35], exec, s[34:35]
	v_add_u32_e32 v38, s93, v38
	s_or_b64 s[80:81], s[34:35], s[80:81]
	v_add_u32_e32 v14, s93, v14
	s_andn2_b64 exec, exec, s[80:81]
	s_cbranch_execz .LBB60_62
.LBB60_47:                              ;   Parent Loop BB60_20 Depth=1
                                        ;     Parent Loop BB60_33 Depth=2
                                        ; =>    This Loop Header: Depth=3
                                        ;         Child Loop BB60_56 Depth 4
                                        ;         Child Loop BB60_61 Depth 4
	v_ashrrev_i32_e32 v17, 31, v16
	v_lshlrev_b64 v[18:19], 2, v[16:17]
	v_mov_b32_e32 v15, s53
	v_add_co_u32_e32 v18, vcc, s52, v18
	v_addc_co_u32_e32 v19, vcc, v15, v19, vcc
	global_load_dword v15, v[18:19], off
                                        ; implicit-def: $sgpr82_sgpr83
	s_waitcnt vmcnt(0)
	v_subrev_u32_e32 v15, s41, v15
	v_cmp_gt_i32_e64 s[34:35], s60, v15
	v_cmp_ge_i32_e32 vcc, v15, v36
	s_or_b64 s[34:35], s[34:35], vcc
	s_and_saveexec_b64 s[84:85], s[34:35]
	s_xor_b64 s[34:35], exec, s[84:85]
	s_cbranch_execz .LBB60_51
; %bb.48:                               ;   in Loop: Header=BB60_47 Depth=3
	s_mov_b64 s[82:83], -1
	s_and_saveexec_b64 s[84:85], vcc
; %bb.49:                               ;   in Loop: Header=BB60_47 Depth=3
	v_min_i32_e32 v37, v15, v37
	s_xor_b64 s[82:83], exec, -1
	v_mov_b32_e32 v1, v16
; %bb.50:                               ;   in Loop: Header=BB60_47 Depth=3
	s_or_b64 exec, exec, s[84:85]
	s_and_b64 s[82:83], s[82:83], exec
                                        ; implicit-def: $vgpr15
.LBB60_51:                              ;   in Loop: Header=BB60_47 Depth=3
	s_andn2_saveexec_b64 s[84:85], s[34:35]
	s_cbranch_execz .LBB60_46
; %bb.52:                               ;   in Loop: Header=BB60_47 Depth=3
	v_subrev_u32_e32 v15, s60, v15
	v_lshlrev_b32_e32 v17, 2, v15
	ds_write_b32 v17, v34 offset:18432
	s_and_saveexec_b64 s[86:87], s[4:5]
	s_cbranch_execz .LBB60_45
; %bb.53:                               ;   in Loop: Header=BB60_47 Depth=3
	s_andn2_b64 vcc, exec, s[48:49]
	v_cmp_ne_u32_e64 s[34:35], 1, v35
	s_cbranch_vccnz .LBB60_58
; %bb.54:                               ;   in Loop: Header=BB60_47 Depth=3
	v_mov_b32_e32 v19, 0
	s_and_b64 vcc, exec, s[34:35]
	v_mov_b32_e32 v18, v19
	s_cbranch_vccnz .LBB60_57
; %bb.55:                               ;   in Loop: Header=BB60_47 Depth=3
	v_mov_b32_e32 v18, 0
	v_mov_b32_e32 v20, v38
	s_mov_b32 s88, s70
	v_mov_b32_e32 v17, v30
	v_mov_b32_e32 v19, v18
.LBB60_56:                              ;   Parent Loop BB60_20 Depth=1
                                        ;     Parent Loop BB60_33 Depth=2
                                        ;       Parent Loop BB60_47 Depth=3
                                        ; =>      This Inner Loop Header: Depth=4
	v_ashrrev_i32_e32 v21, 31, v20
	v_lshlrev_b64 v[40:41], 3, v[20:21]
	v_mov_b32_e32 v39, s55
	v_add_co_u32_e32 v40, vcc, s54, v40
	v_addc_co_u32_e32 v41, vcc, v39, v41, vcc
	global_load_dwordx2 v[40:41], v[40:41], off
	ds_read_b64 v[42:43], v17
	s_add_i32 s88, s88, -1
	v_add_u32_e32 v17, 64, v17
	v_add_u32_e32 v20, 1, v20
	s_cmp_lg_u32 s88, 0
	s_waitcnt vmcnt(0) lgkmcnt(0)
	v_pk_fma_f32 v[18:19], v[42:43], v[40:41], v[18:19] op_sel_hi:[1,0,1]
	v_pk_fma_f32 v[18:19], v[42:43], v[40:41], v[18:19] op_sel:[1,1,0] op_sel_hi:[0,1,1] neg_lo:[1,0,0]
	s_cbranch_scc1 .LBB60_56
.LBB60_57:                              ;   in Loop: Header=BB60_47 Depth=3
	s_cbranch_execnz .LBB60_44
	s_branch .LBB60_59
.LBB60_58:                              ;   in Loop: Header=BB60_47 Depth=3
                                        ; implicit-def: $vgpr19
.LBB60_59:                              ;   in Loop: Header=BB60_47 Depth=3
	v_mov_b32_e32 v19, 0
	s_and_b64 vcc, exec, s[34:35]
	v_mov_b32_e32 v18, v19
	s_cbranch_vccnz .LBB60_44
; %bb.60:                               ;   in Loop: Header=BB60_47 Depth=3
	v_mov_b32_e32 v18, 0
	v_mov_b32_e32 v17, v31
	;; [unrolled: 1-line block ×3, first 2 shown]
	s_mov_b32 s34, s70
	v_mov_b32_e32 v19, v18
.LBB60_61:                              ;   Parent Loop BB60_20 Depth=1
                                        ;     Parent Loop BB60_33 Depth=2
                                        ;       Parent Loop BB60_47 Depth=3
                                        ; =>      This Inner Loop Header: Depth=4
	v_ashrrev_i32_e32 v21, 31, v20
	v_lshlrev_b64 v[40:41], 3, v[20:21]
	v_mov_b32_e32 v39, s55
	v_add_co_u32_e32 v40, vcc, s54, v40
	v_addc_co_u32_e32 v41, vcc, v39, v41, vcc
	global_load_dwordx2 v[40:41], v[40:41], off
	ds_read_b64 v[42:43], v17
	s_add_i32 s34, s34, -1
	v_add_u32_e32 v17, 8, v17
	v_add_u32_e32 v20, s70, v20
	s_cmp_eq_u32 s34, 0
	s_waitcnt vmcnt(0) lgkmcnt(0)
	v_pk_fma_f32 v[18:19], v[42:43], v[40:41], v[18:19] op_sel_hi:[1,0,1]
	v_pk_fma_f32 v[18:19], v[42:43], v[40:41], v[18:19] op_sel:[1,1,0] op_sel_hi:[0,1,1] neg_lo:[1,0,0]
	s_cbranch_scc0 .LBB60_61
	s_branch .LBB60_44
.LBB60_62:                              ;   in Loop: Header=BB60_33 Depth=2
	s_or_b64 exec, exec, s[80:81]
.LBB60_63:                              ;   in Loop: Header=BB60_33 Depth=2
	s_or_b64 exec, exec, s[78:79]
.LBB60_64:                              ;   in Loop: Header=BB60_33 Depth=2
	s_or_b64 exec, exec, s[76:77]
	s_waitcnt lgkmcnt(0)
	s_barrier
	s_and_saveexec_b64 s[34:35], s[30:31]
	s_cbranch_execz .LBB60_32
; %bb.65:                               ;   in Loop: Header=BB60_33 Depth=2
	v_ashrrev_i32_e32 v13, 31, v12
	v_lshlrev_b64 v[12:13], 2, v[12:13]
	v_mov_b32_e32 v14, s39
	v_add_co_u32_e32 v12, vcc, s38, v12
	v_addc_co_u32_e32 v13, vcc, v14, v13, vcc
	global_store_dword v[12:13], v1, off
	s_branch .LBB60_32
.LBB60_66:                              ;   in Loop: Header=BB60_33 Depth=2
                                        ; implicit-def: $vgpr1
	s_branch .LBB60_41
.LBB60_67:                              ;   in Loop: Header=BB60_20 Depth=1
	s_andn2_b64 vcc, exec, s[74:75]
	s_cbranch_vccnz .LBB60_79
; %bb.68:                               ;   in Loop: Header=BB60_20 Depth=1
	s_load_dwordx2 s[30:31], s[56:57], 0x0
	s_waitcnt lgkmcnt(0)
	s_sub_i32 s61, s31, s43
	v_add_u32_e32 v12, s30, v22
	v_cmp_gt_i32_e32 vcc, s61, v12
	s_and_saveexec_b64 s[58:59], vcc
	s_cbranch_execz .LBB60_78
; %bb.69:                               ;   in Loop: Header=BB60_20 Depth=1
	v_mad_u64_u32 v[14:15], s[30:31], s70, v12, v[6:7]
	v_mad_u64_u32 v[14:15], s[30:31], s70, v14, v[8:9]
	s_mov_b64 s[76:77], 0
	s_branch .LBB60_72
.LBB60_70:                              ;   in Loop: Header=BB60_72 Depth=2
	s_or_b64 exec, exec, s[78:79]
	s_or_b64 s[30:31], s[30:31], exec
.LBB60_71:                              ;   in Loop: Header=BB60_72 Depth=2
	s_or_b64 exec, exec, s[34:35]
	v_add_u32_e32 v12, 4, v12
	v_cmp_le_i32_e32 vcc, s61, v12
	s_xor_b64 s[30:31], s[30:31], -1
	s_or_b64 s[30:31], vcc, s[30:31]
	s_and_b64 s[30:31], exec, s[30:31]
	s_or_b64 s[76:77], s[30:31], s[76:77]
	v_add_u32_e32 v14, s94, v14
	s_andn2_b64 exec, exec, s[76:77]
	s_cbranch_execz .LBB60_77
.LBB60_72:                              ;   Parent Loop BB60_20 Depth=1
                                        ; =>  This Inner Loop Header: Depth=2
	v_ashrrev_i32_e32 v13, 31, v12
	v_lshlrev_b64 v[16:17], 2, v[12:13]
	v_mov_b32_e32 v1, s45
	v_add_co_u32_e32 v16, vcc, s44, v16
	v_addc_co_u32_e32 v17, vcc, v1, v17, vcc
	global_load_dword v1, v[16:17], off
	s_waitcnt vmcnt(0)
	v_subrev_u32_e32 v1, s43, v1
	v_cmp_gt_i32_e64 s[30:31], s60, v1
	v_cmp_ge_i32_e64 s[34:35], v1, v36
	v_cmp_lt_i32_e32 vcc, v1, v36
	s_or_b64 s[34:35], s[30:31], s[34:35]
                                        ; implicit-def: $sgpr30_sgpr31
	s_and_saveexec_b64 s[78:79], s[34:35]
	s_xor_b64 s[34:35], exec, s[78:79]
; %bb.73:                               ;   in Loop: Header=BB60_72 Depth=2
	v_min_i32_e32 v1, v1, v37
	v_cndmask_b32_e32 v37, v1, v37, vcc
	s_and_b64 s[30:31], vcc, exec
                                        ; implicit-def: $vgpr1
; %bb.74:                               ;   in Loop: Header=BB60_72 Depth=2
	s_andn2_saveexec_b64 s[34:35], s[34:35]
	s_cbranch_execz .LBB60_71
; %bb.75:                               ;   in Loop: Header=BB60_72 Depth=2
	v_subrev_u32_e32 v1, s60, v1
	v_lshlrev_b32_e32 v13, 2, v1
	ds_write_b32 v13, v34 offset:18432
	s_and_saveexec_b64 s[78:79], s[4:5]
	s_cbranch_execz .LBB60_70
; %bb.76:                               ;   in Loop: Header=BB60_72 Depth=2
	v_ashrrev_i32_e32 v15, 31, v14
	v_lshlrev_b64 v[16:17], 3, v[14:15]
	v_mov_b32_e32 v13, s47
	v_add_co_u32_e32 v16, vcc, s46, v16
	v_addc_co_u32_e32 v17, vcc, v13, v17, vcc
	global_load_dwordx2 v[16:17], v[16:17], off
	v_lshlrev_b32_e32 v1, 6, v1
	v_or3_b32 v1, v1, v9, v2
	v_lshlrev_b32_e32 v1, 3, v1
	s_waitcnt vmcnt(0)
	v_mul_f32_e64 v13, v17, -s90
	v_mul_f32_e32 v15, s72, v17
	v_fmac_f32_e32 v13, s72, v16
	v_fmac_f32_e32 v15, s90, v16
	ds_add_f32 v1, v13
	ds_add_f32 v1, v15 offset:4
	s_branch .LBB60_70
.LBB60_77:                              ;   in Loop: Header=BB60_20 Depth=1
	s_or_b64 exec, exec, s[76:77]
.LBB60_78:                              ;   in Loop: Header=BB60_20 Depth=1
	s_or_b64 exec, exec, s[58:59]
.LBB60_79:                              ;   in Loop: Header=BB60_20 Depth=1
	s_and_saveexec_b64 s[30:31], s[8:9]
	s_cbranch_execz .LBB60_84
; %bb.80:                               ;   in Loop: Header=BB60_20 Depth=1
	s_mov_b64 s[34:35], exec
	s_brev_b32 s58, -2
.LBB60_81:                              ;   Parent Loop BB60_20 Depth=1
                                        ; =>  This Inner Loop Header: Depth=2
	s_ff1_i32_b64 s59, s[34:35]
	v_readlane_b32 s61, v37, s59
	s_lshl_b64 s[76:77], 1, s59
	s_min_i32 s58, s58, s61
	s_andn2_b64 s[34:35], s[34:35], s[76:77]
	s_cmp_lg_u64 s[34:35], 0
	s_cbranch_scc1 .LBB60_81
; %bb.82:                               ;   in Loop: Header=BB60_20 Depth=1
	v_mbcnt_lo_u32_b32 v1, exec_lo, 0
	v_mbcnt_hi_u32_b32 v1, exec_hi, v1
	v_cmp_eq_u32_e32 vcc, 0, v1
	s_and_saveexec_b64 s[34:35], vcc
	s_xor_b64 s[34:35], exec, s[34:35]
	s_cbranch_execz .LBB60_84
; %bb.83:                               ;   in Loop: Header=BB60_20 Depth=1
	v_mov_b32_e32 v1, s58
	ds_min_i32 v0, v1 offset:18560
.LBB60_84:                              ;   in Loop: Header=BB60_20 Depth=1
	s_or_b64 exec, exec, s[30:31]
	s_waitcnt lgkmcnt(0)
	s_barrier
	ds_read_b32 v1, v23
	s_waitcnt lgkmcnt(0)
	s_barrier
	s_and_saveexec_b64 s[30:31], s[12:13]
	s_cbranch_execz .LBB60_86
; %bb.85:                               ;   in Loop: Header=BB60_20 Depth=1
	ds_read_b32 v12, v24
	s_waitcnt lgkmcnt(0)
	v_add_u32_e32 v1, v12, v1
.LBB60_86:                              ;   in Loop: Header=BB60_20 Depth=1
	s_or_b64 exec, exec, s[30:31]
	s_barrier
	ds_write_b32 v23, v1
	s_waitcnt lgkmcnt(0)
	s_barrier
	s_and_saveexec_b64 s[30:31], s[14:15]
	s_cbranch_execz .LBB60_88
; %bb.87:                               ;   in Loop: Header=BB60_20 Depth=1
	ds_read_b32 v12, v26
	s_waitcnt lgkmcnt(0)
	v_add_u32_e32 v1, v12, v1
.LBB60_88:                              ;   in Loop: Header=BB60_20 Depth=1
	s_or_b64 exec, exec, s[30:31]
	s_barrier
	ds_write_b32 v23, v1
	;; [unrolled: 12-line block ×5, first 2 shown]
	s_waitcnt lgkmcnt(0)
	s_barrier
	ds_read_b32 v14, v0 offset:18556
	v_mov_b32_e32 v12, 0
	s_and_saveexec_b64 s[30:31], s[10:11]
	s_cbranch_execz .LBB60_96
; %bb.95:                               ;   in Loop: Header=BB60_20 Depth=1
	ds_read_b32 v12, v24
.LBB60_96:                              ;   in Loop: Header=BB60_20 Depth=1
	s_or_b64 exec, exec, s[30:31]
	s_waitcnt lgkmcnt(0)
	v_cmp_eq_u32_e32 vcc, v1, v12
	s_and_b64 s[34:35], s[10:11], vcc
	s_barrier
	s_and_saveexec_b64 s[30:31], s[34:35]
	s_cbranch_execz .LBB60_98
; %bb.97:                               ;   in Loop: Header=BB60_20 Depth=1
	ds_write_b32 v23, v0
.LBB60_98:                              ;   in Loop: Header=BB60_20 Depth=1
	s_or_b64 exec, exec, s[30:31]
	v_add_u32_e32 v1, -1, v33
	s_add_i32 s58, s42, s60
	s_mov_b64 s[30:31], 0
	v_mov_b32_e32 v15, v32
	v_mov_b32_e32 v16, v5
	;; [unrolled: 1-line block ×3, first 2 shown]
	s_waitcnt lgkmcnt(0)
	s_barrier
	s_branch .LBB60_100
.LBB60_99:                              ;   in Loop: Header=BB60_100 Depth=2
	s_or_b64 exec, exec, s[34:35]
	v_add_u32_e32 v12, 4, v17
	v_cmp_lt_u32_e32 vcc, 27, v17
	v_add_u32_e32 v16, 0x800, v16
	v_add_u32_e32 v15, 16, v15
	s_or_b64 s[30:31], vcc, s[30:31]
	v_mov_b32_e32 v17, v12
	s_andn2_b64 exec, exec, s[30:31]
	s_cbranch_execz .LBB60_19
.LBB60_100:                             ;   Parent Loop BB60_20 Depth=1
                                        ; =>  This Inner Loop Header: Depth=2
	ds_read_b32 v12, v15
	s_waitcnt lgkmcnt(0)
	v_cmp_ne_u32_e32 vcc, 0, v12
	s_and_saveexec_b64 s[34:35], vcc
	s_cbranch_execz .LBB60_99
; %bb.101:                              ;   in Loop: Header=BB60_100 Depth=2
	v_add_u32_e32 v12, v1, v12
	v_ashrrev_i32_e32 v13, 31, v12
	v_lshlrev_b64 v[18:19], 2, v[12:13]
	v_mov_b32_e32 v13, s51
	v_add_co_u32_e32 v18, vcc, s50, v18
	v_add_u32_e32 v20, s58, v17
	v_addc_co_u32_e32 v19, vcc, v13, v19, vcc
	global_store_dword v[18:19], v20, off
	s_and_b64 exec, exec, s[4:5]
	s_cbranch_execz .LBB60_99
; %bb.102:                              ;   in Loop: Header=BB60_100 Depth=2
	v_mad_u64_u32 v[12:13], s[60:61], v12, s70, v[6:7]
	ds_read_b64 v[18:19], v16
	v_mad_u64_u32 v[12:13], s[60:61], v12, s70, v[8:9]
	v_ashrrev_i32_e32 v13, 31, v12
	v_lshlrev_b64 v[12:13], 3, v[12:13]
	v_mov_b32_e32 v20, s37
	v_add_co_u32_e32 v12, vcc, s36, v12
	v_addc_co_u32_e32 v13, vcc, v20, v13, vcc
	s_waitcnt lgkmcnt(0)
	global_store_dwordx2 v[12:13], v[18:19], off
	s_branch .LBB60_99
.LBB60_103:
	s_endpgm
	.section	.rodata,"a",@progbits
	.p2align	6, 0x0
	.amdhsa_kernel _ZN9rocsparseL38bsrgemm_block_per_row_atomic_multipassILj256ELj32ELj8Eii21rocsparse_complex_numIfEEEv20rocsparse_direction_T3_S4_PKS4_S6_NS_24const_host_device_scalarIT4_EEPKT2_S6_PKS8_SC_S6_SE_S9_SC_S6_SE_SC_PS4_PS8_PSA_21rocsparse_index_base_SI_SI_SI_bbb
		.amdhsa_group_segment_fixed_size 18564
		.amdhsa_private_segment_fixed_size 0
		.amdhsa_kernarg_size 172
		.amdhsa_user_sgpr_count 6
		.amdhsa_user_sgpr_private_segment_buffer 1
		.amdhsa_user_sgpr_dispatch_ptr 0
		.amdhsa_user_sgpr_queue_ptr 0
		.amdhsa_user_sgpr_kernarg_segment_ptr 1
		.amdhsa_user_sgpr_dispatch_id 0
		.amdhsa_user_sgpr_flat_scratch_init 0
		.amdhsa_user_sgpr_kernarg_preload_length 0
		.amdhsa_user_sgpr_kernarg_preload_offset 0
		.amdhsa_user_sgpr_private_segment_size 0
		.amdhsa_uses_dynamic_stack 0
		.amdhsa_system_sgpr_private_segment_wavefront_offset 0
		.amdhsa_system_sgpr_workgroup_id_x 1
		.amdhsa_system_sgpr_workgroup_id_y 0
		.amdhsa_system_sgpr_workgroup_id_z 0
		.amdhsa_system_sgpr_workgroup_info 0
		.amdhsa_system_vgpr_workitem_id 0
		.amdhsa_next_free_vgpr 44
		.amdhsa_next_free_sgpr 95
		.amdhsa_accum_offset 44
		.amdhsa_reserve_vcc 1
		.amdhsa_reserve_flat_scratch 0
		.amdhsa_float_round_mode_32 0
		.amdhsa_float_round_mode_16_64 0
		.amdhsa_float_denorm_mode_32 3
		.amdhsa_float_denorm_mode_16_64 3
		.amdhsa_dx10_clamp 1
		.amdhsa_ieee_mode 1
		.amdhsa_fp16_overflow 0
		.amdhsa_tg_split 0
		.amdhsa_exception_fp_ieee_invalid_op 0
		.amdhsa_exception_fp_denorm_src 0
		.amdhsa_exception_fp_ieee_div_zero 0
		.amdhsa_exception_fp_ieee_overflow 0
		.amdhsa_exception_fp_ieee_underflow 0
		.amdhsa_exception_fp_ieee_inexact 0
		.amdhsa_exception_int_div_zero 0
	.end_amdhsa_kernel
	.section	.text._ZN9rocsparseL38bsrgemm_block_per_row_atomic_multipassILj256ELj32ELj8Eii21rocsparse_complex_numIfEEEv20rocsparse_direction_T3_S4_PKS4_S6_NS_24const_host_device_scalarIT4_EEPKT2_S6_PKS8_SC_S6_SE_S9_SC_S6_SE_SC_PS4_PS8_PSA_21rocsparse_index_base_SI_SI_SI_bbb,"axG",@progbits,_ZN9rocsparseL38bsrgemm_block_per_row_atomic_multipassILj256ELj32ELj8Eii21rocsparse_complex_numIfEEEv20rocsparse_direction_T3_S4_PKS4_S6_NS_24const_host_device_scalarIT4_EEPKT2_S6_PKS8_SC_S6_SE_S9_SC_S6_SE_SC_PS4_PS8_PSA_21rocsparse_index_base_SI_SI_SI_bbb,comdat
.Lfunc_end60:
	.size	_ZN9rocsparseL38bsrgemm_block_per_row_atomic_multipassILj256ELj32ELj8Eii21rocsparse_complex_numIfEEEv20rocsparse_direction_T3_S4_PKS4_S6_NS_24const_host_device_scalarIT4_EEPKT2_S6_PKS8_SC_S6_SE_S9_SC_S6_SE_SC_PS4_PS8_PSA_21rocsparse_index_base_SI_SI_SI_bbb, .Lfunc_end60-_ZN9rocsparseL38bsrgemm_block_per_row_atomic_multipassILj256ELj32ELj8Eii21rocsparse_complex_numIfEEEv20rocsparse_direction_T3_S4_PKS4_S6_NS_24const_host_device_scalarIT4_EEPKT2_S6_PKS8_SC_S6_SE_S9_SC_S6_SE_SC_PS4_PS8_PSA_21rocsparse_index_base_SI_SI_SI_bbb
                                        ; -- End function
	.section	.AMDGPU.csdata,"",@progbits
; Kernel info:
; codeLenInByte = 3008
; NumSgprs: 99
; NumVgprs: 44
; NumAgprs: 0
; TotalNumVgprs: 44
; ScratchSize: 0
; MemoryBound: 0
; FloatMode: 240
; IeeeMode: 1
; LDSByteSize: 18564 bytes/workgroup (compile time only)
; SGPRBlocks: 12
; VGPRBlocks: 5
; NumSGPRsForWavesPerEU: 99
; NumVGPRsForWavesPerEU: 44
; AccumOffset: 44
; Occupancy: 3
; WaveLimiterHint : 1
; COMPUTE_PGM_RSRC2:SCRATCH_EN: 0
; COMPUTE_PGM_RSRC2:USER_SGPR: 6
; COMPUTE_PGM_RSRC2:TRAP_HANDLER: 0
; COMPUTE_PGM_RSRC2:TGID_X_EN: 1
; COMPUTE_PGM_RSRC2:TGID_Y_EN: 0
; COMPUTE_PGM_RSRC2:TGID_Z_EN: 0
; COMPUTE_PGM_RSRC2:TIDIG_COMP_CNT: 0
; COMPUTE_PGM_RSRC3_GFX90A:ACCUM_OFFSET: 10
; COMPUTE_PGM_RSRC3_GFX90A:TG_SPLIT: 0
	.section	.text._ZN9rocsparseL31bsrgemm_block_per_row_multipassILj256ELj8ELj16Eii21rocsparse_complex_numIfEEEv20rocsparse_direction_T3_S4_PKS4_S6_NS_24const_host_device_scalarIT4_EEPKT2_S6_PKS8_SC_S6_SE_S9_SC_S6_SE_SC_PS4_PS8_PSA_21rocsparse_index_base_SI_SI_SI_bbb,"axG",@progbits,_ZN9rocsparseL31bsrgemm_block_per_row_multipassILj256ELj8ELj16Eii21rocsparse_complex_numIfEEEv20rocsparse_direction_T3_S4_PKS4_S6_NS_24const_host_device_scalarIT4_EEPKT2_S6_PKS8_SC_S6_SE_S9_SC_S6_SE_SC_PS4_PS8_PSA_21rocsparse_index_base_SI_SI_SI_bbb,comdat
	.globl	_ZN9rocsparseL31bsrgemm_block_per_row_multipassILj256ELj8ELj16Eii21rocsparse_complex_numIfEEEv20rocsparse_direction_T3_S4_PKS4_S6_NS_24const_host_device_scalarIT4_EEPKT2_S6_PKS8_SC_S6_SE_S9_SC_S6_SE_SC_PS4_PS8_PSA_21rocsparse_index_base_SI_SI_SI_bbb ; -- Begin function _ZN9rocsparseL31bsrgemm_block_per_row_multipassILj256ELj8ELj16Eii21rocsparse_complex_numIfEEEv20rocsparse_direction_T3_S4_PKS4_S6_NS_24const_host_device_scalarIT4_EEPKT2_S6_PKS8_SC_S6_SE_S9_SC_S6_SE_SC_PS4_PS8_PSA_21rocsparse_index_base_SI_SI_SI_bbb
	.p2align	8
	.type	_ZN9rocsparseL31bsrgemm_block_per_row_multipassILj256ELj8ELj16Eii21rocsparse_complex_numIfEEEv20rocsparse_direction_T3_S4_PKS4_S6_NS_24const_host_device_scalarIT4_EEPKT2_S6_PKS8_SC_S6_SE_S9_SC_S6_SE_SC_PS4_PS8_PSA_21rocsparse_index_base_SI_SI_SI_bbb,@function
_ZN9rocsparseL31bsrgemm_block_per_row_multipassILj256ELj8ELj16Eii21rocsparse_complex_numIfEEEv20rocsparse_direction_T3_S4_PKS4_S6_NS_24const_host_device_scalarIT4_EEPKT2_S6_PKS8_SC_S6_SE_S9_SC_S6_SE_SC_PS4_PS8_PSA_21rocsparse_index_base_SI_SI_SI_bbb: ; @_ZN9rocsparseL31bsrgemm_block_per_row_multipassILj256ELj8ELj16Eii21rocsparse_complex_numIfEEEv20rocsparse_direction_T3_S4_PKS4_S6_NS_24const_host_device_scalarIT4_EEPKT2_S6_PKS8_SC_S6_SE_S9_SC_S6_SE_SC_PS4_PS8_PSA_21rocsparse_index_base_SI_SI_SI_bbb
; %bb.0:
	s_load_dwordx8 s[12:19], s[4:5], 0x88
	s_load_dword s7, s[4:5], 0xa8
	s_load_dwordx8 s[20:27], s[4:5], 0x68
	s_load_dwordx8 s[36:43], s[4:5], 0x48
	s_load_dwordx4 s[8:11], s[4:5], 0x10
	s_load_dwordx8 s[44:51], s[4:5], 0x28
	s_waitcnt lgkmcnt(0)
	s_bitcmp1_b32 s7, 0
	s_cselect_b64 s[62:63], -1, 0
	s_bitcmp1_b32 s7, 16
	s_cselect_b64 s[0:1], -1, 0
	s_xor_b64 s[2:3], s[0:1], -1
	s_mov_b32 s35, 0
	s_bitcmp0_b32 s7, 0
	s_mov_b32 s34, s35
	s_cbranch_scc1 .LBB61_6
; %bb.1:
	s_load_dwordx2 s[28:29], s[4:5], 0x20
	v_cndmask_b32_e64 v1, 0, 1, s[2:3]
	v_cmp_ne_u32_e64 s[0:1], 1, v1
	s_andn2_b64 vcc, exec, s[2:3]
	s_waitcnt lgkmcnt(0)
	s_mov_b32 s34, s28
	s_cbranch_vccnz .LBB61_3
; %bb.2:
	s_load_dword s34, s[28:29], 0x0
.LBB61_3:
	s_and_b64 vcc, exec, s[0:1]
	s_cbranch_vccnz .LBB61_5
; %bb.4:
	s_load_dword s29, s[28:29], 0x4
.LBB61_5:
	s_waitcnt lgkmcnt(0)
	s_mov_b32 s35, s29
.LBB61_6:
	s_bitcmp1_b32 s7, 8
	s_mov_b32 s55, 0
	s_cselect_b64 s[52:53], -1, 0
	s_bfe_u32 s0, s7, 0x10008
	s_cmp_eq_u32 s0, 0
	s_mov_b32 s54, s55
	s_cbranch_scc1 .LBB61_12
; %bb.7:
	v_cndmask_b32_e64 v1, 0, 1, s[2:3]
	v_cmp_ne_u32_e64 s[0:1], 1, v1
	s_andn2_b64 vcc, exec, s[2:3]
	s_mov_b32 s54, s40
	s_cbranch_vccnz .LBB61_9
; %bb.8:
	s_load_dword s54, s[40:41], 0x0
.LBB61_9:
	s_and_b64 vcc, exec, s[0:1]
	s_cbranch_vccnz .LBB61_11
; %bb.10:
	s_load_dword s41, s[40:41], 0x4
.LBB61_11:
	s_waitcnt lgkmcnt(0)
	s_mov_b32 s55, s41
.LBB61_12:
	s_cmp_eq_u64 s[10:11], 0
	s_cbranch_scc1 .LBB61_14
; %bb.13:
	s_load_dword s0, s[8:9], 0x0
	s_mov_b32 s1, 0
	s_waitcnt lgkmcnt(0)
	s_add_i32 s0, s0, s6
	s_lshl_b64 s[0:1], s[0:1], 2
	s_add_u32 s0, s10, s0
	s_addc_u32 s1, s11, s1
	s_load_dword s6, s[0:1], 0x0
.LBB61_14:
	v_cndmask_b32_e64 v1, 0, 1, s[62:63]
	s_mov_b32 s33, 0
	v_cmp_ne_u32_e64 s[0:1], 1, v1
	s_andn2_b64 vcc, exec, s[62:63]
	s_mov_b32 s74, 0
	s_cbranch_vccz .LBB61_17
; %bb.15:
	s_and_b64 vcc, exec, s[0:1]
	s_cbranch_vccz .LBB61_18
.LBB61_16:
	s_load_dwordx4 s[28:31], s[4:5], 0x0
	s_waitcnt lgkmcnt(0)
	s_cmp_lt_i32 s29, 1
	s_cbranch_scc0 .LBB61_19
	s_branch .LBB61_101
.LBB61_17:
	s_waitcnt lgkmcnt(0)
	s_ashr_i32 s7, s6, 31
	s_lshl_b64 s[2:3], s[6:7], 2
	s_add_u32 s2, s44, s2
	s_addc_u32 s3, s45, s3
	s_load_dword s2, s[2:3], 0x0
	s_waitcnt lgkmcnt(0)
	s_sub_i32 s74, s2, s16
	s_and_b64 vcc, exec, s[0:1]
	s_cbranch_vccnz .LBB61_16
.LBB61_18:
	s_waitcnt lgkmcnt(0)
	s_ashr_i32 s7, s6, 31
	s_lshl_b64 s[0:1], s[6:7], 2
	s_add_u32 s0, s44, s0
	s_addc_u32 s1, s45, s1
	s_load_dword s0, s[0:1], 0x4
	s_waitcnt lgkmcnt(0)
	s_sub_i32 s33, s0, s16
	s_load_dwordx4 s[28:31], s[4:5], 0x0
	s_waitcnt lgkmcnt(0)
	s_cmp_lt_i32 s29, 1
	s_cbranch_scc1 .LBB61_101
.LBB61_19:
	s_ashr_i32 s7, s6, 31
	s_lshl_b64 s[4:5], s[6:7], 2
	s_add_u32 s0, s24, s4
	s_addc_u32 s1, s25, s5
	s_load_dword s2, s[0:1], 0x0
	v_and_b32_e32 v1, 15, v0
	v_lshrrev_b32_e32 v4, 4, v0
	v_cmp_gt_u32_e32 vcc, s30, v1
	v_and_b32_e32 v3, 0xf0, v0
	s_waitcnt lgkmcnt(0)
	s_sub_i32 s24, s2, s18
	s_cmp_lt_i32 s74, s33
	v_cmp_gt_i32_e64 s[2:3], s30, v4
	s_cselect_b64 s[8:9], -1, 0
	s_and_b64 s[40:41], vcc, s[2:3]
	s_cmp_eq_u32 s28, 0
	s_cselect_b64 vcc, -1, 0
	s_cmp_lg_u32 s28, 0
	s_cselect_b64 s[44:45], -1, 0
	s_cmp_gt_i32 s30, 0
	s_cselect_b64 s[10:11], -1, 0
	s_mul_i32 s28, s30, s30
	s_xor_b32 s56, s35, 0x80000000
	s_add_u32 s42, s42, s4
	s_mul_i32 s61, s74, s28
	s_mov_b32 s60, 0
	s_addc_u32 s43, s43, s5
	s_xor_b32 s58, s55, 0x80000000
	v_or_b32_e32 v2, v3, v1
	s_and_b64 s[8:9], s[62:63], s[8:9]
	v_add_u32_e32 v19, s61, v4
	s_mul_i32 s61, s74, s30
	v_lshlrev_b32_e32 v17, 3, v2
	v_cndmask_b32_e32 v18, v1, v4, vcc
	v_cndmask_b32_e32 v2, v4, v1, vcc
	v_or_b32_e32 v5, 0x400, v0
	s_movk_i32 s2, 0x700
	s_movk_i32 s4, 0x200
	;; [unrolled: 1-line block ×3, first 2 shown]
	s_add_u32 s31, s50, 4
	v_add_u32_e32 v4, s61, v4
	s_mov_b32 s61, s60
	v_cndmask_b32_e64 v6, 0, 1, s[8:9]
	s_mov_b32 s25, 8
	v_cmp_gt_u32_e64 s[0:1], 8, v0
	v_lshlrev_b32_e32 v16, 3, v0
	v_cmp_gt_u32_e64 s[2:3], s2, v5
	v_cmp_gt_u32_e64 s[4:5], s4, v0
	;; [unrolled: 1-line block ×3, first 2 shown]
	s_mov_b32 s57, s34
	s_mov_b32 s59, s54
	s_addc_u32 s75, s51, 0
	v_mul_lo_u32 v20, s30, v4
	s_sub_i32 s76, 1, s19
	v_pk_mov_b32 v[4:5], s[60:61], s[60:61] op_sel:[0,1]
	v_cmp_ne_u32_e64 s[8:9], 1, v6
	v_mov_b32_e32 v7, 0
	v_cndmask_b32_e64 v21, 0, 1, s[10:11]
	v_mov_b32_e32 v22, 1
	s_branch .LBB61_22
.LBB61_20:                              ;   in Loop: Header=BB61_22 Depth=1
	s_or_b64 exec, exec, s[10:11]
	s_add_i32 s25, s25, 1
.LBB61_21:                              ;   in Loop: Header=BB61_22 Depth=1
	s_min_i32 s60, s69, s29
	s_add_i32 s24, s25, s24
	s_add_i32 s25, s60, 8
	s_cmp_lt_i32 s69, s29
	s_barrier
	s_barrier
	s_cbranch_scc0 .LBB61_101
.LBB61_22:                              ; =>This Loop Header: Depth=1
                                        ;     Child Loop BB61_32 Depth 2
                                        ;       Child Loop BB61_37 Depth 3
                                        ;         Child Loop BB61_46 Depth 4
                                        ;         Child Loop BB61_51 Depth 4
                                        ;     Child Loop BB61_65 Depth 2
	s_and_saveexec_b64 s[10:11], s[0:1]
	s_cbranch_execz .LBB61_24
; %bb.23:                               ;   in Loop: Header=BB61_22 Depth=1
	ds_write_b8 v0, v7 offset:16384
.LBB61_24:                              ;   in Loop: Header=BB61_22 Depth=1
	s_or_b64 exec, exec, s[10:11]
	ds_write2st64_b64 v16, v[4:5], v[4:5] offset1:4
	ds_write2st64_b64 v16, v[4:5], v[4:5] offset0:8 offset1:12
	ds_write_b64 v16, v[4:5] offset:8192
	s_and_saveexec_b64 s[10:11], s[2:3]
	s_xor_b64 s[10:11], exec, s[10:11]
	s_cbranch_execz .LBB61_30
; %bb.25:                               ;   in Loop: Header=BB61_22 Depth=1
	v_mov_b32_e32 v6, v7
	ds_write_b64 v16, v[6:7] offset:10240
	s_and_saveexec_b64 s[62:63], s[4:5]
	s_xor_b64 s[62:63], exec, s[62:63]
	s_cbranch_execz .LBB61_29
; %bb.26:                               ;   in Loop: Header=BB61_22 Depth=1
	ds_write_b64 v16, v[6:7] offset:12288
	s_and_saveexec_b64 s[64:65], s[6:7]
	s_xor_b64 s[64:65], exec, s[64:65]
	s_cbranch_execz .LBB61_28
; %bb.27:                               ;   in Loop: Header=BB61_22 Depth=1
	v_mov_b32_e32 v6, v7
	ds_write_b64 v16, v[6:7] offset:14336
.LBB61_28:                              ;   in Loop: Header=BB61_22 Depth=1
	s_or_b64 exec, exec, s[64:65]
.LBB61_29:                              ;   in Loop: Header=BB61_22 Depth=1
	s_or_b64 exec, exec, s[62:63]
.LBB61_30:                              ;   in Loop: Header=BB61_22 Depth=1
	s_or_b64 exec, exec, s[10:11]
	s_and_b64 vcc, exec, s[8:9]
	s_mov_b32 s69, s29
	s_waitcnt lgkmcnt(0)
	s_barrier
	s_cbranch_vccnz .LBB61_60
; %bb.31:                               ;   in Loop: Header=BB61_22 Depth=1
	s_cmp_lg_u32 s60, 0
	s_cselect_b64 s[62:63], -1, 0
	v_mov_b32_e32 v8, v20
	v_mov_b32_e32 v23, v19
	s_mov_b32 s61, s29
	s_mov_b32 s64, s74
.LBB61_32:                              ;   Parent Loop BB61_22 Depth=1
                                        ; =>  This Loop Header: Depth=2
                                        ;       Child Loop BB61_37 Depth 3
                                        ;         Child Loop BB61_46 Depth 4
                                        ;         Child Loop BB61_51 Depth 4
	s_ashr_i32 s65, s64, 31
	s_lshl_b64 s[66:67], s[64:65], 2
	s_add_u32 s10, s46, s66
	s_addc_u32 s11, s47, s67
	s_load_dword s10, s[10:11], 0x0
	s_and_b64 vcc, exec, s[62:63]
	s_waitcnt lgkmcnt(0)
	s_sub_i32 s10, s10, s16
	s_cbranch_vccz .LBB61_59
; %bb.33:                               ;   in Loop: Header=BB61_32 Depth=2
	s_add_u32 s68, s14, s66
	s_addc_u32 s69, s15, s67
	global_load_dword v6, v7, s[68:69]
	s_ashr_i32 s11, s10, 31
	s_waitcnt vmcnt(0)
	v_readfirstlane_b32 s65, v6
	s_cbranch_execnz .LBB61_35
.LBB61_34:                              ;   in Loop: Header=BB61_32 Depth=2
	s_ashr_i32 s11, s10, 31
	s_lshl_b64 s[68:69], s[10:11], 2
	s_add_u32 s68, s50, s68
	s_addc_u32 s69, s51, s69
	s_load_dword s65, s[68:69], 0x0
	s_waitcnt lgkmcnt(0)
	s_sub_i32 s65, s65, s17
.LBB61_35:                              ;   in Loop: Header=BB61_32 Depth=2
	s_lshl_b64 s[10:11], s[10:11], 2
	s_add_u32 s10, s31, s10
	s_addc_u32 s11, s75, s11
	s_load_dword s10, s[10:11], 0x0
	s_waitcnt lgkmcnt(0)
	s_sub_i32 s77, s10, s17
	s_cmp_ge_i32 s65, s77
	s_cbranch_scc1 .LBB61_56
; %bb.36:                               ;   in Loop: Header=BB61_32 Depth=2
	v_ashrrev_i32_e32 v9, 31, v8
	v_lshlrev_b64 v[10:11], 3, v[8:9]
	v_mov_b32_e32 v6, s49
	v_add_co_u32_e32 v10, vcc, s48, v10
	s_mul_i32 s10, s30, s65
	v_addc_co_u32_e32 v11, vcc, v6, v11, vcc
	v_add_u32_e32 v6, s10, v1
	s_mul_i32 s10, s28, s65
	v_mul_lo_u32 v9, s30, v6
	v_add_u32_e32 v24, s10, v1
	s_mov_b32 s68, s65
.LBB61_37:                              ;   Parent Loop BB61_22 Depth=1
                                        ;     Parent Loop BB61_32 Depth=2
                                        ; =>    This Loop Header: Depth=3
                                        ;         Child Loop BB61_46 Depth 4
                                        ;         Child Loop BB61_51 Depth 4
	s_ashr_i32 s69, s68, 31
	s_lshl_b64 s[10:11], s[68:69], 2
	s_add_u32 s10, s36, s10
	s_addc_u32 s11, s37, s11
	s_load_dword s10, s[10:11], 0x0
	s_mov_b64 s[70:71], -1
                                        ; implicit-def: $sgpr69
                                        ; implicit-def: $sgpr78
	s_waitcnt lgkmcnt(0)
	s_sub_i32 s79, s10, s17
	s_cmp_lt_i32 s79, s60
	s_cselect_b64 s[10:11], -1, 0
	s_cmp_ge_i32 s79, s25
	s_cselect_b64 s[72:73], -1, 0
	s_or_b64 s[10:11], s[10:11], s[72:73]
	s_and_b64 vcc, exec, s[10:11]
                                        ; implicit-def: $sgpr10_sgpr11
	s_cbranch_vccz .LBB61_41
; %bb.38:                               ;   in Loop: Header=BB61_37 Depth=3
	s_mov_b64 s[10:11], -1
	s_andn2_b64 vcc, exec, s[72:73]
	s_mov_b32 s69, s61
	s_mov_b32 s78, s65
	s_cbranch_vccnz .LBB61_40
; %bb.39:                               ;   in Loop: Header=BB61_37 Depth=3
	s_min_i32 s69, s79, s61
	s_mov_b64 s[10:11], 0
	s_mov_b32 s78, s68
.LBB61_40:                              ;   in Loop: Header=BB61_37 Depth=3
	s_mov_b64 s[70:71], 0
.LBB61_41:                              ;   in Loop: Header=BB61_37 Depth=3
	s_andn2_b64 vcc, exec, s[70:71]
	s_cbranch_vccnz .LBB61_54
; %bb.42:                               ;   in Loop: Header=BB61_37 Depth=3
	s_sub_i32 s69, s79, s60
	v_mov_b32_e32 v6, s69
	ds_write_b8 v6, v22 offset:16384
	s_and_saveexec_b64 s[70:71], s[40:41]
	s_cbranch_execz .LBB61_53
; %bb.43:                               ;   in Loop: Header=BB61_37 Depth=3
	s_andn2_b64 vcc, exec, s[44:45]
	v_cmp_ne_u32_e64 s[10:11], 1, v21
	s_cbranch_vccnz .LBB61_48
; %bb.44:                               ;   in Loop: Header=BB61_37 Depth=3
	v_mov_b32_e32 v13, 0
	s_and_b64 vcc, exec, s[10:11]
	v_mov_b32_e32 v12, v13
	s_cbranch_vccnz .LBB61_47
; %bb.45:                               ;   in Loop: Header=BB61_37 Depth=3
	v_mov_b32_e32 v12, 0
	s_mov_b32 s72, 0
	v_mov_b32_e32 v14, v23
	v_mov_b32_e32 v13, v12
.LBB61_46:                              ;   Parent Loop BB61_22 Depth=1
                                        ;     Parent Loop BB61_32 Depth=2
                                        ;       Parent Loop BB61_37 Depth=3
                                        ; =>      This Inner Loop Header: Depth=4
	v_ashrrev_i32_e32 v15, 31, v14
	v_lshlrev_b64 v[26:27], 3, v[14:15]
	v_mov_b32_e32 v25, s49
	v_add_u32_e32 v6, s72, v9
	v_add_co_u32_e32 v26, vcc, s48, v26
	v_lshlrev_b64 v[28:29], 3, v[6:7]
	v_addc_co_u32_e32 v27, vcc, v25, v27, vcc
	v_mov_b32_e32 v30, s39
	v_add_co_u32_e32 v28, vcc, s38, v28
	v_addc_co_u32_e32 v29, vcc, v30, v29, vcc
	global_load_dwordx2 v[28:29], v[28:29], off
	s_nop 0
	global_load_dwordx2 v[26:27], v[26:27], off
	s_add_i32 s72, s72, 1
	v_add_u32_e32 v14, s30, v14
	s_cmp_lg_u32 s30, s72
	s_waitcnt vmcnt(0)
	v_pk_fma_f32 v[12:13], v[26:27], v[28:29], v[12:13] op_sel_hi:[1,0,1]
	v_pk_fma_f32 v[12:13], v[26:27], v[28:29], v[12:13] op_sel:[1,1,0] op_sel_hi:[0,1,1] neg_lo:[1,0,0]
	s_cbranch_scc1 .LBB61_46
.LBB61_47:                              ;   in Loop: Header=BB61_37 Depth=3
	s_cbranch_execz .LBB61_49
	s_branch .LBB61_52
.LBB61_48:                              ;   in Loop: Header=BB61_37 Depth=3
                                        ; implicit-def: $vgpr13
.LBB61_49:                              ;   in Loop: Header=BB61_37 Depth=3
	v_mov_b32_e32 v13, 0
	s_and_b64 vcc, exec, s[10:11]
	v_mov_b32_e32 v12, v13
	s_cbranch_vccnz .LBB61_52
; %bb.50:                               ;   in Loop: Header=BB61_37 Depth=3
	v_mov_b32_e32 v12, 0
	v_pk_mov_b32 v[14:15], v[10:11], v[10:11] op_sel:[0,1]
	v_mov_b32_e32 v6, v24
	s_mov_b32 s10, s30
	v_mov_b32_e32 v13, v12
.LBB61_51:                              ;   Parent Loop BB61_22 Depth=1
                                        ;     Parent Loop BB61_32 Depth=2
                                        ;       Parent Loop BB61_37 Depth=3
                                        ; =>      This Inner Loop Header: Depth=4
	v_lshlrev_b64 v[26:27], 3, v[6:7]
	v_mov_b32_e32 v25, s39
	v_add_co_u32_e32 v26, vcc, s38, v26
	v_addc_co_u32_e32 v27, vcc, v25, v27, vcc
	global_load_dwordx2 v[28:29], v[14:15], off
	s_add_i32 s10, s10, -1
	global_load_dwordx2 v[26:27], v[26:27], off
	v_add_co_u32_e32 v14, vcc, 8, v14
	v_add_u32_e32 v6, s30, v6
	v_addc_co_u32_e32 v15, vcc, 0, v15, vcc
	s_cmp_eq_u32 s10, 0
	s_waitcnt vmcnt(0)
	v_pk_fma_f32 v[12:13], v[28:29], v[26:27], v[12:13] op_sel_hi:[1,0,1]
	v_pk_fma_f32 v[12:13], v[28:29], v[26:27], v[12:13] op_sel:[1,1,0] op_sel_hi:[0,1,1] neg_lo:[1,0,0]
	s_cbranch_scc0 .LBB61_51
.LBB61_52:                              ;   in Loop: Header=BB61_37 Depth=3
	s_lshl_b32 s10, s69, 8
	v_or3_b32 v6, s10, v3, v1
	v_lshlrev_b32_e32 v25, 3, v6
	ds_read_b64 v[14:15], v25
	v_mov_b32_e32 v6, v13
	s_waitcnt lgkmcnt(0)
	v_pk_fma_f32 v[14:15], s[34:35], v[12:13], v[14:15] op_sel_hi:[1,0,1]
	v_pk_fma_f32 v[12:13], s[56:57], v[6:7], v[14:15] op_sel_hi:[1,0,1]
	ds_write_b64 v25, v[12:13]
.LBB61_53:                              ;   in Loop: Header=BB61_37 Depth=3
	s_or_b64 exec, exec, s[70:71]
	s_mov_b64 s[10:11], -1
	s_mov_b32 s69, s61
	s_mov_b32 s78, s65
	s_waitcnt lgkmcnt(0)
	s_barrier
.LBB61_54:                              ;   in Loop: Header=BB61_37 Depth=3
	s_add_i32 s68, s68, 1
	s_cmp_lt_i32 s68, s77
	s_cselect_b64 s[70:71], -1, 0
	s_and_b64 s[10:11], s[10:11], s[70:71]
	v_add_u32_e32 v9, s28, v9
	v_add_u32_e32 v24, s28, v24
	s_and_b64 vcc, exec, s[10:11]
	s_cbranch_vccz .LBB61_57
; %bb.55:                               ;   in Loop: Header=BB61_37 Depth=3
	s_mov_b32 s61, s69
	s_mov_b32 s65, s78
	s_branch .LBB61_37
.LBB61_56:                              ;   in Loop: Header=BB61_32 Depth=2
	s_mov_b32 s69, s61
	s_mov_b32 s78, s65
.LBB61_57:                              ;   in Loop: Header=BB61_32 Depth=2
	s_add_u32 s10, s14, s66
	s_addc_u32 s11, s15, s67
	s_add_i32 s64, s64, 1
	v_mov_b32_e32 v6, s78
	v_add_u32_e32 v23, s28, v23
	s_cmp_lt_i32 s64, s33
	v_add_u32_e32 v8, s28, v8
	global_store_dword v7, v6, s[10:11]
	s_cbranch_scc0 .LBB61_60
; %bb.58:                               ;   in Loop: Header=BB61_32 Depth=2
	s_mov_b32 s61, s69
	s_branch .LBB61_32
.LBB61_59:                              ;   in Loop: Header=BB61_32 Depth=2
                                        ; implicit-def: $sgpr65
	s_branch .LBB61_34
.LBB61_60:                              ;   in Loop: Header=BB61_22 Depth=1
	s_andn2_b64 vcc, exec, s[52:53]
	s_cbranch_vccnz .LBB61_70
; %bb.61:                               ;   in Loop: Header=BB61_22 Depth=1
	s_load_dwordx2 s[10:11], s[42:43], 0x0
	s_waitcnt lgkmcnt(0)
	s_cmp_ge_i32 s10, s11
	s_cbranch_scc1 .LBB61_70
; %bb.62:                               ;   in Loop: Header=BB61_22 Depth=1
	s_sub_i32 s62, s10, s19
	s_sub_i32 s61, s11, s19
	s_mul_i32 s11, s30, s62
	s_ashr_i32 s63, s62, 31
	v_add_u32_e32 v6, s11, v18
	s_add_i32 s66, s76, s10
	s_lshl_b64 s[10:11], s[62:63], 2
	v_mad_u64_u32 v[8:9], s[64:65], s30, v6, v[2:3]
	s_add_u32 s10, s20, s10
	s_addc_u32 s11, s21, s11
	v_mov_b32_e32 v6, v8
	s_branch .LBB61_65
.LBB61_63:                              ;   in Loop: Header=BB61_65 Depth=2
	s_or_b64 exec, exec, s[62:63]
	s_mov_b64 s[62:63], -1
	s_mov_b32 s67, s69
	s_waitcnt lgkmcnt(0)
	s_barrier
.LBB61_64:                              ;   in Loop: Header=BB61_65 Depth=2
	s_cmp_lt_i32 s66, s61
	s_cselect_b64 s[64:65], -1, 0
	s_and_b64 s[62:63], s[62:63], s[64:65]
	s_add_i32 s66, s66, 1
	s_add_u32 s10, s10, 4
	v_add_u32_e32 v6, s28, v6
	s_addc_u32 s11, s11, 0
	s_mov_b32 s69, s67
	s_and_b64 vcc, exec, s[62:63]
	s_cbranch_vccz .LBB61_70
.LBB61_65:                              ;   Parent Loop BB61_22 Depth=1
                                        ; =>  This Inner Loop Header: Depth=2
	s_load_dword s62, s[10:11], 0x0
                                        ; implicit-def: $sgpr67
	s_waitcnt lgkmcnt(0)
	s_sub_i32 s68, s62, s19
	s_cmp_lt_i32 s68, s60
	s_cselect_b64 s[64:65], -1, 0
	s_cmp_lt_i32 s68, s25
	s_cselect_b64 s[62:63], -1, 0
	s_cmp_ge_i32 s68, s25
	s_cselect_b64 s[70:71], -1, 0
	s_or_b64 s[70:71], s[64:65], s[70:71]
	s_mov_b64 s[64:65], -1
	s_and_b64 vcc, exec, s[70:71]
	s_cbranch_vccz .LBB61_67
; %bb.66:                               ;   in Loop: Header=BB61_65 Depth=2
	s_min_i32 s67, s68, s69
	s_and_b64 s[64:65], s[62:63], exec
	s_cselect_b32 s67, s69, s67
	s_mov_b64 s[64:65], 0
.LBB61_67:                              ;   in Loop: Header=BB61_65 Depth=2
	s_andn2_b64 vcc, exec, s[64:65]
	s_cbranch_vccnz .LBB61_64
; %bb.68:                               ;   in Loop: Header=BB61_65 Depth=2
	s_sub_i32 s64, s68, s60
	v_mov_b32_e32 v8, s64
	ds_write_b8 v8, v22 offset:16384
	s_and_saveexec_b64 s[62:63], s[40:41]
	s_cbranch_execz .LBB61_63
; %bb.69:                               ;   in Loop: Header=BB61_65 Depth=2
	v_lshlrev_b64 v[8:9], 3, v[6:7]
	v_mov_b32_e32 v10, s23
	v_add_co_u32_e32 v8, vcc, s22, v8
	v_addc_co_u32_e32 v9, vcc, v10, v9, vcc
	global_load_dwordx2 v[8:9], v[8:9], off
	s_lshl_b32 s64, s64, 8
	v_or3_b32 v10, s64, v3, v1
	v_lshlrev_b32_e32 v12, 3, v10
	ds_read_b64 v[10:11], v12
	s_waitcnt vmcnt(0) lgkmcnt(0)
	v_pk_fma_f32 v[10:11], s[54:55], v[8:9], v[10:11] op_sel_hi:[1,0,1]
	v_pk_fma_f32 v[8:9], s[58:59], v[8:9], v[10:11] op_sel:[0,1,0]
	ds_write_b64 v12, v[8:9]
	s_branch .LBB61_63
.LBB61_70:                              ;   in Loop: Header=BB61_22 Depth=1
	s_barrier
	ds_read_u8 v6, v7 offset:16384
	s_add_i32 s62, s60, s18
	s_mov_b32 s25, 0
	s_waitcnt lgkmcnt(0)
	v_cmp_eq_u32_e32 vcc, 0, v6
	s_cbranch_vccz .LBB61_78
; %bb.71:                               ;   in Loop: Header=BB61_22 Depth=1
	ds_read_u8 v6, v7 offset:16385
	s_waitcnt lgkmcnt(0)
	v_cmp_eq_u32_e32 vcc, 0, v6
	s_cbranch_vccz .LBB61_81
.LBB61_72:                              ;   in Loop: Header=BB61_22 Depth=1
	ds_read_u8 v6, v7 offset:16386
	s_waitcnt lgkmcnt(0)
	v_cmp_eq_u32_e32 vcc, 0, v6
	s_cbranch_vccz .LBB61_84
.LBB61_73:                              ;   in Loop: Header=BB61_22 Depth=1
	ds_read_u8 v6, v7 offset:16387
	s_waitcnt lgkmcnt(0)
	v_cmp_eq_u32_e32 vcc, 0, v6
	s_cbranch_vccz .LBB61_87
.LBB61_74:                              ;   in Loop: Header=BB61_22 Depth=1
	ds_read_u8 v6, v7 offset:16388
	s_waitcnt lgkmcnt(0)
	v_cmp_eq_u32_e32 vcc, 0, v6
	s_cbranch_vccz .LBB61_90
.LBB61_75:                              ;   in Loop: Header=BB61_22 Depth=1
	ds_read_u8 v6, v7 offset:16389
	s_waitcnt lgkmcnt(0)
	v_cmp_eq_u32_e32 vcc, 0, v6
	s_cbranch_vccz .LBB61_93
.LBB61_76:                              ;   in Loop: Header=BB61_22 Depth=1
	ds_read_u8 v6, v7 offset:16390
	s_waitcnt lgkmcnt(0)
	v_cmp_eq_u32_e32 vcc, 0, v6
	s_cbranch_vccz .LBB61_96
.LBB61_77:                              ;   in Loop: Header=BB61_22 Depth=1
	ds_read_u8 v6, v7 offset:16391
	s_waitcnt lgkmcnt(0)
	v_cmp_eq_u32_e32 vcc, 0, v6
	s_cbranch_vccnz .LBB61_21
	s_branch .LBB61_99
.LBB61_78:                              ;   in Loop: Header=BB61_22 Depth=1
	s_ashr_i32 s25, s24, 31
	s_lshl_b64 s[10:11], s[24:25], 2
	s_add_u32 s10, s26, s10
	s_addc_u32 s11, s27, s11
	v_mov_b32_e32 v6, s62
	global_store_dword v7, v6, s[10:11]
	s_and_saveexec_b64 s[10:11], s[40:41]
	s_cbranch_execz .LBB61_80
; %bb.79:                               ;   in Loop: Header=BB61_22 Depth=1
	s_mul_i32 s25, s24, s30
	v_add_u32_e32 v6, s25, v18
	v_mad_u64_u32 v[8:9], s[60:61], v6, s30, v[2:3]
	ds_read_b64 v[10:11], v16
	v_mov_b32_e32 v9, v7
	v_lshlrev_b64 v[8:9], 3, v[8:9]
	v_mov_b32_e32 v6, s13
	v_add_co_u32_e32 v8, vcc, s12, v8
	v_addc_co_u32_e32 v9, vcc, v6, v9, vcc
	s_waitcnt lgkmcnt(0)
	global_store_dwordx2 v[8:9], v[10:11], off
.LBB61_80:                              ;   in Loop: Header=BB61_22 Depth=1
	s_or_b64 exec, exec, s[10:11]
	s_mov_b32 s25, 1
	ds_read_u8 v6, v7 offset:16385
	s_waitcnt lgkmcnt(0)
	v_cmp_eq_u32_e32 vcc, 0, v6
	s_cbranch_vccnz .LBB61_72
.LBB61_81:                              ;   in Loop: Header=BB61_22 Depth=1
	s_add_i32 s60, s25, s24
	s_ashr_i32 s61, s60, 31
	s_add_i32 s63, s62, 1
	s_lshl_b64 s[10:11], s[60:61], 2
	s_add_u32 s10, s26, s10
	s_addc_u32 s11, s27, s11
	v_mov_b32_e32 v6, s63
	global_store_dword v7, v6, s[10:11]
	s_and_saveexec_b64 s[10:11], s[40:41]
	s_cbranch_execz .LBB61_83
; %bb.82:                               ;   in Loop: Header=BB61_22 Depth=1
	s_mul_i32 s60, s60, s30
	v_add_u32_e32 v6, s60, v18
	v_mad_u64_u32 v[8:9], s[60:61], v6, s30, v[2:3]
	ds_read_b64 v[10:11], v17 offset:2048
	v_mov_b32_e32 v9, v7
	v_lshlrev_b64 v[8:9], 3, v[8:9]
	v_mov_b32_e32 v6, s13
	v_add_co_u32_e32 v8, vcc, s12, v8
	v_addc_co_u32_e32 v9, vcc, v6, v9, vcc
	s_waitcnt lgkmcnt(0)
	global_store_dwordx2 v[8:9], v[10:11], off
.LBB61_83:                              ;   in Loop: Header=BB61_22 Depth=1
	s_or_b64 exec, exec, s[10:11]
	s_add_i32 s25, s25, 1
	ds_read_u8 v6, v7 offset:16386
	s_waitcnt lgkmcnt(0)
	v_cmp_eq_u32_e32 vcc, 0, v6
	s_cbranch_vccnz .LBB61_73
.LBB61_84:                              ;   in Loop: Header=BB61_22 Depth=1
	s_add_i32 s60, s25, s24
	s_ashr_i32 s61, s60, 31
	s_add_i32 s63, s62, 2
	s_lshl_b64 s[10:11], s[60:61], 2
	s_add_u32 s10, s26, s10
	s_addc_u32 s11, s27, s11
	v_mov_b32_e32 v6, s63
	global_store_dword v7, v6, s[10:11]
	s_and_saveexec_b64 s[10:11], s[40:41]
	s_cbranch_execz .LBB61_86
; %bb.85:                               ;   in Loop: Header=BB61_22 Depth=1
	s_mul_i32 s60, s60, s30
	v_add_u32_e32 v6, s60, v18
	v_mad_u64_u32 v[8:9], s[60:61], v6, s30, v[2:3]
	ds_read_b64 v[10:11], v17 offset:4096
	v_mov_b32_e32 v9, v7
	v_lshlrev_b64 v[8:9], 3, v[8:9]
	v_mov_b32_e32 v6, s13
	v_add_co_u32_e32 v8, vcc, s12, v8
	v_addc_co_u32_e32 v9, vcc, v6, v9, vcc
	s_waitcnt lgkmcnt(0)
	global_store_dwordx2 v[8:9], v[10:11], off
.LBB61_86:                              ;   in Loop: Header=BB61_22 Depth=1
	s_or_b64 exec, exec, s[10:11]
	s_add_i32 s25, s25, 1
	ds_read_u8 v6, v7 offset:16387
	s_waitcnt lgkmcnt(0)
	v_cmp_eq_u32_e32 vcc, 0, v6
	s_cbranch_vccnz .LBB61_74
.LBB61_87:                              ;   in Loop: Header=BB61_22 Depth=1
	s_add_i32 s60, s25, s24
	s_ashr_i32 s61, s60, 31
	s_add_i32 s63, s62, 3
	s_lshl_b64 s[10:11], s[60:61], 2
	s_add_u32 s10, s26, s10
	s_addc_u32 s11, s27, s11
	v_mov_b32_e32 v6, s63
	global_store_dword v7, v6, s[10:11]
	s_and_saveexec_b64 s[10:11], s[40:41]
	s_cbranch_execz .LBB61_89
; %bb.88:                               ;   in Loop: Header=BB61_22 Depth=1
	s_mul_i32 s60, s60, s30
	v_add_u32_e32 v6, s60, v18
	v_mad_u64_u32 v[8:9], s[60:61], v6, s30, v[2:3]
	ds_read_b64 v[10:11], v17 offset:6144
	v_mov_b32_e32 v9, v7
	v_lshlrev_b64 v[8:9], 3, v[8:9]
	v_mov_b32_e32 v6, s13
	v_add_co_u32_e32 v8, vcc, s12, v8
	v_addc_co_u32_e32 v9, vcc, v6, v9, vcc
	s_waitcnt lgkmcnt(0)
	global_store_dwordx2 v[8:9], v[10:11], off
.LBB61_89:                              ;   in Loop: Header=BB61_22 Depth=1
	s_or_b64 exec, exec, s[10:11]
	s_add_i32 s25, s25, 1
	ds_read_u8 v6, v7 offset:16388
	s_waitcnt lgkmcnt(0)
	v_cmp_eq_u32_e32 vcc, 0, v6
	s_cbranch_vccnz .LBB61_75
.LBB61_90:                              ;   in Loop: Header=BB61_22 Depth=1
	s_add_i32 s60, s25, s24
	s_ashr_i32 s61, s60, 31
	s_add_i32 s63, s62, 4
	s_lshl_b64 s[10:11], s[60:61], 2
	s_add_u32 s10, s26, s10
	s_addc_u32 s11, s27, s11
	v_mov_b32_e32 v6, s63
	global_store_dword v7, v6, s[10:11]
	s_and_saveexec_b64 s[10:11], s[40:41]
	s_cbranch_execz .LBB61_92
; %bb.91:                               ;   in Loop: Header=BB61_22 Depth=1
	s_mul_i32 s60, s60, s30
	v_add_u32_e32 v6, s60, v18
	v_mad_u64_u32 v[8:9], s[60:61], v6, s30, v[2:3]
	ds_read_b64 v[10:11], v16 offset:8192
	v_mov_b32_e32 v9, v7
	v_lshlrev_b64 v[8:9], 3, v[8:9]
	v_mov_b32_e32 v6, s13
	v_add_co_u32_e32 v8, vcc, s12, v8
	v_addc_co_u32_e32 v9, vcc, v6, v9, vcc
	s_waitcnt lgkmcnt(0)
	global_store_dwordx2 v[8:9], v[10:11], off
.LBB61_92:                              ;   in Loop: Header=BB61_22 Depth=1
	s_or_b64 exec, exec, s[10:11]
	s_add_i32 s25, s25, 1
	ds_read_u8 v6, v7 offset:16389
	s_waitcnt lgkmcnt(0)
	v_cmp_eq_u32_e32 vcc, 0, v6
	s_cbranch_vccnz .LBB61_76
.LBB61_93:                              ;   in Loop: Header=BB61_22 Depth=1
	s_add_i32 s60, s25, s24
	s_ashr_i32 s61, s60, 31
	s_add_i32 s63, s62, 5
	s_lshl_b64 s[10:11], s[60:61], 2
	s_add_u32 s10, s26, s10
	s_addc_u32 s11, s27, s11
	v_mov_b32_e32 v6, s63
	global_store_dword v7, v6, s[10:11]
	s_and_saveexec_b64 s[10:11], s[40:41]
	s_cbranch_execz .LBB61_95
; %bb.94:                               ;   in Loop: Header=BB61_22 Depth=1
	s_mul_i32 s60, s60, s30
	v_add_u32_e32 v6, s60, v18
	v_mad_u64_u32 v[8:9], s[60:61], v6, s30, v[2:3]
	ds_read_b64 v[10:11], v17 offset:10240
	v_mov_b32_e32 v9, v7
	v_lshlrev_b64 v[8:9], 3, v[8:9]
	v_mov_b32_e32 v6, s13
	v_add_co_u32_e32 v8, vcc, s12, v8
	v_addc_co_u32_e32 v9, vcc, v6, v9, vcc
	s_waitcnt lgkmcnt(0)
	global_store_dwordx2 v[8:9], v[10:11], off
.LBB61_95:                              ;   in Loop: Header=BB61_22 Depth=1
	s_or_b64 exec, exec, s[10:11]
	s_add_i32 s25, s25, 1
	ds_read_u8 v6, v7 offset:16390
	s_waitcnt lgkmcnt(0)
	v_cmp_eq_u32_e32 vcc, 0, v6
	s_cbranch_vccnz .LBB61_77
.LBB61_96:                              ;   in Loop: Header=BB61_22 Depth=1
	s_add_i32 s60, s25, s24
	s_ashr_i32 s61, s60, 31
	s_add_i32 s63, s62, 6
	s_lshl_b64 s[10:11], s[60:61], 2
	s_add_u32 s10, s26, s10
	s_addc_u32 s11, s27, s11
	v_mov_b32_e32 v6, s63
	global_store_dword v7, v6, s[10:11]
	s_and_saveexec_b64 s[10:11], s[40:41]
	s_cbranch_execz .LBB61_98
; %bb.97:                               ;   in Loop: Header=BB61_22 Depth=1
	s_mul_i32 s60, s60, s30
	v_add_u32_e32 v6, s60, v18
	v_mad_u64_u32 v[8:9], s[60:61], v6, s30, v[2:3]
	ds_read_b64 v[10:11], v17 offset:12288
	v_mov_b32_e32 v9, v7
	v_lshlrev_b64 v[8:9], 3, v[8:9]
	v_mov_b32_e32 v6, s13
	v_add_co_u32_e32 v8, vcc, s12, v8
	v_addc_co_u32_e32 v9, vcc, v6, v9, vcc
	s_waitcnt lgkmcnt(0)
	global_store_dwordx2 v[8:9], v[10:11], off
.LBB61_98:                              ;   in Loop: Header=BB61_22 Depth=1
	s_or_b64 exec, exec, s[10:11]
	s_add_i32 s25, s25, 1
	ds_read_u8 v6, v7 offset:16391
	s_waitcnt lgkmcnt(0)
	v_cmp_eq_u32_e32 vcc, 0, v6
	s_cbranch_vccnz .LBB61_21
.LBB61_99:                              ;   in Loop: Header=BB61_22 Depth=1
	s_add_i32 s60, s25, s24
	s_ashr_i32 s61, s60, 31
	s_add_i32 s62, s62, 7
	s_lshl_b64 s[10:11], s[60:61], 2
	s_add_u32 s10, s26, s10
	s_addc_u32 s11, s27, s11
	v_mov_b32_e32 v6, s62
	global_store_dword v7, v6, s[10:11]
	s_and_saveexec_b64 s[10:11], s[40:41]
	s_cbranch_execz .LBB61_20
; %bb.100:                              ;   in Loop: Header=BB61_22 Depth=1
	s_mul_i32 s60, s60, s30
	v_add_u32_e32 v6, s60, v18
	v_mad_u64_u32 v[8:9], s[60:61], v6, s30, v[2:3]
	ds_read_b64 v[10:11], v17 offset:14336
	v_mov_b32_e32 v9, v7
	v_lshlrev_b64 v[8:9], 3, v[8:9]
	v_mov_b32_e32 v6, s13
	v_add_co_u32_e32 v8, vcc, s12, v8
	v_addc_co_u32_e32 v9, vcc, v6, v9, vcc
	s_waitcnt lgkmcnt(0)
	global_store_dwordx2 v[8:9], v[10:11], off
	s_branch .LBB61_20
.LBB61_101:
	s_endpgm
	.section	.rodata,"a",@progbits
	.p2align	6, 0x0
	.amdhsa_kernel _ZN9rocsparseL31bsrgemm_block_per_row_multipassILj256ELj8ELj16Eii21rocsparse_complex_numIfEEEv20rocsparse_direction_T3_S4_PKS4_S6_NS_24const_host_device_scalarIT4_EEPKT2_S6_PKS8_SC_S6_SE_S9_SC_S6_SE_SC_PS4_PS8_PSA_21rocsparse_index_base_SI_SI_SI_bbb
		.amdhsa_group_segment_fixed_size 16392
		.amdhsa_private_segment_fixed_size 0
		.amdhsa_kernarg_size 172
		.amdhsa_user_sgpr_count 6
		.amdhsa_user_sgpr_private_segment_buffer 1
		.amdhsa_user_sgpr_dispatch_ptr 0
		.amdhsa_user_sgpr_queue_ptr 0
		.amdhsa_user_sgpr_kernarg_segment_ptr 1
		.amdhsa_user_sgpr_dispatch_id 0
		.amdhsa_user_sgpr_flat_scratch_init 0
		.amdhsa_user_sgpr_kernarg_preload_length 0
		.amdhsa_user_sgpr_kernarg_preload_offset 0
		.amdhsa_user_sgpr_private_segment_size 0
		.amdhsa_uses_dynamic_stack 0
		.amdhsa_system_sgpr_private_segment_wavefront_offset 0
		.amdhsa_system_sgpr_workgroup_id_x 1
		.amdhsa_system_sgpr_workgroup_id_y 0
		.amdhsa_system_sgpr_workgroup_id_z 0
		.amdhsa_system_sgpr_workgroup_info 0
		.amdhsa_system_vgpr_workitem_id 0
		.amdhsa_next_free_vgpr 31
		.amdhsa_next_free_sgpr 80
		.amdhsa_accum_offset 32
		.amdhsa_reserve_vcc 1
		.amdhsa_reserve_flat_scratch 0
		.amdhsa_float_round_mode_32 0
		.amdhsa_float_round_mode_16_64 0
		.amdhsa_float_denorm_mode_32 3
		.amdhsa_float_denorm_mode_16_64 3
		.amdhsa_dx10_clamp 1
		.amdhsa_ieee_mode 1
		.amdhsa_fp16_overflow 0
		.amdhsa_tg_split 0
		.amdhsa_exception_fp_ieee_invalid_op 0
		.amdhsa_exception_fp_denorm_src 0
		.amdhsa_exception_fp_ieee_div_zero 0
		.amdhsa_exception_fp_ieee_overflow 0
		.amdhsa_exception_fp_ieee_underflow 0
		.amdhsa_exception_fp_ieee_inexact 0
		.amdhsa_exception_int_div_zero 0
	.end_amdhsa_kernel
	.section	.text._ZN9rocsparseL31bsrgemm_block_per_row_multipassILj256ELj8ELj16Eii21rocsparse_complex_numIfEEEv20rocsparse_direction_T3_S4_PKS4_S6_NS_24const_host_device_scalarIT4_EEPKT2_S6_PKS8_SC_S6_SE_S9_SC_S6_SE_SC_PS4_PS8_PSA_21rocsparse_index_base_SI_SI_SI_bbb,"axG",@progbits,_ZN9rocsparseL31bsrgemm_block_per_row_multipassILj256ELj8ELj16Eii21rocsparse_complex_numIfEEEv20rocsparse_direction_T3_S4_PKS4_S6_NS_24const_host_device_scalarIT4_EEPKT2_S6_PKS8_SC_S6_SE_S9_SC_S6_SE_SC_PS4_PS8_PSA_21rocsparse_index_base_SI_SI_SI_bbb,comdat
.Lfunc_end61:
	.size	_ZN9rocsparseL31bsrgemm_block_per_row_multipassILj256ELj8ELj16Eii21rocsparse_complex_numIfEEEv20rocsparse_direction_T3_S4_PKS4_S6_NS_24const_host_device_scalarIT4_EEPKT2_S6_PKS8_SC_S6_SE_S9_SC_S6_SE_SC_PS4_PS8_PSA_21rocsparse_index_base_SI_SI_SI_bbb, .Lfunc_end61-_ZN9rocsparseL31bsrgemm_block_per_row_multipassILj256ELj8ELj16Eii21rocsparse_complex_numIfEEEv20rocsparse_direction_T3_S4_PKS4_S6_NS_24const_host_device_scalarIT4_EEPKT2_S6_PKS8_SC_S6_SE_S9_SC_S6_SE_SC_PS4_PS8_PSA_21rocsparse_index_base_SI_SI_SI_bbb
                                        ; -- End function
	.section	.AMDGPU.csdata,"",@progbits
; Kernel info:
; codeLenInByte = 3288
; NumSgprs: 84
; NumVgprs: 31
; NumAgprs: 0
; TotalNumVgprs: 31
; ScratchSize: 0
; MemoryBound: 0
; FloatMode: 240
; IeeeMode: 1
; LDSByteSize: 16392 bytes/workgroup (compile time only)
; SGPRBlocks: 10
; VGPRBlocks: 3
; NumSGPRsForWavesPerEU: 84
; NumVGPRsForWavesPerEU: 31
; AccumOffset: 32
; Occupancy: 3
; WaveLimiterHint : 1
; COMPUTE_PGM_RSRC2:SCRATCH_EN: 0
; COMPUTE_PGM_RSRC2:USER_SGPR: 6
; COMPUTE_PGM_RSRC2:TRAP_HANDLER: 0
; COMPUTE_PGM_RSRC2:TGID_X_EN: 1
; COMPUTE_PGM_RSRC2:TGID_Y_EN: 0
; COMPUTE_PGM_RSRC2:TGID_Z_EN: 0
; COMPUTE_PGM_RSRC2:TIDIG_COMP_CNT: 0
; COMPUTE_PGM_RSRC3_GFX90A:ACCUM_OFFSET: 7
; COMPUTE_PGM_RSRC3_GFX90A:TG_SPLIT: 0
	.section	.text._ZN9rocsparseL31bsrgemm_block_per_row_multipassILj256ELj2ELj32Eii21rocsparse_complex_numIfEEEv20rocsparse_direction_T3_S4_PKS4_S6_NS_24const_host_device_scalarIT4_EEPKT2_S6_PKS8_SC_S6_SE_S9_SC_S6_SE_SC_PS4_PS8_PSA_21rocsparse_index_base_SI_SI_SI_bbb,"axG",@progbits,_ZN9rocsparseL31bsrgemm_block_per_row_multipassILj256ELj2ELj32Eii21rocsparse_complex_numIfEEEv20rocsparse_direction_T3_S4_PKS4_S6_NS_24const_host_device_scalarIT4_EEPKT2_S6_PKS8_SC_S6_SE_S9_SC_S6_SE_SC_PS4_PS8_PSA_21rocsparse_index_base_SI_SI_SI_bbb,comdat
	.globl	_ZN9rocsparseL31bsrgemm_block_per_row_multipassILj256ELj2ELj32Eii21rocsparse_complex_numIfEEEv20rocsparse_direction_T3_S4_PKS4_S6_NS_24const_host_device_scalarIT4_EEPKT2_S6_PKS8_SC_S6_SE_S9_SC_S6_SE_SC_PS4_PS8_PSA_21rocsparse_index_base_SI_SI_SI_bbb ; -- Begin function _ZN9rocsparseL31bsrgemm_block_per_row_multipassILj256ELj2ELj32Eii21rocsparse_complex_numIfEEEv20rocsparse_direction_T3_S4_PKS4_S6_NS_24const_host_device_scalarIT4_EEPKT2_S6_PKS8_SC_S6_SE_S9_SC_S6_SE_SC_PS4_PS8_PSA_21rocsparse_index_base_SI_SI_SI_bbb
	.p2align	8
	.type	_ZN9rocsparseL31bsrgemm_block_per_row_multipassILj256ELj2ELj32Eii21rocsparse_complex_numIfEEEv20rocsparse_direction_T3_S4_PKS4_S6_NS_24const_host_device_scalarIT4_EEPKT2_S6_PKS8_SC_S6_SE_S9_SC_S6_SE_SC_PS4_PS8_PSA_21rocsparse_index_base_SI_SI_SI_bbb,@function
_ZN9rocsparseL31bsrgemm_block_per_row_multipassILj256ELj2ELj32Eii21rocsparse_complex_numIfEEEv20rocsparse_direction_T3_S4_PKS4_S6_NS_24const_host_device_scalarIT4_EEPKT2_S6_PKS8_SC_S6_SE_S9_SC_S6_SE_SC_PS4_PS8_PSA_21rocsparse_index_base_SI_SI_SI_bbb: ; @_ZN9rocsparseL31bsrgemm_block_per_row_multipassILj256ELj2ELj32Eii21rocsparse_complex_numIfEEEv20rocsparse_direction_T3_S4_PKS4_S6_NS_24const_host_device_scalarIT4_EEPKT2_S6_PKS8_SC_S6_SE_S9_SC_S6_SE_SC_PS4_PS8_PSA_21rocsparse_index_base_SI_SI_SI_bbb
; %bb.0:
	s_load_dwordx8 s[12:19], s[4:5], 0x88
	s_load_dword s7, s[4:5], 0xa8
	s_load_dwordx8 s[20:27], s[4:5], 0x68
	s_load_dwordx8 s[36:43], s[4:5], 0x48
	s_load_dwordx4 s[8:11], s[4:5], 0x10
	s_load_dwordx8 s[44:51], s[4:5], 0x28
	s_waitcnt lgkmcnt(0)
	s_bitcmp1_b32 s7, 0
	s_cselect_b64 s[70:71], -1, 0
	s_bitcmp1_b32 s7, 16
	s_cselect_b64 s[0:1], -1, 0
	s_xor_b64 s[0:1], s[0:1], -1
	s_mov_b32 s35, 0
	v_cndmask_b32_e64 v1, 0, 1, s[0:1]
	s_bitcmp0_b32 s7, 0
	v_cmp_ne_u32_e64 s[0:1], 1, v1
	s_mov_b32 s34, s35
	s_cbranch_scc1 .LBB62_6
; %bb.1:
	s_load_dwordx2 s[2:3], s[4:5], 0x20
	s_and_b64 vcc, exec, s[0:1]
	s_waitcnt lgkmcnt(0)
	s_mov_b32 s34, s2
	s_cbranch_vccnz .LBB62_3
; %bb.2:
	s_load_dword s34, s[2:3], 0x0
.LBB62_3:
	s_and_b64 vcc, exec, s[0:1]
	s_cbranch_vccnz .LBB62_5
; %bb.4:
	s_load_dword s3, s[2:3], 0x4
.LBB62_5:
	s_waitcnt lgkmcnt(0)
	s_mov_b32 s35, s3
.LBB62_6:
	s_bitcmp1_b32 s7, 8
	s_mov_b32 s55, 0
	s_cselect_b64 s[52:53], -1, 0
	s_bfe_u32 s2, s7, 0x10008
	s_cmp_eq_u32 s2, 0
	s_mov_b32 s54, s55
	s_cbranch_scc1 .LBB62_12
; %bb.7:
	s_and_b64 vcc, exec, s[0:1]
	s_mov_b32 s54, s40
	s_cbranch_vccnz .LBB62_9
; %bb.8:
	s_load_dword s54, s[40:41], 0x0
.LBB62_9:
	s_and_b64 vcc, exec, s[0:1]
	s_cbranch_vccnz .LBB62_11
; %bb.10:
	s_load_dword s41, s[40:41], 0x4
.LBB62_11:
	s_waitcnt lgkmcnt(0)
	s_mov_b32 s55, s41
.LBB62_12:
	s_cmp_eq_u64 s[10:11], 0
	s_cbranch_scc1 .LBB62_14
; %bb.13:
	s_load_dword s0, s[8:9], 0x0
	s_mov_b32 s1, 0
	s_waitcnt lgkmcnt(0)
	s_add_i32 s0, s0, s6
	s_lshl_b64 s[0:1], s[0:1], 2
	s_add_u32 s0, s10, s0
	s_addc_u32 s1, s11, s1
	s_load_dword s6, s[0:1], 0x0
.LBB62_14:
	v_cndmask_b32_e64 v1, 0, 1, s[70:71]
	s_mov_b32 s33, 0
	v_cmp_ne_u32_e64 s[0:1], 1, v1
	s_andn2_b64 vcc, exec, s[70:71]
	s_mov_b32 s82, 0
	s_cbranch_vccz .LBB62_17
; %bb.15:
	s_and_b64 vcc, exec, s[0:1]
	s_cbranch_vccz .LBB62_18
.LBB62_16:
	s_load_dwordx4 s[28:31], s[4:5], 0x0
	s_waitcnt lgkmcnt(0)
	s_cmp_lt_i32 s29, 1
	s_cbranch_scc0 .LBB62_19
	s_branch .LBB62_176
.LBB62_17:
	s_waitcnt lgkmcnt(0)
	s_ashr_i32 s7, s6, 31
	s_lshl_b64 s[2:3], s[6:7], 2
	s_add_u32 s2, s44, s2
	s_addc_u32 s3, s45, s3
	s_load_dword s2, s[2:3], 0x0
	s_waitcnt lgkmcnt(0)
	s_sub_i32 s82, s2, s16
	s_and_b64 vcc, exec, s[0:1]
	s_cbranch_vccnz .LBB62_16
.LBB62_18:
	s_waitcnt lgkmcnt(0)
	s_ashr_i32 s7, s6, 31
	s_lshl_b64 s[0:1], s[6:7], 2
	s_add_u32 s0, s44, s0
	s_addc_u32 s1, s45, s1
	s_load_dword s0, s[0:1], 0x4
	s_waitcnt lgkmcnt(0)
	s_sub_i32 s33, s0, s16
	s_load_dwordx4 s[28:31], s[4:5], 0x0
	s_waitcnt lgkmcnt(0)
	s_cmp_lt_i32 s29, 1
	s_cbranch_scc1 .LBB62_176
.LBB62_19:
	s_ashr_i32 s7, s6, 31
	s_lshl_b64 s[2:3], s[6:7], 2
	s_add_u32 s0, s24, s2
	s_addc_u32 s1, s25, s3
	s_load_dword s4, s[0:1], 0x0
	v_lshrrev_b32_e32 v2, 3, v0
	v_and_b32_e32 v1, 7, v0
	v_lshlrev_b32_e32 v3, 5, v2
	v_cmp_gt_i32_e32 vcc, s30, v2
	s_waitcnt lgkmcnt(0)
	s_sub_i32 s24, s4, s18
	s_cmp_lt_i32 s82, s33
	s_cselect_b64 s[8:9], -1, 0
	s_cmp_lg_u32 s28, 0
	s_cselect_b64 s[40:41], -1, 0
	s_cmp_gt_i32 s30, 0
	s_cselect_b64 s[44:45], -1, 0
	s_xor_b32 s56, s35, 0x80000000
	s_add_u32 s42, s42, s2
	s_addc_u32 s43, s43, s3
	v_cmp_gt_u32_e64 s[2:3], s30, v1
	v_or_b32_e32 v16, 8, v1
	v_or_b32_e32 v4, v3, v1
	s_and_b64 s[60:61], vcc, s[2:3]
	v_cmp_gt_u32_e64 s[2:3], s30, v16
	v_or_b32_e32 v17, 16, v1
	v_lshlrev_b32_e32 v19, 3, v4
	v_or_b32_e32 v4, v3, v16
	s_mul_i32 s28, s30, s30
	s_and_b64 s[62:63], vcc, s[2:3]
	v_cmp_gt_u32_e64 s[2:3], s30, v17
	v_or_b32_e32 v18, 24, v1
	v_lshlrev_b32_e32 v20, 3, v4
	v_or_b32_e32 v4, v3, v17
	s_and_b64 s[64:65], vcc, s[2:3]
	v_cmp_gt_u32_e64 s[2:3], s30, v18
	v_lshlrev_b32_e32 v21, 3, v4
	v_or_b32_e32 v4, v3, v18
	s_mul_i32 s10, s82, s28
	s_mov_b32 s68, 0
	s_xor_b32 s58, s55, 0x80000000
	s_and_b64 s[66:67], vcc, s[2:3]
	v_lshlrev_b32_e32 v22, 3, v4
	v_or_b32_e32 v4, 0x400, v0
	s_movk_i32 s2, 0x700
	s_and_b64 s[8:9], s[70:71], s[8:9]
	v_add_u32_e32 v24, s10, v2
	s_mul_i32 s10, s82, s30
	v_cmp_gt_u32_e64 s[2:3], s2, v4
	s_movk_i32 s4, 0x200
	s_movk_i32 s6, 0x100
	s_add_u32 s31, s50, 4
	v_add_u32_e32 v4, s10, v2
	s_mov_b32 s69, s68
	v_cndmask_b32_e64 v6, 0, 1, s[8:9]
	s_mov_b32 s25, 2
	v_cmp_gt_u32_e64 s[0:1], 2, v0
	v_lshlrev_b32_e32 v23, 3, v0
	v_cmp_gt_u32_e64 s[4:5], s4, v0
	v_cmp_gt_u32_e64 s[6:7], s6, v0
	s_mov_b32 s57, s34
	s_mov_b32 s59, s54
	s_addc_u32 s83, s51, 0
	v_mul_lo_u32 v25, s30, v4
	s_sub_i32 s84, 1, s19
	v_pk_mov_b32 v[4:5], s[68:69], s[68:69] op_sel:[0,1]
	v_cmp_ne_u32_e64 s[8:9], 1, v6
	v_mov_b32_e32 v7, 0
	v_cndmask_b32_e64 v26, 0, 1, s[40:41]
	v_cndmask_b32_e64 v27, 0, 1, s[44:45]
	v_mov_b32_e32 v28, 1
	s_branch .LBB62_23
.LBB62_20:                              ;   in Loop: Header=BB62_23 Depth=1
	ds_read_b64 v[10:11], v22 offset:8192
	v_lshlrev_b64 v[8:9], 3, v[6:7]
	v_mov_b32_e32 v6, s13
	v_add_co_u32_e32 v8, vcc, s12, v8
	v_addc_co_u32_e32 v9, vcc, v6, v9, vcc
	s_waitcnt lgkmcnt(0)
	global_store_dwordx2 v[8:9], v[10:11], off
.LBB62_21:                              ;   in Loop: Header=BB62_23 Depth=1
	s_or_b64 exec, exec, s[68:69]
	s_add_i32 s25, s25, 1
.LBB62_22:                              ;   in Loop: Header=BB62_23 Depth=1
	s_min_i32 s68, s77, s29
	s_add_i32 s24, s25, s24
	s_add_i32 s25, s68, 2
	s_cmp_lt_i32 s77, s29
	s_barrier
	s_barrier
	s_cbranch_scc0 .LBB62_176
.LBB62_23:                              ; =>This Loop Header: Depth=1
                                        ;     Child Loop BB62_33 Depth 2
                                        ;       Child Loop BB62_38 Depth 3
                                        ;         Child Loop BB62_50 Depth 4
                                        ;         Child Loop BB62_55 Depth 4
	;; [unrolled: 1-line block ×8, first 2 shown]
                                        ;     Child Loop BB62_100 Depth 2
	s_and_saveexec_b64 s[10:11], s[0:1]
	s_cbranch_execz .LBB62_25
; %bb.24:                               ;   in Loop: Header=BB62_23 Depth=1
	ds_write_b8 v0, v7 offset:16384
.LBB62_25:                              ;   in Loop: Header=BB62_23 Depth=1
	s_or_b64 exec, exec, s[10:11]
	ds_write2st64_b64 v23, v[4:5], v[4:5] offset1:4
	ds_write2st64_b64 v23, v[4:5], v[4:5] offset0:8 offset1:12
	ds_write_b64 v23, v[4:5] offset:8192
	s_and_saveexec_b64 s[10:11], s[2:3]
	s_xor_b64 s[10:11], exec, s[10:11]
	s_cbranch_execz .LBB62_31
; %bb.26:                               ;   in Loop: Header=BB62_23 Depth=1
	v_mov_b32_e32 v6, v7
	ds_write_b64 v23, v[6:7] offset:10240
	s_and_saveexec_b64 s[70:71], s[4:5]
	s_xor_b64 s[70:71], exec, s[70:71]
	s_cbranch_execz .LBB62_30
; %bb.27:                               ;   in Loop: Header=BB62_23 Depth=1
	ds_write_b64 v23, v[6:7] offset:12288
	s_and_saveexec_b64 s[72:73], s[6:7]
	s_xor_b64 s[72:73], exec, s[72:73]
	s_cbranch_execz .LBB62_29
; %bb.28:                               ;   in Loop: Header=BB62_23 Depth=1
	v_mov_b32_e32 v6, v7
	ds_write_b64 v23, v[6:7] offset:14336
.LBB62_29:                              ;   in Loop: Header=BB62_23 Depth=1
	s_or_b64 exec, exec, s[72:73]
.LBB62_30:                              ;   in Loop: Header=BB62_23 Depth=1
	s_or_b64 exec, exec, s[70:71]
.LBB62_31:                              ;   in Loop: Header=BB62_23 Depth=1
	s_or_b64 exec, exec, s[10:11]
	s_and_b64 vcc, exec, s[8:9]
	s_mov_b32 s77, s29
	s_waitcnt lgkmcnt(0)
	s_barrier
	s_cbranch_vccnz .LBB62_94
; %bb.32:                               ;   in Loop: Header=BB62_23 Depth=1
	s_cmp_lg_u32 s68, 0
	s_cselect_b64 s[70:71], -1, 0
	v_mov_b32_e32 v8, v25
	v_mov_b32_e32 v29, v24
	s_mov_b32 s69, s29
	s_mov_b32 s72, s82
.LBB62_33:                              ;   Parent Loop BB62_23 Depth=1
                                        ; =>  This Loop Header: Depth=2
                                        ;       Child Loop BB62_38 Depth 3
                                        ;         Child Loop BB62_50 Depth 4
                                        ;         Child Loop BB62_55 Depth 4
	;; [unrolled: 1-line block ×8, first 2 shown]
	s_ashr_i32 s73, s72, 31
	s_lshl_b64 s[74:75], s[72:73], 2
	s_add_u32 s10, s46, s74
	s_addc_u32 s11, s47, s75
	s_load_dword s10, s[10:11], 0x0
	s_and_b64 vcc, exec, s[70:71]
	s_waitcnt lgkmcnt(0)
	s_sub_i32 s10, s10, s16
	s_cbranch_vccz .LBB62_93
; %bb.34:                               ;   in Loop: Header=BB62_33 Depth=2
	s_add_u32 s76, s14, s74
	s_addc_u32 s77, s15, s75
	global_load_dword v6, v7, s[76:77]
	s_ashr_i32 s11, s10, 31
	s_waitcnt vmcnt(0)
	v_readfirstlane_b32 s73, v6
	s_cbranch_execnz .LBB62_36
.LBB62_35:                              ;   in Loop: Header=BB62_33 Depth=2
	s_ashr_i32 s11, s10, 31
	s_lshl_b64 s[76:77], s[10:11], 2
	s_add_u32 s76, s50, s76
	s_addc_u32 s77, s51, s77
	s_load_dword s73, s[76:77], 0x0
	s_waitcnt lgkmcnt(0)
	s_sub_i32 s73, s73, s17
.LBB62_36:                              ;   in Loop: Header=BB62_33 Depth=2
	s_lshl_b64 s[10:11], s[10:11], 2
	s_add_u32 s10, s31, s10
	s_addc_u32 s11, s83, s11
	s_load_dword s10, s[10:11], 0x0
	s_waitcnt lgkmcnt(0)
	s_sub_i32 s85, s10, s17
	s_cmp_ge_i32 s73, s85
	s_cbranch_scc1 .LBB62_90
; %bb.37:                               ;   in Loop: Header=BB62_33 Depth=2
	v_ashrrev_i32_e32 v9, 31, v8
	v_lshlrev_b64 v[10:11], 3, v[8:9]
	v_mov_b32_e32 v6, s49
	v_add_co_u32_e32 v10, vcc, s48, v10
	s_mul_i32 s10, s30, s73
	v_addc_co_u32_e32 v11, vcc, v6, v11, vcc
	v_add_u32_e32 v6, s10, v1
	v_mul_lo_u32 v9, s30, v6
	v_add_u32_e32 v6, s10, v16
	v_mul_lo_u32 v31, s30, v6
	v_add_u32_e32 v6, s10, v17
	s_mul_i32 s11, s28, s73
	v_mul_lo_u32 v33, s30, v6
	v_add_u32_e32 v6, s10, v18
	v_add_u32_e32 v30, s11, v1
	;; [unrolled: 1-line block ×4, first 2 shown]
	v_mul_lo_u32 v35, s30, v6
	v_add_u32_e32 v36, s11, v18
	s_mov_b32 s76, s73
.LBB62_38:                              ;   Parent Loop BB62_23 Depth=1
                                        ;     Parent Loop BB62_33 Depth=2
                                        ; =>    This Loop Header: Depth=3
                                        ;         Child Loop BB62_50 Depth 4
                                        ;         Child Loop BB62_55 Depth 4
	;; [unrolled: 1-line block ×8, first 2 shown]
	s_ashr_i32 s77, s76, 31
	s_lshl_b64 s[10:11], s[76:77], 2
	s_add_u32 s10, s36, s10
	s_addc_u32 s11, s37, s11
	s_load_dword s10, s[10:11], 0x0
	s_mov_b64 s[78:79], -1
                                        ; implicit-def: $sgpr77
                                        ; implicit-def: $sgpr86
	s_waitcnt lgkmcnt(0)
	s_sub_i32 s87, s10, s17
	s_cmp_lt_i32 s87, s68
	s_cselect_b64 s[10:11], -1, 0
	s_cmp_ge_i32 s87, s25
	s_cselect_b64 s[80:81], -1, 0
	s_or_b64 s[10:11], s[10:11], s[80:81]
	s_and_b64 vcc, exec, s[10:11]
                                        ; implicit-def: $sgpr10_sgpr11
	s_cbranch_vccz .LBB62_42
; %bb.39:                               ;   in Loop: Header=BB62_38 Depth=3
	s_mov_b64 s[10:11], -1
	s_andn2_b64 vcc, exec, s[80:81]
	s_mov_b32 s77, s69
	s_mov_b32 s86, s73
	s_cbranch_vccnz .LBB62_41
; %bb.40:                               ;   in Loop: Header=BB62_38 Depth=3
	s_min_i32 s77, s87, s69
	s_mov_b64 s[10:11], 0
	s_mov_b32 s86, s76
.LBB62_41:                              ;   in Loop: Header=BB62_38 Depth=3
	s_mov_b64 s[78:79], 0
.LBB62_42:                              ;   in Loop: Header=BB62_38 Depth=3
	s_andn2_b64 vcc, exec, s[78:79]
	s_cbranch_vccnz .LBB62_88
; %bb.43:                               ;   in Loop: Header=BB62_38 Depth=3
	s_sub_i32 s10, s87, s68
	v_mov_b32_e32 v6, s10
	v_lshl_or_b32 v37, s10, 10, v3
	ds_write_b8 v6, v28 offset:16384
	s_and_saveexec_b64 s[10:11], s[60:61]
	s_cbranch_execnz .LBB62_47
; %bb.44:                               ;   in Loop: Header=BB62_38 Depth=3
	s_or_b64 exec, exec, s[10:11]
	s_and_saveexec_b64 s[10:11], s[62:63]
	s_cbranch_execnz .LBB62_57
.LBB62_45:                              ;   in Loop: Header=BB62_38 Depth=3
	s_or_b64 exec, exec, s[10:11]
	s_and_saveexec_b64 s[10:11], s[64:65]
	s_cbranch_execnz .LBB62_67
.LBB62_46:                              ;   in Loop: Header=BB62_38 Depth=3
	s_or_b64 exec, exec, s[10:11]
	s_and_saveexec_b64 s[78:79], s[66:67]
	s_cbranch_execnz .LBB62_77
	s_branch .LBB62_87
.LBB62_47:                              ;   in Loop: Header=BB62_38 Depth=3
	s_andn2_b64 vcc, exec, s[40:41]
	s_cbranch_vccnz .LBB62_52
; %bb.48:                               ;   in Loop: Header=BB62_38 Depth=3
	v_mov_b32_e32 v13, 0
	s_andn2_b64 vcc, exec, s[44:45]
	v_mov_b32_e32 v12, v13
	s_cbranch_vccnz .LBB62_51
; %bb.49:                               ;   in Loop: Header=BB62_38 Depth=3
	v_mov_b32_e32 v12, 0
	s_mov_b32 s77, 0
	v_mov_b32_e32 v14, v29
	v_mov_b32_e32 v13, v12
.LBB62_50:                              ;   Parent Loop BB62_23 Depth=1
                                        ;     Parent Loop BB62_33 Depth=2
                                        ;       Parent Loop BB62_38 Depth=3
                                        ; =>      This Inner Loop Header: Depth=4
	v_ashrrev_i32_e32 v15, 31, v14
	v_lshlrev_b64 v[38:39], 3, v[14:15]
	v_mov_b32_e32 v42, s49
	v_add_u32_e32 v6, s77, v9
	v_add_co_u32_e32 v38, vcc, s48, v38
	v_lshlrev_b64 v[40:41], 3, v[6:7]
	v_addc_co_u32_e32 v39, vcc, v42, v39, vcc
	v_mov_b32_e32 v43, s39
	v_add_co_u32_e32 v40, vcc, s38, v40
	v_addc_co_u32_e32 v41, vcc, v43, v41, vcc
	global_load_dwordx2 v[40:41], v[40:41], off
	s_nop 0
	global_load_dwordx2 v[38:39], v[38:39], off
	s_add_i32 s77, s77, 1
	v_add_u32_e32 v14, s30, v14
	s_cmp_lg_u32 s30, s77
	s_waitcnt vmcnt(0)
	v_pk_fma_f32 v[12:13], v[38:39], v[40:41], v[12:13] op_sel_hi:[1,0,1]
	v_pk_fma_f32 v[12:13], v[38:39], v[40:41], v[12:13] op_sel:[1,1,0] op_sel_hi:[0,1,1] neg_lo:[1,0,0]
	s_cbranch_scc1 .LBB62_50
.LBB62_51:                              ;   in Loop: Header=BB62_38 Depth=3
	s_cbranch_execz .LBB62_53
	s_branch .LBB62_56
.LBB62_52:                              ;   in Loop: Header=BB62_38 Depth=3
                                        ; implicit-def: $vgpr13
.LBB62_53:                              ;   in Loop: Header=BB62_38 Depth=3
	v_mov_b32_e32 v13, 0
	s_andn2_b64 vcc, exec, s[44:45]
	v_mov_b32_e32 v12, v13
	s_cbranch_vccnz .LBB62_56
; %bb.54:                               ;   in Loop: Header=BB62_38 Depth=3
	v_mov_b32_e32 v12, 0
	v_pk_mov_b32 v[14:15], v[10:11], v[10:11] op_sel:[0,1]
	v_mov_b32_e32 v6, v30
	s_mov_b32 s77, s30
	v_mov_b32_e32 v13, v12
.LBB62_55:                              ;   Parent Loop BB62_23 Depth=1
                                        ;     Parent Loop BB62_33 Depth=2
                                        ;       Parent Loop BB62_38 Depth=3
                                        ; =>      This Inner Loop Header: Depth=4
	v_lshlrev_b64 v[38:39], 3, v[6:7]
	v_mov_b32_e32 v42, s39
	v_add_co_u32_e32 v38, vcc, s38, v38
	v_addc_co_u32_e32 v39, vcc, v42, v39, vcc
	global_load_dwordx2 v[40:41], v[14:15], off
	s_add_i32 s77, s77, -1
	global_load_dwordx2 v[38:39], v[38:39], off
	v_add_co_u32_e32 v14, vcc, 8, v14
	v_add_u32_e32 v6, s30, v6
	v_addc_co_u32_e32 v15, vcc, 0, v15, vcc
	s_cmp_eq_u32 s77, 0
	s_waitcnt vmcnt(0)
	v_pk_fma_f32 v[12:13], v[40:41], v[38:39], v[12:13] op_sel_hi:[1,0,1]
	v_pk_fma_f32 v[12:13], v[40:41], v[38:39], v[12:13] op_sel:[1,1,0] op_sel_hi:[0,1,1] neg_lo:[1,0,0]
	s_cbranch_scc0 .LBB62_55
.LBB62_56:                              ;   in Loop: Header=BB62_38 Depth=3
	v_or_b32_e32 v6, v37, v1
	v_lshlrev_b32_e32 v38, 3, v6
	ds_read_b64 v[14:15], v38
	v_mov_b32_e32 v6, v13
	s_waitcnt lgkmcnt(0)
	v_pk_fma_f32 v[14:15], s[34:35], v[12:13], v[14:15] op_sel_hi:[1,0,1]
	v_pk_fma_f32 v[12:13], s[56:57], v[6:7], v[14:15] op_sel_hi:[1,0,1]
	ds_write_b64 v38, v[12:13]
	s_or_b64 exec, exec, s[10:11]
	s_and_saveexec_b64 s[10:11], s[62:63]
	s_cbranch_execz .LBB62_45
.LBB62_57:                              ;   in Loop: Header=BB62_38 Depth=3
	s_andn2_b64 vcc, exec, s[40:41]
	s_cbranch_vccnz .LBB62_62
; %bb.58:                               ;   in Loop: Header=BB62_38 Depth=3
	v_mov_b32_e32 v13, 0
	s_andn2_b64 vcc, exec, s[44:45]
	v_mov_b32_e32 v12, v13
	s_cbranch_vccnz .LBB62_61
; %bb.59:                               ;   in Loop: Header=BB62_38 Depth=3
	v_mov_b32_e32 v12, 0
	s_mov_b32 s77, 0
	v_mov_b32_e32 v14, v29
	v_mov_b32_e32 v13, v12
.LBB62_60:                              ;   Parent Loop BB62_23 Depth=1
                                        ;     Parent Loop BB62_33 Depth=2
                                        ;       Parent Loop BB62_38 Depth=3
                                        ; =>      This Inner Loop Header: Depth=4
	v_ashrrev_i32_e32 v15, 31, v14
	v_lshlrev_b64 v[38:39], 3, v[14:15]
	v_mov_b32_e32 v42, s49
	v_add_u32_e32 v6, s77, v31
	v_add_co_u32_e32 v38, vcc, s48, v38
	v_lshlrev_b64 v[40:41], 3, v[6:7]
	v_addc_co_u32_e32 v39, vcc, v42, v39, vcc
	v_mov_b32_e32 v43, s39
	v_add_co_u32_e32 v40, vcc, s38, v40
	v_addc_co_u32_e32 v41, vcc, v43, v41, vcc
	global_load_dwordx2 v[40:41], v[40:41], off
	s_nop 0
	global_load_dwordx2 v[38:39], v[38:39], off
	s_add_i32 s77, s77, 1
	v_add_u32_e32 v14, s30, v14
	s_cmp_eq_u32 s30, s77
	s_waitcnt vmcnt(0)
	v_pk_fma_f32 v[12:13], v[38:39], v[40:41], v[12:13] op_sel_hi:[1,0,1]
	v_pk_fma_f32 v[12:13], v[38:39], v[40:41], v[12:13] op_sel:[1,1,0] op_sel_hi:[0,1,1] neg_lo:[1,0,0]
	s_cbranch_scc0 .LBB62_60
.LBB62_61:                              ;   in Loop: Header=BB62_38 Depth=3
	s_cbranch_execz .LBB62_63
	s_branch .LBB62_66
.LBB62_62:                              ;   in Loop: Header=BB62_38 Depth=3
                                        ; implicit-def: $vgpr13
.LBB62_63:                              ;   in Loop: Header=BB62_38 Depth=3
	v_mov_b32_e32 v13, 0
	s_andn2_b64 vcc, exec, s[44:45]
	v_mov_b32_e32 v12, v13
	s_cbranch_vccnz .LBB62_66
; %bb.64:                               ;   in Loop: Header=BB62_38 Depth=3
	v_mov_b32_e32 v12, 0
	v_pk_mov_b32 v[14:15], v[10:11], v[10:11] op_sel:[0,1]
	v_mov_b32_e32 v6, v32
	s_mov_b32 s77, s30
	v_mov_b32_e32 v13, v12
.LBB62_65:                              ;   Parent Loop BB62_23 Depth=1
                                        ;     Parent Loop BB62_33 Depth=2
                                        ;       Parent Loop BB62_38 Depth=3
                                        ; =>      This Inner Loop Header: Depth=4
	v_lshlrev_b64 v[38:39], 3, v[6:7]
	v_mov_b32_e32 v42, s39
	v_add_co_u32_e32 v38, vcc, s38, v38
	v_addc_co_u32_e32 v39, vcc, v42, v39, vcc
	global_load_dwordx2 v[40:41], v[14:15], off
	s_add_i32 s77, s77, -1
	global_load_dwordx2 v[38:39], v[38:39], off
	v_add_co_u32_e32 v14, vcc, 8, v14
	v_add_u32_e32 v6, s30, v6
	v_addc_co_u32_e32 v15, vcc, 0, v15, vcc
	s_cmp_eq_u32 s77, 0
	s_waitcnt vmcnt(0)
	v_pk_fma_f32 v[12:13], v[40:41], v[38:39], v[12:13] op_sel_hi:[1,0,1]
	v_pk_fma_f32 v[12:13], v[40:41], v[38:39], v[12:13] op_sel:[1,1,0] op_sel_hi:[0,1,1] neg_lo:[1,0,0]
	s_cbranch_scc0 .LBB62_65
.LBB62_66:                              ;   in Loop: Header=BB62_38 Depth=3
	v_add_lshl_u32 v38, v37, v1, 3
	ds_read_b64 v[14:15], v38 offset:64
	v_mov_b32_e32 v6, v13
	s_waitcnt lgkmcnt(0)
	v_pk_fma_f32 v[14:15], s[34:35], v[12:13], v[14:15] op_sel_hi:[1,0,1]
	v_pk_fma_f32 v[12:13], s[56:57], v[6:7], v[14:15] op_sel_hi:[1,0,1]
	ds_write_b64 v38, v[12:13] offset:64
	s_or_b64 exec, exec, s[10:11]
	s_and_saveexec_b64 s[10:11], s[64:65]
	s_cbranch_execz .LBB62_46
.LBB62_67:                              ;   in Loop: Header=BB62_38 Depth=3
	s_andn2_b64 vcc, exec, s[40:41]
	s_cbranch_vccnz .LBB62_72
; %bb.68:                               ;   in Loop: Header=BB62_38 Depth=3
	v_mov_b32_e32 v13, 0
	s_andn2_b64 vcc, exec, s[44:45]
	v_mov_b32_e32 v12, v13
	s_cbranch_vccnz .LBB62_71
; %bb.69:                               ;   in Loop: Header=BB62_38 Depth=3
	v_mov_b32_e32 v12, 0
	s_mov_b32 s77, 0
	v_mov_b32_e32 v14, v29
	v_mov_b32_e32 v13, v12
.LBB62_70:                              ;   Parent Loop BB62_23 Depth=1
                                        ;     Parent Loop BB62_33 Depth=2
                                        ;       Parent Loop BB62_38 Depth=3
                                        ; =>      This Inner Loop Header: Depth=4
	v_ashrrev_i32_e32 v15, 31, v14
	v_lshlrev_b64 v[38:39], 3, v[14:15]
	v_mov_b32_e32 v42, s49
	v_add_u32_e32 v6, s77, v33
	v_add_co_u32_e32 v38, vcc, s48, v38
	v_lshlrev_b64 v[40:41], 3, v[6:7]
	v_addc_co_u32_e32 v39, vcc, v42, v39, vcc
	v_mov_b32_e32 v43, s39
	v_add_co_u32_e32 v40, vcc, s38, v40
	v_addc_co_u32_e32 v41, vcc, v43, v41, vcc
	global_load_dwordx2 v[40:41], v[40:41], off
	s_nop 0
	global_load_dwordx2 v[38:39], v[38:39], off
	s_add_i32 s77, s77, 1
	v_add_u32_e32 v14, s30, v14
	s_cmp_eq_u32 s30, s77
	s_waitcnt vmcnt(0)
	v_pk_fma_f32 v[12:13], v[38:39], v[40:41], v[12:13] op_sel_hi:[1,0,1]
	v_pk_fma_f32 v[12:13], v[38:39], v[40:41], v[12:13] op_sel:[1,1,0] op_sel_hi:[0,1,1] neg_lo:[1,0,0]
	s_cbranch_scc0 .LBB62_70
.LBB62_71:                              ;   in Loop: Header=BB62_38 Depth=3
	s_cbranch_execz .LBB62_73
	s_branch .LBB62_76
.LBB62_72:                              ;   in Loop: Header=BB62_38 Depth=3
                                        ; implicit-def: $vgpr13
.LBB62_73:                              ;   in Loop: Header=BB62_38 Depth=3
	v_mov_b32_e32 v13, 0
	s_andn2_b64 vcc, exec, s[44:45]
	v_mov_b32_e32 v12, v13
	s_cbranch_vccnz .LBB62_76
; %bb.74:                               ;   in Loop: Header=BB62_38 Depth=3
	v_mov_b32_e32 v12, 0
	v_pk_mov_b32 v[14:15], v[10:11], v[10:11] op_sel:[0,1]
	v_mov_b32_e32 v6, v34
	s_mov_b32 s77, s30
	v_mov_b32_e32 v13, v12
.LBB62_75:                              ;   Parent Loop BB62_23 Depth=1
                                        ;     Parent Loop BB62_33 Depth=2
                                        ;       Parent Loop BB62_38 Depth=3
                                        ; =>      This Inner Loop Header: Depth=4
	v_lshlrev_b64 v[38:39], 3, v[6:7]
	v_mov_b32_e32 v42, s39
	v_add_co_u32_e32 v38, vcc, s38, v38
	v_addc_co_u32_e32 v39, vcc, v42, v39, vcc
	global_load_dwordx2 v[40:41], v[14:15], off
	s_add_i32 s77, s77, -1
	global_load_dwordx2 v[38:39], v[38:39], off
	v_add_co_u32_e32 v14, vcc, 8, v14
	v_add_u32_e32 v6, s30, v6
	v_addc_co_u32_e32 v15, vcc, 0, v15, vcc
	s_cmp_eq_u32 s77, 0
	s_waitcnt vmcnt(0)
	v_pk_fma_f32 v[12:13], v[40:41], v[38:39], v[12:13] op_sel_hi:[1,0,1]
	v_pk_fma_f32 v[12:13], v[40:41], v[38:39], v[12:13] op_sel:[1,1,0] op_sel_hi:[0,1,1] neg_lo:[1,0,0]
	s_cbranch_scc0 .LBB62_75
.LBB62_76:                              ;   in Loop: Header=BB62_38 Depth=3
	v_add_lshl_u32 v38, v37, v1, 3
	ds_read_b64 v[14:15], v38 offset:128
	v_mov_b32_e32 v6, v13
	s_waitcnt lgkmcnt(0)
	v_pk_fma_f32 v[14:15], s[34:35], v[12:13], v[14:15] op_sel_hi:[1,0,1]
	v_pk_fma_f32 v[12:13], s[56:57], v[6:7], v[14:15] op_sel_hi:[1,0,1]
	ds_write_b64 v38, v[12:13] offset:128
	s_or_b64 exec, exec, s[10:11]
	s_and_saveexec_b64 s[78:79], s[66:67]
	s_cbranch_execz .LBB62_87
.LBB62_77:                              ;   in Loop: Header=BB62_38 Depth=3
	s_andn2_b64 vcc, exec, s[40:41]
	v_cmp_ne_u32_e64 s[10:11], 1, v27
	s_cbranch_vccnz .LBB62_82
; %bb.78:                               ;   in Loop: Header=BB62_38 Depth=3
	v_mov_b32_e32 v13, 0
	s_and_b64 vcc, exec, s[10:11]
	v_mov_b32_e32 v12, v13
	s_cbranch_vccnz .LBB62_81
; %bb.79:                               ;   in Loop: Header=BB62_38 Depth=3
	v_mov_b32_e32 v12, 0
	s_mov_b32 s77, 0
	v_mov_b32_e32 v14, v29
	v_mov_b32_e32 v13, v12
.LBB62_80:                              ;   Parent Loop BB62_23 Depth=1
                                        ;     Parent Loop BB62_33 Depth=2
                                        ;       Parent Loop BB62_38 Depth=3
                                        ; =>      This Inner Loop Header: Depth=4
	v_ashrrev_i32_e32 v15, 31, v14
	v_lshlrev_b64 v[38:39], 3, v[14:15]
	v_mov_b32_e32 v42, s49
	v_add_u32_e32 v6, s77, v35
	v_add_co_u32_e32 v38, vcc, s48, v38
	v_lshlrev_b64 v[40:41], 3, v[6:7]
	v_addc_co_u32_e32 v39, vcc, v42, v39, vcc
	v_mov_b32_e32 v43, s39
	v_add_co_u32_e32 v40, vcc, s38, v40
	v_addc_co_u32_e32 v41, vcc, v43, v41, vcc
	global_load_dwordx2 v[40:41], v[40:41], off
	s_nop 0
	global_load_dwordx2 v[38:39], v[38:39], off
	s_add_i32 s77, s77, 1
	v_add_u32_e32 v14, s30, v14
	s_cmp_eq_u32 s30, s77
	s_waitcnt vmcnt(0)
	v_pk_fma_f32 v[12:13], v[38:39], v[40:41], v[12:13] op_sel_hi:[1,0,1]
	v_pk_fma_f32 v[12:13], v[38:39], v[40:41], v[12:13] op_sel:[1,1,0] op_sel_hi:[0,1,1] neg_lo:[1,0,0]
	s_cbranch_scc0 .LBB62_80
.LBB62_81:                              ;   in Loop: Header=BB62_38 Depth=3
	s_cbranch_execz .LBB62_83
	s_branch .LBB62_86
.LBB62_82:                              ;   in Loop: Header=BB62_38 Depth=3
                                        ; implicit-def: $vgpr13
.LBB62_83:                              ;   in Loop: Header=BB62_38 Depth=3
	v_mov_b32_e32 v13, 0
	s_and_b64 vcc, exec, s[10:11]
	v_mov_b32_e32 v12, v13
	s_cbranch_vccnz .LBB62_86
; %bb.84:                               ;   in Loop: Header=BB62_38 Depth=3
	v_mov_b32_e32 v12, 0
	v_pk_mov_b32 v[14:15], v[10:11], v[10:11] op_sel:[0,1]
	v_mov_b32_e32 v6, v36
	s_mov_b32 s10, s30
	v_mov_b32_e32 v13, v12
.LBB62_85:                              ;   Parent Loop BB62_23 Depth=1
                                        ;     Parent Loop BB62_33 Depth=2
                                        ;       Parent Loop BB62_38 Depth=3
                                        ; =>      This Inner Loop Header: Depth=4
	v_lshlrev_b64 v[38:39], 3, v[6:7]
	v_mov_b32_e32 v42, s39
	v_add_co_u32_e32 v38, vcc, s38, v38
	v_addc_co_u32_e32 v39, vcc, v42, v39, vcc
	global_load_dwordx2 v[40:41], v[14:15], off
	s_add_i32 s10, s10, -1
	global_load_dwordx2 v[38:39], v[38:39], off
	v_add_co_u32_e32 v14, vcc, 8, v14
	v_add_u32_e32 v6, s30, v6
	v_addc_co_u32_e32 v15, vcc, 0, v15, vcc
	s_cmp_eq_u32 s10, 0
	s_waitcnt vmcnt(0)
	v_pk_fma_f32 v[12:13], v[40:41], v[38:39], v[12:13] op_sel_hi:[1,0,1]
	v_pk_fma_f32 v[12:13], v[40:41], v[38:39], v[12:13] op_sel:[1,1,0] op_sel_hi:[0,1,1] neg_lo:[1,0,0]
	s_cbranch_scc0 .LBB62_85
.LBB62_86:                              ;   in Loop: Header=BB62_38 Depth=3
	v_add_lshl_u32 v37, v37, v1, 3
	ds_read_b64 v[14:15], v37 offset:192
	v_mov_b32_e32 v6, v13
	s_waitcnt lgkmcnt(0)
	v_pk_fma_f32 v[14:15], s[34:35], v[12:13], v[14:15] op_sel_hi:[1,0,1]
	v_pk_fma_f32 v[12:13], s[56:57], v[6:7], v[14:15] op_sel_hi:[1,0,1]
	ds_write_b64 v37, v[12:13] offset:192
.LBB62_87:                              ;   in Loop: Header=BB62_38 Depth=3
	s_or_b64 exec, exec, s[78:79]
	s_mov_b64 s[10:11], -1
	s_mov_b32 s77, s69
	s_mov_b32 s86, s73
	s_waitcnt lgkmcnt(0)
	s_barrier
.LBB62_88:                              ;   in Loop: Header=BB62_38 Depth=3
	s_add_i32 s76, s76, 1
	s_cmp_lt_i32 s76, s85
	s_cselect_b64 s[78:79], -1, 0
	s_and_b64 s[10:11], s[10:11], s[78:79]
	v_add_u32_e32 v9, s28, v9
	v_add_u32_e32 v30, s28, v30
	;; [unrolled: 1-line block ×8, first 2 shown]
	s_and_b64 vcc, exec, s[10:11]
	s_cbranch_vccz .LBB62_91
; %bb.89:                               ;   in Loop: Header=BB62_38 Depth=3
	s_mov_b32 s69, s77
	s_mov_b32 s73, s86
	s_branch .LBB62_38
.LBB62_90:                              ;   in Loop: Header=BB62_33 Depth=2
	s_mov_b32 s77, s69
	s_mov_b32 s86, s73
.LBB62_91:                              ;   in Loop: Header=BB62_33 Depth=2
	s_add_u32 s10, s14, s74
	s_addc_u32 s11, s15, s75
	s_add_i32 s72, s72, 1
	v_mov_b32_e32 v6, s86
	v_add_u32_e32 v29, s28, v29
	s_cmp_lt_i32 s72, s33
	v_add_u32_e32 v8, s28, v8
	global_store_dword v7, v6, s[10:11]
	s_cbranch_scc0 .LBB62_94
; %bb.92:                               ;   in Loop: Header=BB62_33 Depth=2
	s_mov_b32 s69, s77
	s_branch .LBB62_33
.LBB62_93:                              ;   in Loop: Header=BB62_33 Depth=2
                                        ; implicit-def: $sgpr73
	s_branch .LBB62_35
.LBB62_94:                              ;   in Loop: Header=BB62_23 Depth=1
	s_andn2_b64 vcc, exec, s[52:53]
	s_cbranch_vccnz .LBB62_126
; %bb.95:                               ;   in Loop: Header=BB62_23 Depth=1
	s_load_dwordx2 s[70:71], s[42:43], 0x0
	s_waitcnt lgkmcnt(0)
	s_cmp_ge_i32 s70, s71
	s_cbranch_scc1 .LBB62_126
; %bb.96:                               ;   in Loop: Header=BB62_23 Depth=1
	s_sub_i32 s10, s70, s19
	s_mul_i32 s11, s30, s10
	v_add_u32_e32 v6, s11, v1
	v_mul_lo_u32 v8, s30, v6
	v_add_u32_e32 v6, s11, v16
	v_mul_lo_u32 v9, s30, v6
	;; [unrolled: 2-line block ×3, first 2 shown]
	v_add_u32_e32 v6, s11, v18
	s_ashr_i32 s11, s10, 31
	s_sub_i32 s69, s71, s19
	s_add_i32 s76, s84, s70
	s_lshl_b64 s[70:71], s[10:11], 2
	s_add_u32 s70, s20, s70
	v_mul_lo_u32 v11, s30, v6
	s_addc_u32 s71, s21, s71
	v_mov_b32_e32 v12, v2
	s_branch .LBB62_100
.LBB62_97:                              ;   in Loop: Header=BB62_100 Depth=2
	v_lshlrev_b64 v[14:15], 3, v[6:7]
	v_mov_b32_e32 v6, s23
	v_add_co_u32_e32 v14, vcc, s22, v14
	v_addc_co_u32_e32 v15, vcc, v6, v15, vcc
	global_load_dwordx2 v[14:15], v[14:15], off
	v_add_lshl_u32 v6, v13, v1, 3
	ds_read_b64 v[30:31], v6 offset:192
	s_waitcnt vmcnt(0) lgkmcnt(0)
	v_pk_fma_f32 v[30:31], s[54:55], v[14:15], v[30:31] op_sel_hi:[1,0,1]
	v_pk_fma_f32 v[14:15], s[58:59], v[14:15], v[30:31] op_sel:[0,1,0]
	ds_write_b64 v6, v[14:15] offset:192
.LBB62_98:                              ;   in Loop: Header=BB62_100 Depth=2
	s_or_b64 exec, exec, s[72:73]
	s_mov_b64 s[72:73], -1
	s_mov_b32 s11, s77
	s_waitcnt lgkmcnt(0)
	s_barrier
.LBB62_99:                              ;   in Loop: Header=BB62_100 Depth=2
	s_add_i32 s10, s10, 1
	s_cmp_lt_i32 s76, s69
	s_cselect_b64 s[74:75], -1, 0
	s_and_b64 s[72:73], s[72:73], s[74:75]
	s_add_i32 s76, s76, 1
	s_add_u32 s70, s70, 4
	v_add_u32_e32 v12, s28, v12
	s_addc_u32 s71, s71, 0
	s_mov_b32 s77, s11
	s_and_b64 vcc, exec, s[72:73]
	s_cbranch_vccz .LBB62_126
.LBB62_100:                             ;   Parent Loop BB62_23 Depth=1
                                        ; =>  This Inner Loop Header: Depth=2
	s_load_dword s11, s[70:71], 0x0
	s_waitcnt lgkmcnt(0)
	s_sub_i32 s78, s11, s19
	s_cmp_lt_i32 s78, s68
	s_cselect_b64 s[74:75], -1, 0
	s_cmp_lt_i32 s78, s25
	s_cselect_b64 s[72:73], -1, 0
	s_cmp_ge_i32 s78, s25
	s_cselect_b64 s[80:81], -1, 0
	s_or_b64 s[80:81], s[74:75], s[80:81]
	s_mov_b64 s[74:75], -1
	s_and_b64 vcc, exec, s[80:81]
                                        ; implicit-def: $sgpr11
	s_cbranch_vccz .LBB62_102
; %bb.101:                              ;   in Loop: Header=BB62_100 Depth=2
	s_min_i32 s11, s78, s77
	s_and_b64 s[74:75], s[72:73], exec
	s_cselect_b32 s11, s77, s11
	s_mov_b64 s[74:75], 0
.LBB62_102:                             ;   in Loop: Header=BB62_100 Depth=2
	s_andn2_b64 vcc, exec, s[74:75]
	s_cbranch_vccnz .LBB62_99
; %bb.103:                              ;   in Loop: Header=BB62_100 Depth=2
	s_sub_i32 s11, s78, s68
	v_mov_b32_e32 v6, s11
	s_mul_i32 s72, s10, s30
	ds_write_b8 v6, v28 offset:16384
	v_add_u32_e32 v6, s72, v2
	v_mul_lo_u32 v14, v6, s30
	v_lshl_or_b32 v13, s11, 10, v3
	s_and_saveexec_b64 s[72:73], s[60:61]
	s_cbranch_execnz .LBB62_107
; %bb.104:                              ;   in Loop: Header=BB62_100 Depth=2
	s_or_b64 exec, exec, s[72:73]
	s_and_saveexec_b64 s[72:73], s[62:63]
	s_cbranch_execnz .LBB62_111
.LBB62_105:                             ;   in Loop: Header=BB62_100 Depth=2
	s_or_b64 exec, exec, s[72:73]
	s_and_saveexec_b64 s[72:73], s[64:65]
	s_cbranch_execnz .LBB62_115
.LBB62_106:                             ;   in Loop: Header=BB62_100 Depth=2
	s_or_b64 exec, exec, s[72:73]
	s_and_saveexec_b64 s[72:73], s[66:67]
	s_cbranch_execz .LBB62_98
	s_branch .LBB62_119
.LBB62_107:                             ;   in Loop: Header=BB62_100 Depth=2
	s_and_b64 vcc, exec, s[40:41]
	s_cbranch_vccz .LBB62_121
; %bb.108:                              ;   in Loop: Header=BB62_100 Depth=2
	v_add_u32_e32 v6, v8, v12
	s_cbranch_execnz .LBB62_110
.LBB62_109:                             ;   in Loop: Header=BB62_100 Depth=2
	v_add_u32_e32 v6, v14, v1
.LBB62_110:                             ;   in Loop: Header=BB62_100 Depth=2
	v_lshlrev_b64 v[30:31], 3, v[6:7]
	v_mov_b32_e32 v6, s23
	v_add_co_u32_e32 v30, vcc, s22, v30
	v_addc_co_u32_e32 v31, vcc, v6, v31, vcc
	global_load_dwordx2 v[30:31], v[30:31], off
	v_or_b32_e32 v6, v13, v1
	v_lshlrev_b32_e32 v6, 3, v6
	ds_read_b64 v[32:33], v6
	s_waitcnt vmcnt(0) lgkmcnt(0)
	v_pk_fma_f32 v[32:33], s[54:55], v[30:31], v[32:33] op_sel_hi:[1,0,1]
	v_pk_fma_f32 v[30:31], s[58:59], v[30:31], v[32:33] op_sel:[0,1,0]
	ds_write_b64 v6, v[30:31]
	s_or_b64 exec, exec, s[72:73]
	s_and_saveexec_b64 s[72:73], s[62:63]
	s_cbranch_execz .LBB62_105
.LBB62_111:                             ;   in Loop: Header=BB62_100 Depth=2
	s_andn2_b64 vcc, exec, s[40:41]
	s_cbranch_vccnz .LBB62_122
; %bb.112:                              ;   in Loop: Header=BB62_100 Depth=2
	v_add_u32_e32 v6, v9, v12
	s_cbranch_execnz .LBB62_114
.LBB62_113:                             ;   in Loop: Header=BB62_100 Depth=2
	v_add_u32_e32 v6, v14, v16
.LBB62_114:                             ;   in Loop: Header=BB62_100 Depth=2
	v_lshlrev_b64 v[30:31], 3, v[6:7]
	v_mov_b32_e32 v6, s23
	v_add_co_u32_e32 v30, vcc, s22, v30
	v_addc_co_u32_e32 v31, vcc, v6, v31, vcc
	global_load_dwordx2 v[30:31], v[30:31], off
	v_add_lshl_u32 v6, v13, v1, 3
	ds_read_b64 v[32:33], v6 offset:64
	s_waitcnt vmcnt(0) lgkmcnt(0)
	v_pk_fma_f32 v[32:33], s[54:55], v[30:31], v[32:33] op_sel_hi:[1,0,1]
	v_pk_fma_f32 v[30:31], s[58:59], v[30:31], v[32:33] op_sel:[0,1,0]
	ds_write_b64 v6, v[30:31] offset:64
	s_or_b64 exec, exec, s[72:73]
	s_and_saveexec_b64 s[72:73], s[64:65]
	s_cbranch_execz .LBB62_106
.LBB62_115:                             ;   in Loop: Header=BB62_100 Depth=2
	s_andn2_b64 vcc, exec, s[40:41]
	s_cbranch_vccnz .LBB62_123
; %bb.116:                              ;   in Loop: Header=BB62_100 Depth=2
	v_add_u32_e32 v6, v10, v12
	s_cbranch_execnz .LBB62_118
.LBB62_117:                             ;   in Loop: Header=BB62_100 Depth=2
	v_add_u32_e32 v6, v14, v17
.LBB62_118:                             ;   in Loop: Header=BB62_100 Depth=2
	v_lshlrev_b64 v[30:31], 3, v[6:7]
	v_mov_b32_e32 v6, s23
	v_add_co_u32_e32 v30, vcc, s22, v30
	v_addc_co_u32_e32 v31, vcc, v6, v31, vcc
	global_load_dwordx2 v[30:31], v[30:31], off
	v_add_lshl_u32 v6, v13, v1, 3
	ds_read_b64 v[32:33], v6 offset:128
	s_waitcnt vmcnt(0) lgkmcnt(0)
	v_pk_fma_f32 v[32:33], s[54:55], v[30:31], v[32:33] op_sel_hi:[1,0,1]
	v_pk_fma_f32 v[30:31], s[58:59], v[30:31], v[32:33] op_sel:[0,1,0]
	ds_write_b64 v6, v[30:31] offset:128
	s_or_b64 exec, exec, s[72:73]
	s_and_saveexec_b64 s[72:73], s[66:67]
	s_cbranch_execz .LBB62_98
.LBB62_119:                             ;   in Loop: Header=BB62_100 Depth=2
	s_andn2_b64 vcc, exec, s[40:41]
	s_cbranch_vccnz .LBB62_124
; %bb.120:                              ;   in Loop: Header=BB62_100 Depth=2
	v_add_u32_e32 v6, v11, v12
	s_cbranch_execnz .LBB62_97
	s_branch .LBB62_125
.LBB62_121:                             ;   in Loop: Header=BB62_100 Depth=2
	s_branch .LBB62_109
.LBB62_122:                             ;   in Loop: Header=BB62_100 Depth=2
	s_branch .LBB62_113
.LBB62_123:                             ;   in Loop: Header=BB62_100 Depth=2
	s_branch .LBB62_117
.LBB62_124:                             ;   in Loop: Header=BB62_100 Depth=2
.LBB62_125:                             ;   in Loop: Header=BB62_100 Depth=2
	v_add_u32_e32 v6, v14, v18
	s_branch .LBB62_97
.LBB62_126:                             ;   in Loop: Header=BB62_23 Depth=1
	s_barrier
	ds_read_u8 v6, v7 offset:16384
	s_add_i32 s70, s68, s18
	s_mov_b32 s25, 0
	s_waitcnt lgkmcnt(0)
	v_cmp_eq_u32_e32 vcc, 0, v6
	s_cbranch_vccnz .LBB62_148
; %bb.127:                              ;   in Loop: Header=BB62_23 Depth=1
	s_ashr_i32 s25, s24, 31
	s_lshl_b64 s[10:11], s[24:25], 2
	s_add_u32 s10, s26, s10
	s_addc_u32 s11, s27, s11
	v_mov_b32_e32 v6, s70
	s_mul_i32 s25, s24, s30
	global_store_dword v7, v6, s[10:11]
	v_add_u32_e32 v6, s25, v2
	v_mul_lo_u32 v8, v6, s30
	s_and_saveexec_b64 s[10:11], s[60:61]
	s_cbranch_execnz .LBB62_131
; %bb.128:                              ;   in Loop: Header=BB62_23 Depth=1
	s_or_b64 exec, exec, s[10:11]
	s_and_saveexec_b64 s[10:11], s[62:63]
	s_cbranch_execnz .LBB62_135
.LBB62_129:                             ;   in Loop: Header=BB62_23 Depth=1
	s_or_b64 exec, exec, s[10:11]
	s_and_saveexec_b64 s[10:11], s[64:65]
	s_cbranch_execnz .LBB62_139
.LBB62_130:                             ;   in Loop: Header=BB62_23 Depth=1
	s_or_b64 exec, exec, s[10:11]
	s_and_saveexec_b64 s[10:11], s[66:67]
	s_cbranch_execnz .LBB62_143
	s_branch .LBB62_147
.LBB62_131:                             ;   in Loop: Header=BB62_23 Depth=1
	s_and_b64 vcc, exec, s[40:41]
	s_cbranch_vccz .LBB62_167
; %bb.132:                              ;   in Loop: Header=BB62_23 Depth=1
	v_add_u32_e32 v6, s25, v1
	v_mad_u64_u32 v[10:11], s[68:69], v6, s30, v[2:3]
	v_mov_b32_e32 v6, v10
	s_cbranch_execnz .LBB62_134
.LBB62_133:                             ;   in Loop: Header=BB62_23 Depth=1
	v_add_u32_e32 v6, v8, v1
.LBB62_134:                             ;   in Loop: Header=BB62_23 Depth=1
	ds_read_b64 v[12:13], v19
	v_lshlrev_b64 v[10:11], 3, v[6:7]
	v_mov_b32_e32 v6, s13
	v_add_co_u32_e32 v10, vcc, s12, v10
	v_addc_co_u32_e32 v11, vcc, v6, v11, vcc
	s_waitcnt lgkmcnt(0)
	global_store_dwordx2 v[10:11], v[12:13], off
	s_or_b64 exec, exec, s[10:11]
	s_and_saveexec_b64 s[10:11], s[62:63]
	s_cbranch_execz .LBB62_129
.LBB62_135:                             ;   in Loop: Header=BB62_23 Depth=1
	s_andn2_b64 vcc, exec, s[40:41]
	s_cbranch_vccnz .LBB62_168
; %bb.136:                              ;   in Loop: Header=BB62_23 Depth=1
	v_add_u32_e32 v6, s25, v16
	v_mad_u64_u32 v[10:11], s[68:69], v6, s30, v[2:3]
	v_mov_b32_e32 v6, v10
	s_cbranch_execnz .LBB62_138
.LBB62_137:                             ;   in Loop: Header=BB62_23 Depth=1
	v_add_u32_e32 v6, v8, v16
.LBB62_138:                             ;   in Loop: Header=BB62_23 Depth=1
	ds_read_b64 v[12:13], v19 offset:64
	v_lshlrev_b64 v[10:11], 3, v[6:7]
	v_mov_b32_e32 v6, s13
	v_add_co_u32_e32 v10, vcc, s12, v10
	v_addc_co_u32_e32 v11, vcc, v6, v11, vcc
	s_waitcnt lgkmcnt(0)
	global_store_dwordx2 v[10:11], v[12:13], off
	s_or_b64 exec, exec, s[10:11]
	s_and_saveexec_b64 s[10:11], s[64:65]
	s_cbranch_execz .LBB62_130
.LBB62_139:                             ;   in Loop: Header=BB62_23 Depth=1
	s_andn2_b64 vcc, exec, s[40:41]
	s_cbranch_vccnz .LBB62_169
; %bb.140:                              ;   in Loop: Header=BB62_23 Depth=1
	v_add_u32_e32 v6, s25, v17
	v_mad_u64_u32 v[10:11], s[68:69], v6, s30, v[2:3]
	v_mov_b32_e32 v6, v10
	s_cbranch_execnz .LBB62_142
.LBB62_141:                             ;   in Loop: Header=BB62_23 Depth=1
	v_add_u32_e32 v6, v8, v17
.LBB62_142:                             ;   in Loop: Header=BB62_23 Depth=1
	ds_read_b64 v[12:13], v19 offset:128
	v_lshlrev_b64 v[10:11], 3, v[6:7]
	v_mov_b32_e32 v6, s13
	v_add_co_u32_e32 v10, vcc, s12, v10
	v_addc_co_u32_e32 v11, vcc, v6, v11, vcc
	s_waitcnt lgkmcnt(0)
	global_store_dwordx2 v[10:11], v[12:13], off
	s_or_b64 exec, exec, s[10:11]
	s_and_saveexec_b64 s[10:11], s[66:67]
	s_cbranch_execz .LBB62_147
.LBB62_143:                             ;   in Loop: Header=BB62_23 Depth=1
	s_andn2_b64 vcc, exec, s[40:41]
	s_cbranch_vccnz .LBB62_170
; %bb.144:                              ;   in Loop: Header=BB62_23 Depth=1
	v_add_u32_e32 v6, s25, v18
	v_mad_u64_u32 v[10:11], s[68:69], v6, s30, v[2:3]
	v_mov_b32_e32 v6, v10
	s_cbranch_execnz .LBB62_146
.LBB62_145:                             ;   in Loop: Header=BB62_23 Depth=1
	v_add_u32_e32 v6, v8, v18
.LBB62_146:                             ;   in Loop: Header=BB62_23 Depth=1
	ds_read_b64 v[10:11], v19 offset:192
	v_lshlrev_b64 v[8:9], 3, v[6:7]
	v_mov_b32_e32 v6, s13
	v_add_co_u32_e32 v8, vcc, s12, v8
	v_addc_co_u32_e32 v9, vcc, v6, v9, vcc
	s_waitcnt lgkmcnt(0)
	global_store_dwordx2 v[8:9], v[10:11], off
.LBB62_147:                             ;   in Loop: Header=BB62_23 Depth=1
	s_or_b64 exec, exec, s[10:11]
	s_mov_b32 s25, 1
.LBB62_148:                             ;   in Loop: Header=BB62_23 Depth=1
	ds_read_u8 v6, v7 offset:16385
	s_waitcnt lgkmcnt(0)
	v_cmp_eq_u32_e32 vcc, 0, v6
	s_cbranch_vccnz .LBB62_22
; %bb.149:                              ;   in Loop: Header=BB62_23 Depth=1
	s_add_i32 s10, s25, s24
	s_ashr_i32 s11, s10, 31
	s_add_i32 s70, s70, 1
	s_lshl_b64 s[68:69], s[10:11], 2
	s_add_u32 s68, s26, s68
	s_addc_u32 s69, s27, s69
	v_mov_b32_e32 v6, s70
	s_mul_i32 s72, s10, s30
	global_store_dword v7, v6, s[68:69]
	v_add_u32_e32 v6, s72, v2
	v_mul_lo_u32 v8, v6, s30
	v_cmp_ne_u32_e64 s[10:11], 1, v26
	s_and_saveexec_b64 s[68:69], s[60:61]
	s_cbranch_execnz .LBB62_153
; %bb.150:                              ;   in Loop: Header=BB62_23 Depth=1
	s_or_b64 exec, exec, s[68:69]
	s_and_saveexec_b64 s[68:69], s[62:63]
	s_cbranch_execnz .LBB62_157
.LBB62_151:                             ;   in Loop: Header=BB62_23 Depth=1
	s_or_b64 exec, exec, s[68:69]
	s_and_saveexec_b64 s[68:69], s[64:65]
	s_cbranch_execnz .LBB62_161
.LBB62_152:                             ;   in Loop: Header=BB62_23 Depth=1
	s_or_b64 exec, exec, s[68:69]
	s_and_saveexec_b64 s[68:69], s[66:67]
	s_cbranch_execz .LBB62_21
	s_branch .LBB62_165
.LBB62_153:                             ;   in Loop: Header=BB62_23 Depth=1
	s_and_b64 vcc, exec, s[10:11]
	s_cbranch_vccnz .LBB62_171
; %bb.154:                              ;   in Loop: Header=BB62_23 Depth=1
	v_add_u32_e32 v6, s72, v1
	v_mad_u64_u32 v[10:11], s[70:71], v6, s30, v[2:3]
	v_mov_b32_e32 v6, v10
	s_cbranch_execnz .LBB62_156
.LBB62_155:                             ;   in Loop: Header=BB62_23 Depth=1
	v_add_u32_e32 v6, v8, v1
.LBB62_156:                             ;   in Loop: Header=BB62_23 Depth=1
	ds_read_b64 v[12:13], v19 offset:8192
	v_lshlrev_b64 v[10:11], 3, v[6:7]
	v_mov_b32_e32 v6, s13
	v_add_co_u32_e32 v10, vcc, s12, v10
	v_addc_co_u32_e32 v11, vcc, v6, v11, vcc
	s_waitcnt lgkmcnt(0)
	global_store_dwordx2 v[10:11], v[12:13], off
	s_or_b64 exec, exec, s[68:69]
	s_and_saveexec_b64 s[68:69], s[62:63]
	s_cbranch_execz .LBB62_151
.LBB62_157:                             ;   in Loop: Header=BB62_23 Depth=1
	s_and_b64 vcc, exec, s[10:11]
	s_cbranch_vccnz .LBB62_172
; %bb.158:                              ;   in Loop: Header=BB62_23 Depth=1
	v_add_u32_e32 v6, s72, v16
	v_mad_u64_u32 v[10:11], s[70:71], v6, s30, v[2:3]
	v_mov_b32_e32 v6, v10
	s_cbranch_execnz .LBB62_160
.LBB62_159:                             ;   in Loop: Header=BB62_23 Depth=1
	v_add_u32_e32 v6, v8, v16
.LBB62_160:                             ;   in Loop: Header=BB62_23 Depth=1
	ds_read_b64 v[12:13], v20 offset:8192
	v_lshlrev_b64 v[10:11], 3, v[6:7]
	v_mov_b32_e32 v6, s13
	v_add_co_u32_e32 v10, vcc, s12, v10
	v_addc_co_u32_e32 v11, vcc, v6, v11, vcc
	s_waitcnt lgkmcnt(0)
	global_store_dwordx2 v[10:11], v[12:13], off
	s_or_b64 exec, exec, s[68:69]
	s_and_saveexec_b64 s[68:69], s[64:65]
	s_cbranch_execz .LBB62_152
.LBB62_161:                             ;   in Loop: Header=BB62_23 Depth=1
	s_and_b64 vcc, exec, s[10:11]
	s_cbranch_vccnz .LBB62_173
; %bb.162:                              ;   in Loop: Header=BB62_23 Depth=1
	v_add_u32_e32 v6, s72, v17
	v_mad_u64_u32 v[10:11], s[70:71], v6, s30, v[2:3]
	v_mov_b32_e32 v6, v10
	s_cbranch_execnz .LBB62_164
.LBB62_163:                             ;   in Loop: Header=BB62_23 Depth=1
	v_add_u32_e32 v6, v8, v17
.LBB62_164:                             ;   in Loop: Header=BB62_23 Depth=1
	ds_read_b64 v[12:13], v21 offset:8192
	v_lshlrev_b64 v[10:11], 3, v[6:7]
	v_mov_b32_e32 v6, s13
	v_add_co_u32_e32 v10, vcc, s12, v10
	v_addc_co_u32_e32 v11, vcc, v6, v11, vcc
	s_waitcnt lgkmcnt(0)
	global_store_dwordx2 v[10:11], v[12:13], off
	s_or_b64 exec, exec, s[68:69]
	s_and_saveexec_b64 s[68:69], s[66:67]
	s_cbranch_execz .LBB62_21
.LBB62_165:                             ;   in Loop: Header=BB62_23 Depth=1
	s_and_b64 vcc, exec, s[10:11]
	s_cbranch_vccnz .LBB62_174
; %bb.166:                              ;   in Loop: Header=BB62_23 Depth=1
	v_add_u32_e32 v6, s72, v18
	v_mad_u64_u32 v[10:11], s[10:11], v6, s30, v[2:3]
	v_mov_b32_e32 v6, v10
	s_cbranch_execnz .LBB62_20
	s_branch .LBB62_175
.LBB62_167:                             ;   in Loop: Header=BB62_23 Depth=1
	s_branch .LBB62_133
.LBB62_168:                             ;   in Loop: Header=BB62_23 Depth=1
	s_branch .LBB62_137
.LBB62_169:                             ;   in Loop: Header=BB62_23 Depth=1
	s_branch .LBB62_141
.LBB62_170:                             ;   in Loop: Header=BB62_23 Depth=1
	s_branch .LBB62_145
.LBB62_171:                             ;   in Loop: Header=BB62_23 Depth=1
	s_branch .LBB62_155
.LBB62_172:                             ;   in Loop: Header=BB62_23 Depth=1
	s_branch .LBB62_159
.LBB62_173:                             ;   in Loop: Header=BB62_23 Depth=1
	s_branch .LBB62_163
.LBB62_174:                             ;   in Loop: Header=BB62_23 Depth=1
.LBB62_175:                             ;   in Loop: Header=BB62_23 Depth=1
	v_add_u32_e32 v6, v8, v18
	s_branch .LBB62_20
.LBB62_176:
	s_endpgm
	.section	.rodata,"a",@progbits
	.p2align	6, 0x0
	.amdhsa_kernel _ZN9rocsparseL31bsrgemm_block_per_row_multipassILj256ELj2ELj32Eii21rocsparse_complex_numIfEEEv20rocsparse_direction_T3_S4_PKS4_S6_NS_24const_host_device_scalarIT4_EEPKT2_S6_PKS8_SC_S6_SE_S9_SC_S6_SE_SC_PS4_PS8_PSA_21rocsparse_index_base_SI_SI_SI_bbb
		.amdhsa_group_segment_fixed_size 16388
		.amdhsa_private_segment_fixed_size 0
		.amdhsa_kernarg_size 172
		.amdhsa_user_sgpr_count 6
		.amdhsa_user_sgpr_private_segment_buffer 1
		.amdhsa_user_sgpr_dispatch_ptr 0
		.amdhsa_user_sgpr_queue_ptr 0
		.amdhsa_user_sgpr_kernarg_segment_ptr 1
		.amdhsa_user_sgpr_dispatch_id 0
		.amdhsa_user_sgpr_flat_scratch_init 0
		.amdhsa_user_sgpr_kernarg_preload_length 0
		.amdhsa_user_sgpr_kernarg_preload_offset 0
		.amdhsa_user_sgpr_private_segment_size 0
		.amdhsa_uses_dynamic_stack 0
		.amdhsa_system_sgpr_private_segment_wavefront_offset 0
		.amdhsa_system_sgpr_workgroup_id_x 1
		.amdhsa_system_sgpr_workgroup_id_y 0
		.amdhsa_system_sgpr_workgroup_id_z 0
		.amdhsa_system_sgpr_workgroup_info 0
		.amdhsa_system_vgpr_workitem_id 0
		.amdhsa_next_free_vgpr 44
		.amdhsa_next_free_sgpr 88
		.amdhsa_accum_offset 44
		.amdhsa_reserve_vcc 1
		.amdhsa_reserve_flat_scratch 0
		.amdhsa_float_round_mode_32 0
		.amdhsa_float_round_mode_16_64 0
		.amdhsa_float_denorm_mode_32 3
		.amdhsa_float_denorm_mode_16_64 3
		.amdhsa_dx10_clamp 1
		.amdhsa_ieee_mode 1
		.amdhsa_fp16_overflow 0
		.amdhsa_tg_split 0
		.amdhsa_exception_fp_ieee_invalid_op 0
		.amdhsa_exception_fp_denorm_src 0
		.amdhsa_exception_fp_ieee_div_zero 0
		.amdhsa_exception_fp_ieee_overflow 0
		.amdhsa_exception_fp_ieee_underflow 0
		.amdhsa_exception_fp_ieee_inexact 0
		.amdhsa_exception_int_div_zero 0
	.end_amdhsa_kernel
	.section	.text._ZN9rocsparseL31bsrgemm_block_per_row_multipassILj256ELj2ELj32Eii21rocsparse_complex_numIfEEEv20rocsparse_direction_T3_S4_PKS4_S6_NS_24const_host_device_scalarIT4_EEPKT2_S6_PKS8_SC_S6_SE_S9_SC_S6_SE_SC_PS4_PS8_PSA_21rocsparse_index_base_SI_SI_SI_bbb,"axG",@progbits,_ZN9rocsparseL31bsrgemm_block_per_row_multipassILj256ELj2ELj32Eii21rocsparse_complex_numIfEEEv20rocsparse_direction_T3_S4_PKS4_S6_NS_24const_host_device_scalarIT4_EEPKT2_S6_PKS8_SC_S6_SE_S9_SC_S6_SE_SC_PS4_PS8_PSA_21rocsparse_index_base_SI_SI_SI_bbb,comdat
.Lfunc_end62:
	.size	_ZN9rocsparseL31bsrgemm_block_per_row_multipassILj256ELj2ELj32Eii21rocsparse_complex_numIfEEEv20rocsparse_direction_T3_S4_PKS4_S6_NS_24const_host_device_scalarIT4_EEPKT2_S6_PKS8_SC_S6_SE_S9_SC_S6_SE_SC_PS4_PS8_PSA_21rocsparse_index_base_SI_SI_SI_bbb, .Lfunc_end62-_ZN9rocsparseL31bsrgemm_block_per_row_multipassILj256ELj2ELj32Eii21rocsparse_complex_numIfEEEv20rocsparse_direction_T3_S4_PKS4_S6_NS_24const_host_device_scalarIT4_EEPKT2_S6_PKS8_SC_S6_SE_S9_SC_S6_SE_SC_PS4_PS8_PSA_21rocsparse_index_base_SI_SI_SI_bbb
                                        ; -- End function
	.section	.AMDGPU.csdata,"",@progbits
; Kernel info:
; codeLenInByte = 4628
; NumSgprs: 92
; NumVgprs: 44
; NumAgprs: 0
; TotalNumVgprs: 44
; ScratchSize: 0
; MemoryBound: 0
; FloatMode: 240
; IeeeMode: 1
; LDSByteSize: 16388 bytes/workgroup (compile time only)
; SGPRBlocks: 11
; VGPRBlocks: 5
; NumSGPRsForWavesPerEU: 92
; NumVGPRsForWavesPerEU: 44
; AccumOffset: 44
; Occupancy: 3
; WaveLimiterHint : 1
; COMPUTE_PGM_RSRC2:SCRATCH_EN: 0
; COMPUTE_PGM_RSRC2:USER_SGPR: 6
; COMPUTE_PGM_RSRC2:TRAP_HANDLER: 0
; COMPUTE_PGM_RSRC2:TGID_X_EN: 1
; COMPUTE_PGM_RSRC2:TGID_Y_EN: 0
; COMPUTE_PGM_RSRC2:TGID_Z_EN: 0
; COMPUTE_PGM_RSRC2:TIDIG_COMP_CNT: 0
; COMPUTE_PGM_RSRC3_GFX90A:ACCUM_OFFSET: 10
; COMPUTE_PGM_RSRC3_GFX90A:TG_SPLIT: 0
	.section	.text._ZN9rocsparseL26bsrgemm_group_reduce_part2ILj256ELj8ELj2E21rocsparse_complex_numIdEiiEEvT4_PKT3_PS3_Pi,"axG",@progbits,_ZN9rocsparseL26bsrgemm_group_reduce_part2ILj256ELj8ELj2E21rocsparse_complex_numIdEiiEEvT4_PKT3_PS3_Pi,comdat
	.globl	_ZN9rocsparseL26bsrgemm_group_reduce_part2ILj256ELj8ELj2E21rocsparse_complex_numIdEiiEEvT4_PKT3_PS3_Pi ; -- Begin function _ZN9rocsparseL26bsrgemm_group_reduce_part2ILj256ELj8ELj2E21rocsparse_complex_numIdEiiEEvT4_PKT3_PS3_Pi
	.p2align	8
	.type	_ZN9rocsparseL26bsrgemm_group_reduce_part2ILj256ELj8ELj2E21rocsparse_complex_numIdEiiEEvT4_PKT3_PS3_Pi,@function
_ZN9rocsparseL26bsrgemm_group_reduce_part2ILj256ELj8ELj2E21rocsparse_complex_numIdEiiEEvT4_PKT3_PS3_Pi: ; @_ZN9rocsparseL26bsrgemm_group_reduce_part2ILj256ELj8ELj2E21rocsparse_complex_numIdEiiEEvT4_PKT3_PS3_Pi
; %bb.0:
	s_mov_b32 s8, 0
	s_load_dword s7, s[4:5], 0x0
	s_load_dwordx2 s[2:3], s[4:5], 0x10
	s_mov_b32 s9, s8
	s_mov_b32 s10, s8
	;; [unrolled: 1-line block ×3, first 2 shown]
	v_pk_mov_b32 v[2:3], s[8:9], s[8:9] op_sel:[0,1]
	v_lshlrev_b32_e32 v1, 5, v0
	v_pk_mov_b32 v[4:5], s[10:11], s[10:11] op_sel:[0,1]
	ds_write_b128 v1, v[2:5]
	ds_write_b128 v1, v[2:5] offset:16
	v_lshl_or_b32 v2, s6, 8, v0
	s_waitcnt lgkmcnt(0)
	v_cmp_gt_i32_e32 vcc, s7, v2
	s_and_saveexec_b64 s[8:9], vcc
	s_cbranch_execz .LBB63_27
; %bb.1:
	s_load_dword s0, s[4:5], 0x20
	s_load_dwordx2 s[10:11], s[4:5], 0x8
	s_load_dwordx2 s[12:13], s[4:5], 0x18
	s_mov_b64 s[4:5], 0
	s_movk_i32 s25, 0x100
	s_waitcnt lgkmcnt(0)
	s_lshl_b32 s24, s0, 8
	v_mov_b32_e32 v6, s11
	s_movk_i32 s11, 0x80
	v_mov_b32_e32 v7, 7
	v_mov_b32_e32 v8, 5
	;; [unrolled: 1-line block ×7, first 2 shown]
	s_branch .LBB63_3
.LBB63_2:                               ;   in Loop: Header=BB63_3 Depth=1
	s_or_b64 exec, exec, s[0:1]
	v_add_u32_e32 v2, s24, v2
	v_cmp_le_i32_e32 vcc, s7, v2
	s_or_b64 s[4:5], vcc, s[4:5]
	s_andn2_b64 exec, exec, s[4:5]
	s_cbranch_execz .LBB63_27
.LBB63_3:                               ; =>This Inner Loop Header: Depth=1
	v_ashrrev_i32_e32 v3, 31, v2
	v_lshlrev_b64 v[4:5], 2, v[2:3]
	v_add_co_u32_e32 v14, vcc, s10, v4
	v_addc_co_u32_e32 v15, vcc, v6, v5, vcc
	global_load_dwordx2 v[14:15], v[14:15], off
	s_waitcnt vmcnt(0)
	v_sub_u32_e32 v3, v15, v14
	v_cmp_lt_i32_e32 vcc, 8, v3
	s_and_saveexec_b64 s[0:1], vcc
	s_xor_b64 s[14:15], exec, s[0:1]
	s_cbranch_execz .LBB63_25
; %bb.4:                                ;   in Loop: Header=BB63_3 Depth=1
	v_cmp_lt_u32_e32 vcc, 16, v3
	s_and_saveexec_b64 s[0:1], vcc
	s_xor_b64 s[16:17], exec, s[0:1]
	s_cbranch_execz .LBB63_22
; %bb.5:                                ;   in Loop: Header=BB63_3 Depth=1
	v_cmp_lt_u32_e32 vcc, 32, v3
	;; [unrolled: 5-line block ×5, first 2 shown]
	v_mov_b32_e32 v3, s13
	v_add_co_u32_e64 v4, s[0:1], s12, v4
	v_addc_co_u32_e64 v5, s[0:1], v3, v5, s[0:1]
	s_and_saveexec_b64 s[0:1], vcc
	s_xor_b64 s[0:1], exec, s[0:1]
	s_cbranch_execz .LBB63_10
; %bb.9:                                ;   in Loop: Header=BB63_3 Depth=1
	ds_read_b32 v3, v1 offset:28
	global_store_dword v[4:5], v7, off
                                        ; implicit-def: $vgpr4_vgpr5
	s_waitcnt lgkmcnt(0)
	v_add_u32_e32 v3, 1, v3
	ds_write_b32 v1, v3 offset:28
.LBB63_10:                              ;   in Loop: Header=BB63_3 Depth=1
	s_andn2_saveexec_b64 s[0:1], s[0:1]
	s_cbranch_execz .LBB63_12
; %bb.11:                               ;   in Loop: Header=BB63_3 Depth=1
	ds_read_b32 v3, v1 offset:20
	global_store_dword v[4:5], v8, off
	s_waitcnt lgkmcnt(0)
	v_add_u32_e32 v3, 1, v3
	ds_write_b32 v1, v3 offset:20
.LBB63_12:                              ;   in Loop: Header=BB63_3 Depth=1
	s_or_b64 exec, exec, s[0:1]
                                        ; implicit-def: $vgpr4_vgpr5
.LBB63_13:                              ;   in Loop: Header=BB63_3 Depth=1
	s_andn2_saveexec_b64 s[0:1], s[22:23]
	s_cbranch_execz .LBB63_15
; %bb.14:                               ;   in Loop: Header=BB63_3 Depth=1
	ds_read_b32 v3, v1 offset:16
	v_mov_b32_e32 v14, s13
	v_add_co_u32_e32 v4, vcc, s12, v4
	v_addc_co_u32_e32 v5, vcc, v14, v5, vcc
	s_waitcnt lgkmcnt(0)
	v_add_u32_e32 v3, 1, v3
	ds_write_b32 v1, v3 offset:16
	global_store_dword v[4:5], v9, off
.LBB63_15:                              ;   in Loop: Header=BB63_3 Depth=1
	s_or_b64 exec, exec, s[0:1]
                                        ; implicit-def: $vgpr4_vgpr5
.LBB63_16:                              ;   in Loop: Header=BB63_3 Depth=1
	s_andn2_saveexec_b64 s[0:1], s[20:21]
	s_cbranch_execz .LBB63_18
; %bb.17:                               ;   in Loop: Header=BB63_3 Depth=1
	ds_read_b32 v3, v1 offset:12
	v_mov_b32_e32 v14, s13
	v_add_co_u32_e32 v4, vcc, s12, v4
	v_addc_co_u32_e32 v5, vcc, v14, v5, vcc
	s_waitcnt lgkmcnt(0)
	v_add_u32_e32 v3, 1, v3
	ds_write_b32 v1, v3 offset:12
	global_store_dword v[4:5], v10, off
.LBB63_18:                              ;   in Loop: Header=BB63_3 Depth=1
	s_or_b64 exec, exec, s[0:1]
                                        ; implicit-def: $vgpr4_vgpr5
.LBB63_19:                              ;   in Loop: Header=BB63_3 Depth=1
	s_andn2_saveexec_b64 s[0:1], s[18:19]
	s_cbranch_execz .LBB63_21
; %bb.20:                               ;   in Loop: Header=BB63_3 Depth=1
	ds_read_b32 v3, v1 offset:8
	v_mov_b32_e32 v14, s13
	v_add_co_u32_e32 v4, vcc, s12, v4
	v_addc_co_u32_e32 v5, vcc, v14, v5, vcc
	s_waitcnt lgkmcnt(0)
	v_add_u32_e32 v3, 1, v3
	ds_write_b32 v1, v3 offset:8
	global_store_dword v[4:5], v11, off
.LBB63_21:                              ;   in Loop: Header=BB63_3 Depth=1
	s_or_b64 exec, exec, s[0:1]
                                        ; implicit-def: $vgpr4_vgpr5
.LBB63_22:                              ;   in Loop: Header=BB63_3 Depth=1
	s_andn2_saveexec_b64 s[0:1], s[16:17]
	s_cbranch_execz .LBB63_24
; %bb.23:                               ;   in Loop: Header=BB63_3 Depth=1
	ds_read_b32 v3, v1 offset:4
	v_mov_b32_e32 v14, s13
	v_add_co_u32_e32 v4, vcc, s12, v4
	v_addc_co_u32_e32 v5, vcc, v14, v5, vcc
	s_waitcnt lgkmcnt(0)
	v_add_u32_e32 v3, 1, v3
	ds_write_b32 v1, v3 offset:4
	global_store_dword v[4:5], v12, off
.LBB63_24:                              ;   in Loop: Header=BB63_3 Depth=1
	s_or_b64 exec, exec, s[0:1]
                                        ; implicit-def: $vgpr4_vgpr5
.LBB63_25:                              ;   in Loop: Header=BB63_3 Depth=1
	s_andn2_saveexec_b64 s[0:1], s[14:15]
	s_cbranch_execz .LBB63_2
; %bb.26:                               ;   in Loop: Header=BB63_3 Depth=1
	ds_read_b32 v3, v1
	v_mov_b32_e32 v14, s13
	v_add_co_u32_e32 v4, vcc, s12, v4
	v_addc_co_u32_e32 v5, vcc, v14, v5, vcc
	s_waitcnt lgkmcnt(0)
	v_add_u32_e32 v3, 1, v3
	ds_write_b32 v1, v3
	global_store_dword v[4:5], v13, off
	s_branch .LBB63_2
.LBB63_27:
	s_or_b64 exec, exec, s[8:9]
	s_movk_i32 s0, 0x80
	v_cmp_gt_u32_e32 vcc, s0, v0
	s_waitcnt lgkmcnt(0)
	s_barrier
	s_barrier
	;; [unrolled: 1-line block ×3, first 2 shown]
	s_and_saveexec_b64 s[0:1], vcc
	s_cbranch_execz .LBB63_29
; %bb.28:
	ds_read_b128 v[2:5], v1 offset:4096
	ds_read_b128 v[6:9], v1
	ds_read_b128 v[10:13], v1 offset:16
	ds_read_b128 v[14:17], v1 offset:4112
	s_waitcnt lgkmcnt(2)
	v_add_u32_e32 v3, v7, v3
	v_add_u32_e32 v2, v6, v2
	v_add_u32_e32 v5, v9, v5
	v_add_u32_e32 v4, v8, v4
	ds_write_b128 v1, v[2:5]
	s_waitcnt lgkmcnt(1)
	v_add_u32_e32 v3, v11, v15
	v_add_u32_e32 v2, v10, v14
	v_add_u32_e32 v5, v13, v17
	v_add_u32_e32 v4, v12, v16
	ds_write_b128 v1, v[2:5] offset:16
.LBB63_29:
	s_or_b64 exec, exec, s[0:1]
	v_cmp_gt_u32_e32 vcc, 64, v0
	s_waitcnt lgkmcnt(0)
	s_barrier
	s_and_saveexec_b64 s[0:1], vcc
	s_cbranch_execz .LBB63_31
; %bb.30:
	ds_read_b128 v[2:5], v1 offset:2048
	ds_read_b128 v[6:9], v1
	ds_read_b128 v[10:13], v1 offset:16
	ds_read_b128 v[14:17], v1 offset:2064
	s_waitcnt lgkmcnt(2)
	v_add_u32_e32 v3, v7, v3
	v_add_u32_e32 v2, v6, v2
	v_add_u32_e32 v5, v9, v5
	v_add_u32_e32 v4, v8, v4
	ds_write_b128 v1, v[2:5]
	s_waitcnt lgkmcnt(1)
	v_add_u32_e32 v3, v11, v15
	v_add_u32_e32 v2, v10, v14
	v_add_u32_e32 v5, v13, v17
	v_add_u32_e32 v4, v12, v16
	ds_write_b128 v1, v[2:5] offset:16
.LBB63_31:
	s_or_b64 exec, exec, s[0:1]
	v_cmp_gt_u32_e32 vcc, 32, v0
	s_waitcnt lgkmcnt(0)
	s_barrier
	s_and_saveexec_b64 s[0:1], vcc
	s_cbranch_execz .LBB63_33
; %bb.32:
	ds_read_b128 v[2:5], v1 offset:1024
	ds_read_b128 v[6:9], v1
	ds_read_b128 v[10:13], v1 offset:16
	ds_read_b128 v[14:17], v1 offset:1040
	s_waitcnt lgkmcnt(2)
	v_add_u32_e32 v3, v7, v3
	v_add_u32_e32 v2, v6, v2
	v_add_u32_e32 v5, v9, v5
	v_add_u32_e32 v4, v8, v4
	ds_write_b128 v1, v[2:5]
	s_waitcnt lgkmcnt(1)
	v_add_u32_e32 v3, v11, v15
	v_add_u32_e32 v2, v10, v14
	v_add_u32_e32 v5, v13, v17
	v_add_u32_e32 v4, v12, v16
	ds_write_b128 v1, v[2:5] offset:16
.LBB63_33:
	s_or_b64 exec, exec, s[0:1]
	v_cmp_gt_u32_e32 vcc, 16, v0
	s_waitcnt lgkmcnt(0)
	s_barrier
	s_and_saveexec_b64 s[0:1], vcc
	s_cbranch_execz .LBB63_35
; %bb.34:
	ds_read_b128 v[2:5], v1 offset:512
	ds_read_b128 v[6:9], v1
	ds_read_b128 v[10:13], v1 offset:16
	ds_read_b128 v[14:17], v1 offset:528
	s_waitcnt lgkmcnt(2)
	v_add_u32_e32 v3, v7, v3
	v_add_u32_e32 v2, v6, v2
	v_add_u32_e32 v5, v9, v5
	v_add_u32_e32 v4, v8, v4
	ds_write_b128 v1, v[2:5]
	s_waitcnt lgkmcnt(1)
	v_add_u32_e32 v3, v11, v15
	v_add_u32_e32 v2, v10, v14
	v_add_u32_e32 v5, v13, v17
	v_add_u32_e32 v4, v12, v16
	ds_write_b128 v1, v[2:5] offset:16
.LBB63_35:
	s_or_b64 exec, exec, s[0:1]
	v_cmp_gt_u32_e32 vcc, 8, v0
	s_waitcnt lgkmcnt(0)
	s_barrier
	s_and_saveexec_b64 s[0:1], vcc
	s_cbranch_execz .LBB63_37
; %bb.36:
	ds_read_b128 v[2:5], v1 offset:256
	ds_read_b128 v[6:9], v1
	ds_read_b128 v[10:13], v1 offset:16
	ds_read_b128 v[14:17], v1 offset:272
	s_waitcnt lgkmcnt(2)
	v_add_u32_e32 v3, v7, v3
	v_add_u32_e32 v2, v6, v2
	;; [unrolled: 1-line block ×4, first 2 shown]
	ds_write_b128 v1, v[2:5]
	s_waitcnt lgkmcnt(1)
	v_add_u32_e32 v3, v11, v15
	v_add_u32_e32 v2, v10, v14
	;; [unrolled: 1-line block ×4, first 2 shown]
	ds_write_b128 v1, v[2:5] offset:16
.LBB63_37:
	s_or_b64 exec, exec, s[0:1]
	v_cmp_gt_u32_e64 s[0:1], 4, v0
	s_waitcnt lgkmcnt(0)
	s_barrier
	s_and_saveexec_b64 s[4:5], s[0:1]
	s_cbranch_execz .LBB63_39
; %bb.38:
	ds_read_b128 v[2:5], v1 offset:128
	ds_read_b128 v[6:9], v1
	ds_read_b128 v[10:13], v1 offset:16
	ds_read_b128 v[14:17], v1 offset:144
	s_waitcnt lgkmcnt(2)
	v_add_u32_e32 v3, v7, v3
	v_add_u32_e32 v2, v6, v2
	;; [unrolled: 1-line block ×4, first 2 shown]
	ds_write_b128 v1, v[2:5]
	s_waitcnt lgkmcnt(1)
	v_add_u32_e32 v3, v11, v15
	v_add_u32_e32 v2, v10, v14
	;; [unrolled: 1-line block ×4, first 2 shown]
	ds_write_b128 v1, v[2:5] offset:16
.LBB63_39:
	s_or_b64 exec, exec, s[4:5]
	v_cmp_gt_u32_e64 s[0:1], 2, v0
	s_waitcnt lgkmcnt(0)
	s_barrier
	s_and_saveexec_b64 s[4:5], s[0:1]
	s_cbranch_execz .LBB63_41
; %bb.40:
	ds_read_b128 v[2:5], v1 offset:64
	ds_read_b128 v[6:9], v1
	ds_read_b128 v[10:13], v1 offset:16
	ds_read_b128 v[14:17], v1 offset:80
	s_waitcnt lgkmcnt(2)
	v_add_u32_e32 v3, v7, v3
	v_add_u32_e32 v2, v6, v2
	;; [unrolled: 1-line block ×4, first 2 shown]
	ds_write_b128 v1, v[2:5]
	s_waitcnt lgkmcnt(1)
	v_add_u32_e32 v3, v11, v15
	v_add_u32_e32 v2, v10, v14
	;; [unrolled: 1-line block ×4, first 2 shown]
	ds_write_b128 v1, v[2:5] offset:16
.LBB63_41:
	s_or_b64 exec, exec, s[4:5]
	v_cmp_eq_u32_e64 s[0:1], 0, v0
	s_waitcnt lgkmcnt(0)
	s_barrier
	s_and_saveexec_b64 s[4:5], s[0:1]
	s_cbranch_execz .LBB63_43
; %bb.42:
	v_mov_b32_e32 v1, 0
	ds_read_b128 v[2:5], v1 offset:32
	ds_read_b128 v[6:9], v1
	ds_read_b128 v[10:13], v1 offset:16
	ds_read_b128 v[14:17], v1 offset:48
	s_waitcnt lgkmcnt(2)
	v_add_u32_e32 v3, v7, v3
	v_add_u32_e32 v2, v6, v2
	;; [unrolled: 1-line block ×4, first 2 shown]
	ds_write_b128 v1, v[2:5]
	s_waitcnt lgkmcnt(1)
	v_add_u32_e32 v3, v11, v15
	v_add_u32_e32 v2, v10, v14
	;; [unrolled: 1-line block ×4, first 2 shown]
	ds_write_b128 v1, v[2:5] offset:16
.LBB63_43:
	s_or_b64 exec, exec, s[4:5]
	s_waitcnt lgkmcnt(0)
	s_barrier
	s_and_saveexec_b64 s[0:1], vcc
	s_cbranch_execz .LBB63_45
; %bb.44:
	v_lshl_or_b32 v2, s6, 3, v0
	v_lshlrev_b32_e32 v0, 2, v0
	ds_read_b32 v4, v0
	v_mov_b32_e32 v3, 0
	v_lshlrev_b64 v[2:3], 2, v[2:3]
	v_mov_b32_e32 v1, s3
	v_add_co_u32_e32 v0, vcc, s2, v2
	v_addc_co_u32_e32 v1, vcc, v1, v3, vcc
	s_waitcnt lgkmcnt(0)
	global_store_dword v[0:1], v4, off
.LBB63_45:
	s_endpgm
	.section	.rodata,"a",@progbits
	.p2align	6, 0x0
	.amdhsa_kernel _ZN9rocsparseL26bsrgemm_group_reduce_part2ILj256ELj8ELj2E21rocsparse_complex_numIdEiiEEvT4_PKT3_PS3_Pi
		.amdhsa_group_segment_fixed_size 8192
		.amdhsa_private_segment_fixed_size 0
		.amdhsa_kernarg_size 288
		.amdhsa_user_sgpr_count 6
		.amdhsa_user_sgpr_private_segment_buffer 1
		.amdhsa_user_sgpr_dispatch_ptr 0
		.amdhsa_user_sgpr_queue_ptr 0
		.amdhsa_user_sgpr_kernarg_segment_ptr 1
		.amdhsa_user_sgpr_dispatch_id 0
		.amdhsa_user_sgpr_flat_scratch_init 0
		.amdhsa_user_sgpr_kernarg_preload_length 0
		.amdhsa_user_sgpr_kernarg_preload_offset 0
		.amdhsa_user_sgpr_private_segment_size 0
		.amdhsa_uses_dynamic_stack 0
		.amdhsa_system_sgpr_private_segment_wavefront_offset 0
		.amdhsa_system_sgpr_workgroup_id_x 1
		.amdhsa_system_sgpr_workgroup_id_y 0
		.amdhsa_system_sgpr_workgroup_id_z 0
		.amdhsa_system_sgpr_workgroup_info 0
		.amdhsa_system_vgpr_workitem_id 0
		.amdhsa_next_free_vgpr 18
		.amdhsa_next_free_sgpr 26
		.amdhsa_accum_offset 20
		.amdhsa_reserve_vcc 1
		.amdhsa_reserve_flat_scratch 0
		.amdhsa_float_round_mode_32 0
		.amdhsa_float_round_mode_16_64 0
		.amdhsa_float_denorm_mode_32 3
		.amdhsa_float_denorm_mode_16_64 3
		.amdhsa_dx10_clamp 1
		.amdhsa_ieee_mode 1
		.amdhsa_fp16_overflow 0
		.amdhsa_tg_split 0
		.amdhsa_exception_fp_ieee_invalid_op 0
		.amdhsa_exception_fp_denorm_src 0
		.amdhsa_exception_fp_ieee_div_zero 0
		.amdhsa_exception_fp_ieee_overflow 0
		.amdhsa_exception_fp_ieee_underflow 0
		.amdhsa_exception_fp_ieee_inexact 0
		.amdhsa_exception_int_div_zero 0
	.end_amdhsa_kernel
	.section	.text._ZN9rocsparseL26bsrgemm_group_reduce_part2ILj256ELj8ELj2E21rocsparse_complex_numIdEiiEEvT4_PKT3_PS3_Pi,"axG",@progbits,_ZN9rocsparseL26bsrgemm_group_reduce_part2ILj256ELj8ELj2E21rocsparse_complex_numIdEiiEEvT4_PKT3_PS3_Pi,comdat
.Lfunc_end63:
	.size	_ZN9rocsparseL26bsrgemm_group_reduce_part2ILj256ELj8ELj2E21rocsparse_complex_numIdEiiEEvT4_PKT3_PS3_Pi, .Lfunc_end63-_ZN9rocsparseL26bsrgemm_group_reduce_part2ILj256ELj8ELj2E21rocsparse_complex_numIdEiiEEvT4_PKT3_PS3_Pi
                                        ; -- End function
	.section	.AMDGPU.csdata,"",@progbits
; Kernel info:
; codeLenInByte = 1708
; NumSgprs: 30
; NumVgprs: 18
; NumAgprs: 0
; TotalNumVgprs: 18
; ScratchSize: 0
; MemoryBound: 0
; FloatMode: 240
; IeeeMode: 1
; LDSByteSize: 8192 bytes/workgroup (compile time only)
; SGPRBlocks: 3
; VGPRBlocks: 2
; NumSGPRsForWavesPerEU: 30
; NumVGPRsForWavesPerEU: 18
; AccumOffset: 20
; Occupancy: 8
; WaveLimiterHint : 0
; COMPUTE_PGM_RSRC2:SCRATCH_EN: 0
; COMPUTE_PGM_RSRC2:USER_SGPR: 6
; COMPUTE_PGM_RSRC2:TRAP_HANDLER: 0
; COMPUTE_PGM_RSRC2:TGID_X_EN: 1
; COMPUTE_PGM_RSRC2:TGID_Y_EN: 0
; COMPUTE_PGM_RSRC2:TGID_Z_EN: 0
; COMPUTE_PGM_RSRC2:TIDIG_COMP_CNT: 0
; COMPUTE_PGM_RSRC3_GFX90A:ACCUM_OFFSET: 4
; COMPUTE_PGM_RSRC3_GFX90A:TG_SPLIT: 0
	.section	.text._ZN9rocsparseL26bsrgemm_group_reduce_part2ILj256ELj8ELj8E21rocsparse_complex_numIdEiiEEvT4_PKT3_PS3_Pi,"axG",@progbits,_ZN9rocsparseL26bsrgemm_group_reduce_part2ILj256ELj8ELj8E21rocsparse_complex_numIdEiiEEvT4_PKT3_PS3_Pi,comdat
	.globl	_ZN9rocsparseL26bsrgemm_group_reduce_part2ILj256ELj8ELj8E21rocsparse_complex_numIdEiiEEvT4_PKT3_PS3_Pi ; -- Begin function _ZN9rocsparseL26bsrgemm_group_reduce_part2ILj256ELj8ELj8E21rocsparse_complex_numIdEiiEEvT4_PKT3_PS3_Pi
	.p2align	8
	.type	_ZN9rocsparseL26bsrgemm_group_reduce_part2ILj256ELj8ELj8E21rocsparse_complex_numIdEiiEEvT4_PKT3_PS3_Pi,@function
_ZN9rocsparseL26bsrgemm_group_reduce_part2ILj256ELj8ELj8E21rocsparse_complex_numIdEiiEEvT4_PKT3_PS3_Pi: ; @_ZN9rocsparseL26bsrgemm_group_reduce_part2ILj256ELj8ELj8E21rocsparse_complex_numIdEiiEEvT4_PKT3_PS3_Pi
; %bb.0:
	s_mov_b32 s8, 0
	s_load_dword s7, s[4:5], 0x0
	s_load_dwordx2 s[2:3], s[4:5], 0x10
	s_mov_b32 s9, s8
	s_mov_b32 s10, s8
	;; [unrolled: 1-line block ×3, first 2 shown]
	v_pk_mov_b32 v[2:3], s[8:9], s[8:9] op_sel:[0,1]
	v_lshlrev_b32_e32 v1, 5, v0
	v_pk_mov_b32 v[4:5], s[10:11], s[10:11] op_sel:[0,1]
	ds_write_b128 v1, v[2:5]
	ds_write_b128 v1, v[2:5] offset:16
	v_lshl_or_b32 v2, s6, 8, v0
	s_waitcnt lgkmcnt(0)
	v_cmp_gt_i32_e32 vcc, s7, v2
	s_and_saveexec_b64 s[8:9], vcc
	s_cbranch_execz .LBB64_31
; %bb.1:
	s_load_dword s0, s[4:5], 0x20
	s_load_dwordx2 s[10:11], s[4:5], 0x8
	s_load_dwordx2 s[12:13], s[4:5], 0x18
	s_mov_b64 s[4:5], 0
	s_movk_i32 s27, 0x100
	s_waitcnt lgkmcnt(0)
	s_lshl_b32 s26, s0, 8
	v_mov_b32_e32 v6, s11
	s_movk_i32 s11, 0x80
	s_movk_i32 s28, 0x200
	v_mov_b32_e32 v7, 7
	v_mov_b32_e32 v8, 6
	;; [unrolled: 1-line block ×8, first 2 shown]
	s_branch .LBB64_3
.LBB64_2:                               ;   in Loop: Header=BB64_3 Depth=1
	s_or_b64 exec, exec, s[0:1]
	v_add_u32_e32 v2, s26, v2
	v_cmp_le_i32_e32 vcc, s7, v2
	s_or_b64 s[4:5], vcc, s[4:5]
	s_andn2_b64 exec, exec, s[4:5]
	s_cbranch_execz .LBB64_31
.LBB64_3:                               ; =>This Inner Loop Header: Depth=1
	v_ashrrev_i32_e32 v3, 31, v2
	v_lshlrev_b64 v[4:5], 2, v[2:3]
	v_add_co_u32_e32 v16, vcc, s10, v4
	v_addc_co_u32_e32 v17, vcc, v6, v5, vcc
	global_load_dwordx2 v[16:17], v[16:17], off
	s_waitcnt vmcnt(0)
	v_sub_u32_e32 v3, v17, v16
	v_cmp_lt_i32_e32 vcc, 8, v3
	s_and_saveexec_b64 s[0:1], vcc
	s_xor_b64 s[14:15], exec, s[0:1]
	s_cbranch_execz .LBB64_29
; %bb.4:                                ;   in Loop: Header=BB64_3 Depth=1
	v_cmp_lt_u32_e32 vcc, 16, v3
	s_and_saveexec_b64 s[0:1], vcc
	s_xor_b64 s[16:17], exec, s[0:1]
	s_cbranch_execz .LBB64_26
; %bb.5:                                ;   in Loop: Header=BB64_3 Depth=1
	v_cmp_lt_u32_e32 vcc, 32, v3
	;; [unrolled: 5-line block ×6, first 2 shown]
	v_mov_b32_e32 v3, s13
	v_add_co_u32_e64 v4, s[0:1], s12, v4
	v_addc_co_u32_e64 v5, s[0:1], v3, v5, s[0:1]
	s_and_saveexec_b64 s[0:1], vcc
	s_xor_b64 s[0:1], exec, s[0:1]
	s_cbranch_execz .LBB64_11
; %bb.10:                               ;   in Loop: Header=BB64_3 Depth=1
	ds_read_b32 v3, v1 offset:28
	global_store_dword v[4:5], v7, off
                                        ; implicit-def: $vgpr4_vgpr5
	s_waitcnt lgkmcnt(0)
	v_add_u32_e32 v3, 1, v3
	ds_write_b32 v1, v3 offset:28
.LBB64_11:                              ;   in Loop: Header=BB64_3 Depth=1
	s_andn2_saveexec_b64 s[0:1], s[0:1]
	s_cbranch_execz .LBB64_13
; %bb.12:                               ;   in Loop: Header=BB64_3 Depth=1
	ds_read_b32 v3, v1 offset:24
	global_store_dword v[4:5], v8, off
	s_waitcnt lgkmcnt(0)
	v_add_u32_e32 v3, 1, v3
	ds_write_b32 v1, v3 offset:24
.LBB64_13:                              ;   in Loop: Header=BB64_3 Depth=1
	s_or_b64 exec, exec, s[0:1]
                                        ; implicit-def: $vgpr4_vgpr5
.LBB64_14:                              ;   in Loop: Header=BB64_3 Depth=1
	s_andn2_saveexec_b64 s[0:1], s[24:25]
	s_cbranch_execz .LBB64_16
; %bb.15:                               ;   in Loop: Header=BB64_3 Depth=1
	ds_read_b32 v3, v1 offset:20
	v_mov_b32_e32 v15, s13
	v_add_co_u32_e32 v4, vcc, s12, v4
	v_addc_co_u32_e32 v5, vcc, v15, v5, vcc
	s_waitcnt lgkmcnt(0)
	v_add_u32_e32 v3, 1, v3
	ds_write_b32 v1, v3 offset:20
	global_store_dword v[4:5], v9, off
.LBB64_16:                              ;   in Loop: Header=BB64_3 Depth=1
	s_or_b64 exec, exec, s[0:1]
                                        ; implicit-def: $vgpr4_vgpr5
.LBB64_17:                              ;   in Loop: Header=BB64_3 Depth=1
	s_andn2_saveexec_b64 s[0:1], s[22:23]
	s_cbranch_execz .LBB64_19
; %bb.18:                               ;   in Loop: Header=BB64_3 Depth=1
	ds_read_b32 v3, v1 offset:16
	v_mov_b32_e32 v15, s13
	v_add_co_u32_e32 v4, vcc, s12, v4
	v_addc_co_u32_e32 v5, vcc, v15, v5, vcc
	s_waitcnt lgkmcnt(0)
	v_add_u32_e32 v3, 1, v3
	ds_write_b32 v1, v3 offset:16
	global_store_dword v[4:5], v10, off
.LBB64_19:                              ;   in Loop: Header=BB64_3 Depth=1
	s_or_b64 exec, exec, s[0:1]
                                        ; implicit-def: $vgpr4_vgpr5
.LBB64_20:                              ;   in Loop: Header=BB64_3 Depth=1
	s_andn2_saveexec_b64 s[0:1], s[20:21]
	s_cbranch_execz .LBB64_22
; %bb.21:                               ;   in Loop: Header=BB64_3 Depth=1
	ds_read_b32 v3, v1 offset:12
	v_mov_b32_e32 v15, s13
	v_add_co_u32_e32 v4, vcc, s12, v4
	v_addc_co_u32_e32 v5, vcc, v15, v5, vcc
	s_waitcnt lgkmcnt(0)
	v_add_u32_e32 v3, 1, v3
	ds_write_b32 v1, v3 offset:12
	global_store_dword v[4:5], v11, off
.LBB64_22:                              ;   in Loop: Header=BB64_3 Depth=1
	s_or_b64 exec, exec, s[0:1]
                                        ; implicit-def: $vgpr4_vgpr5
.LBB64_23:                              ;   in Loop: Header=BB64_3 Depth=1
	s_andn2_saveexec_b64 s[0:1], s[18:19]
	s_cbranch_execz .LBB64_25
; %bb.24:                               ;   in Loop: Header=BB64_3 Depth=1
	ds_read_b32 v3, v1 offset:8
	v_mov_b32_e32 v15, s13
	v_add_co_u32_e32 v4, vcc, s12, v4
	v_addc_co_u32_e32 v5, vcc, v15, v5, vcc
	s_waitcnt lgkmcnt(0)
	v_add_u32_e32 v3, 1, v3
	ds_write_b32 v1, v3 offset:8
	global_store_dword v[4:5], v12, off
.LBB64_25:                              ;   in Loop: Header=BB64_3 Depth=1
	s_or_b64 exec, exec, s[0:1]
                                        ; implicit-def: $vgpr4_vgpr5
.LBB64_26:                              ;   in Loop: Header=BB64_3 Depth=1
	s_andn2_saveexec_b64 s[0:1], s[16:17]
	s_cbranch_execz .LBB64_28
; %bb.27:                               ;   in Loop: Header=BB64_3 Depth=1
	ds_read_b32 v3, v1 offset:4
	v_mov_b32_e32 v15, s13
	v_add_co_u32_e32 v4, vcc, s12, v4
	v_addc_co_u32_e32 v5, vcc, v15, v5, vcc
	s_waitcnt lgkmcnt(0)
	v_add_u32_e32 v3, 1, v3
	ds_write_b32 v1, v3 offset:4
	global_store_dword v[4:5], v13, off
.LBB64_28:                              ;   in Loop: Header=BB64_3 Depth=1
	s_or_b64 exec, exec, s[0:1]
                                        ; implicit-def: $vgpr4_vgpr5
.LBB64_29:                              ;   in Loop: Header=BB64_3 Depth=1
	s_andn2_saveexec_b64 s[0:1], s[14:15]
	s_cbranch_execz .LBB64_2
; %bb.30:                               ;   in Loop: Header=BB64_3 Depth=1
	ds_read_b32 v3, v1
	v_mov_b32_e32 v15, s13
	v_add_co_u32_e32 v4, vcc, s12, v4
	v_addc_co_u32_e32 v5, vcc, v15, v5, vcc
	s_waitcnt lgkmcnt(0)
	v_add_u32_e32 v3, 1, v3
	ds_write_b32 v1, v3
	global_store_dword v[4:5], v14, off
	s_branch .LBB64_2
.LBB64_31:
	s_or_b64 exec, exec, s[8:9]
	s_movk_i32 s0, 0x80
	v_cmp_gt_u32_e32 vcc, s0, v0
	s_waitcnt lgkmcnt(0)
	s_barrier
	s_barrier
	;; [unrolled: 1-line block ×3, first 2 shown]
	s_and_saveexec_b64 s[0:1], vcc
	s_cbranch_execz .LBB64_33
; %bb.32:
	ds_read_b128 v[2:5], v1 offset:4096
	ds_read_b128 v[6:9], v1
	ds_read_b128 v[10:13], v1 offset:16
	ds_read_b128 v[14:17], v1 offset:4112
	s_waitcnt lgkmcnt(2)
	v_add_u32_e32 v3, v7, v3
	v_add_u32_e32 v2, v6, v2
	v_add_u32_e32 v5, v9, v5
	v_add_u32_e32 v4, v8, v4
	ds_write_b128 v1, v[2:5]
	s_waitcnt lgkmcnt(1)
	v_add_u32_e32 v3, v11, v15
	v_add_u32_e32 v2, v10, v14
	v_add_u32_e32 v5, v13, v17
	v_add_u32_e32 v4, v12, v16
	ds_write_b128 v1, v[2:5] offset:16
.LBB64_33:
	s_or_b64 exec, exec, s[0:1]
	v_cmp_gt_u32_e32 vcc, 64, v0
	s_waitcnt lgkmcnt(0)
	s_barrier
	s_and_saveexec_b64 s[0:1], vcc
	s_cbranch_execz .LBB64_35
; %bb.34:
	ds_read_b128 v[2:5], v1 offset:2048
	ds_read_b128 v[6:9], v1
	ds_read_b128 v[10:13], v1 offset:16
	ds_read_b128 v[14:17], v1 offset:2064
	s_waitcnt lgkmcnt(2)
	v_add_u32_e32 v3, v7, v3
	v_add_u32_e32 v2, v6, v2
	v_add_u32_e32 v5, v9, v5
	v_add_u32_e32 v4, v8, v4
	ds_write_b128 v1, v[2:5]
	s_waitcnt lgkmcnt(1)
	v_add_u32_e32 v3, v11, v15
	v_add_u32_e32 v2, v10, v14
	v_add_u32_e32 v5, v13, v17
	v_add_u32_e32 v4, v12, v16
	ds_write_b128 v1, v[2:5] offset:16
.LBB64_35:
	s_or_b64 exec, exec, s[0:1]
	v_cmp_gt_u32_e32 vcc, 32, v0
	s_waitcnt lgkmcnt(0)
	s_barrier
	;; [unrolled: 24-line block ×4, first 2 shown]
	s_and_saveexec_b64 s[0:1], vcc
	s_cbranch_execz .LBB64_41
; %bb.40:
	ds_read_b128 v[2:5], v1 offset:256
	ds_read_b128 v[6:9], v1
	ds_read_b128 v[10:13], v1 offset:16
	ds_read_b128 v[14:17], v1 offset:272
	s_waitcnt lgkmcnt(2)
	v_add_u32_e32 v3, v7, v3
	v_add_u32_e32 v2, v6, v2
	;; [unrolled: 1-line block ×4, first 2 shown]
	ds_write_b128 v1, v[2:5]
	s_waitcnt lgkmcnt(1)
	v_add_u32_e32 v3, v11, v15
	v_add_u32_e32 v2, v10, v14
	;; [unrolled: 1-line block ×4, first 2 shown]
	ds_write_b128 v1, v[2:5] offset:16
.LBB64_41:
	s_or_b64 exec, exec, s[0:1]
	v_cmp_gt_u32_e64 s[0:1], 4, v0
	s_waitcnt lgkmcnt(0)
	s_barrier
	s_and_saveexec_b64 s[4:5], s[0:1]
	s_cbranch_execz .LBB64_43
; %bb.42:
	ds_read_b128 v[2:5], v1 offset:128
	ds_read_b128 v[6:9], v1
	ds_read_b128 v[10:13], v1 offset:16
	ds_read_b128 v[14:17], v1 offset:144
	s_waitcnt lgkmcnt(2)
	v_add_u32_e32 v3, v7, v3
	v_add_u32_e32 v2, v6, v2
	;; [unrolled: 1-line block ×4, first 2 shown]
	ds_write_b128 v1, v[2:5]
	s_waitcnt lgkmcnt(1)
	v_add_u32_e32 v3, v11, v15
	v_add_u32_e32 v2, v10, v14
	;; [unrolled: 1-line block ×4, first 2 shown]
	ds_write_b128 v1, v[2:5] offset:16
.LBB64_43:
	s_or_b64 exec, exec, s[4:5]
	v_cmp_gt_u32_e64 s[0:1], 2, v0
	s_waitcnt lgkmcnt(0)
	s_barrier
	s_and_saveexec_b64 s[4:5], s[0:1]
	s_cbranch_execz .LBB64_45
; %bb.44:
	ds_read_b128 v[2:5], v1 offset:64
	ds_read_b128 v[6:9], v1
	ds_read_b128 v[10:13], v1 offset:16
	ds_read_b128 v[14:17], v1 offset:80
	s_waitcnt lgkmcnt(2)
	v_add_u32_e32 v3, v7, v3
	v_add_u32_e32 v2, v6, v2
	;; [unrolled: 1-line block ×4, first 2 shown]
	ds_write_b128 v1, v[2:5]
	s_waitcnt lgkmcnt(1)
	v_add_u32_e32 v3, v11, v15
	v_add_u32_e32 v2, v10, v14
	;; [unrolled: 1-line block ×4, first 2 shown]
	ds_write_b128 v1, v[2:5] offset:16
.LBB64_45:
	s_or_b64 exec, exec, s[4:5]
	v_cmp_eq_u32_e64 s[0:1], 0, v0
	s_waitcnt lgkmcnt(0)
	s_barrier
	s_and_saveexec_b64 s[4:5], s[0:1]
	s_cbranch_execz .LBB64_47
; %bb.46:
	v_mov_b32_e32 v1, 0
	ds_read_b128 v[2:5], v1 offset:32
	ds_read_b128 v[6:9], v1
	ds_read_b128 v[10:13], v1 offset:16
	ds_read_b128 v[14:17], v1 offset:48
	s_waitcnt lgkmcnt(2)
	v_add_u32_e32 v3, v7, v3
	v_add_u32_e32 v2, v6, v2
	v_add_u32_e32 v5, v9, v5
	v_add_u32_e32 v4, v8, v4
	ds_write_b128 v1, v[2:5]
	s_waitcnt lgkmcnt(1)
	v_add_u32_e32 v3, v11, v15
	v_add_u32_e32 v2, v10, v14
	;; [unrolled: 1-line block ×4, first 2 shown]
	ds_write_b128 v1, v[2:5] offset:16
.LBB64_47:
	s_or_b64 exec, exec, s[4:5]
	s_waitcnt lgkmcnt(0)
	s_barrier
	s_and_saveexec_b64 s[0:1], vcc
	s_cbranch_execz .LBB64_49
; %bb.48:
	v_lshl_or_b32 v2, s6, 3, v0
	v_lshlrev_b32_e32 v0, 2, v0
	ds_read_b32 v4, v0
	v_mov_b32_e32 v3, 0
	v_lshlrev_b64 v[2:3], 2, v[2:3]
	v_mov_b32_e32 v1, s3
	v_add_co_u32_e32 v0, vcc, s2, v2
	v_addc_co_u32_e32 v1, vcc, v1, v3, vcc
	s_waitcnt lgkmcnt(0)
	global_store_dword v[0:1], v4, off
.LBB64_49:
	s_endpgm
	.section	.rodata,"a",@progbits
	.p2align	6, 0x0
	.amdhsa_kernel _ZN9rocsparseL26bsrgemm_group_reduce_part2ILj256ELj8ELj8E21rocsparse_complex_numIdEiiEEvT4_PKT3_PS3_Pi
		.amdhsa_group_segment_fixed_size 8192
		.amdhsa_private_segment_fixed_size 0
		.amdhsa_kernarg_size 288
		.amdhsa_user_sgpr_count 6
		.amdhsa_user_sgpr_private_segment_buffer 1
		.amdhsa_user_sgpr_dispatch_ptr 0
		.amdhsa_user_sgpr_queue_ptr 0
		.amdhsa_user_sgpr_kernarg_segment_ptr 1
		.amdhsa_user_sgpr_dispatch_id 0
		.amdhsa_user_sgpr_flat_scratch_init 0
		.amdhsa_user_sgpr_kernarg_preload_length 0
		.amdhsa_user_sgpr_kernarg_preload_offset 0
		.amdhsa_user_sgpr_private_segment_size 0
		.amdhsa_uses_dynamic_stack 0
		.amdhsa_system_sgpr_private_segment_wavefront_offset 0
		.amdhsa_system_sgpr_workgroup_id_x 1
		.amdhsa_system_sgpr_workgroup_id_y 0
		.amdhsa_system_sgpr_workgroup_id_z 0
		.amdhsa_system_sgpr_workgroup_info 0
		.amdhsa_system_vgpr_workitem_id 0
		.amdhsa_next_free_vgpr 18
		.amdhsa_next_free_sgpr 29
		.amdhsa_accum_offset 20
		.amdhsa_reserve_vcc 1
		.amdhsa_reserve_flat_scratch 0
		.amdhsa_float_round_mode_32 0
		.amdhsa_float_round_mode_16_64 0
		.amdhsa_float_denorm_mode_32 3
		.amdhsa_float_denorm_mode_16_64 3
		.amdhsa_dx10_clamp 1
		.amdhsa_ieee_mode 1
		.amdhsa_fp16_overflow 0
		.amdhsa_tg_split 0
		.amdhsa_exception_fp_ieee_invalid_op 0
		.amdhsa_exception_fp_denorm_src 0
		.amdhsa_exception_fp_ieee_div_zero 0
		.amdhsa_exception_fp_ieee_overflow 0
		.amdhsa_exception_fp_ieee_underflow 0
		.amdhsa_exception_fp_ieee_inexact 0
		.amdhsa_exception_int_div_zero 0
	.end_amdhsa_kernel
	.section	.text._ZN9rocsparseL26bsrgemm_group_reduce_part2ILj256ELj8ELj8E21rocsparse_complex_numIdEiiEEvT4_PKT3_PS3_Pi,"axG",@progbits,_ZN9rocsparseL26bsrgemm_group_reduce_part2ILj256ELj8ELj8E21rocsparse_complex_numIdEiiEEvT4_PKT3_PS3_Pi,comdat
.Lfunc_end64:
	.size	_ZN9rocsparseL26bsrgemm_group_reduce_part2ILj256ELj8ELj8E21rocsparse_complex_numIdEiiEEvT4_PKT3_PS3_Pi, .Lfunc_end64-_ZN9rocsparseL26bsrgemm_group_reduce_part2ILj256ELj8ELj8E21rocsparse_complex_numIdEiiEEvT4_PKT3_PS3_Pi
                                        ; -- End function
	.section	.AMDGPU.csdata,"",@progbits
; Kernel info:
; codeLenInByte = 1788
; NumSgprs: 33
; NumVgprs: 18
; NumAgprs: 0
; TotalNumVgprs: 18
; ScratchSize: 0
; MemoryBound: 0
; FloatMode: 240
; IeeeMode: 1
; LDSByteSize: 8192 bytes/workgroup (compile time only)
; SGPRBlocks: 4
; VGPRBlocks: 2
; NumSGPRsForWavesPerEU: 33
; NumVGPRsForWavesPerEU: 18
; AccumOffset: 20
; Occupancy: 8
; WaveLimiterHint : 0
; COMPUTE_PGM_RSRC2:SCRATCH_EN: 0
; COMPUTE_PGM_RSRC2:USER_SGPR: 6
; COMPUTE_PGM_RSRC2:TRAP_HANDLER: 0
; COMPUTE_PGM_RSRC2:TGID_X_EN: 1
; COMPUTE_PGM_RSRC2:TGID_Y_EN: 0
; COMPUTE_PGM_RSRC2:TGID_Z_EN: 0
; COMPUTE_PGM_RSRC2:TIDIG_COMP_CNT: 0
; COMPUTE_PGM_RSRC3_GFX90A:ACCUM_OFFSET: 4
; COMPUTE_PGM_RSRC3_GFX90A:TG_SPLIT: 0
	.section	.text._ZN9rocsparseL27bsrgemm_fill_wf_per_row_2x2ILj256ELj16ELj8ELj137Eii21rocsparse_complex_numIdEEEv20rocsparse_direction_T4_S4_PKS4_S6_NS_24const_host_device_scalarIT5_EEPKT3_S6_PKS8_SC_S6_SE_S9_SC_S6_SE_SC_PS4_PS8_21rocsparse_index_base_SH_SH_SH_bbb,"axG",@progbits,_ZN9rocsparseL27bsrgemm_fill_wf_per_row_2x2ILj256ELj16ELj8ELj137Eii21rocsparse_complex_numIdEEEv20rocsparse_direction_T4_S4_PKS4_S6_NS_24const_host_device_scalarIT5_EEPKT3_S6_PKS8_SC_S6_SE_S9_SC_S6_SE_SC_PS4_PS8_21rocsparse_index_base_SH_SH_SH_bbb,comdat
	.globl	_ZN9rocsparseL27bsrgemm_fill_wf_per_row_2x2ILj256ELj16ELj8ELj137Eii21rocsparse_complex_numIdEEEv20rocsparse_direction_T4_S4_PKS4_S6_NS_24const_host_device_scalarIT5_EEPKT3_S6_PKS8_SC_S6_SE_S9_SC_S6_SE_SC_PS4_PS8_21rocsparse_index_base_SH_SH_SH_bbb ; -- Begin function _ZN9rocsparseL27bsrgemm_fill_wf_per_row_2x2ILj256ELj16ELj8ELj137Eii21rocsparse_complex_numIdEEEv20rocsparse_direction_T4_S4_PKS4_S6_NS_24const_host_device_scalarIT5_EEPKT3_S6_PKS8_SC_S6_SE_S9_SC_S6_SE_SC_PS4_PS8_21rocsparse_index_base_SH_SH_SH_bbb
	.p2align	8
	.type	_ZN9rocsparseL27bsrgemm_fill_wf_per_row_2x2ILj256ELj16ELj8ELj137Eii21rocsparse_complex_numIdEEEv20rocsparse_direction_T4_S4_PKS4_S6_NS_24const_host_device_scalarIT5_EEPKT3_S6_PKS8_SC_S6_SE_S9_SC_S6_SE_SC_PS4_PS8_21rocsparse_index_base_SH_SH_SH_bbb,@function
_ZN9rocsparseL27bsrgemm_fill_wf_per_row_2x2ILj256ELj16ELj8ELj137Eii21rocsparse_complex_numIdEEEv20rocsparse_direction_T4_S4_PKS4_S6_NS_24const_host_device_scalarIT5_EEPKT3_S6_PKS8_SC_S6_SE_S9_SC_S6_SE_SC_PS4_PS8_21rocsparse_index_base_SH_SH_SH_bbb: ; @_ZN9rocsparseL27bsrgemm_fill_wf_per_row_2x2ILj256ELj16ELj8ELj137Eii21rocsparse_complex_numIdEEEv20rocsparse_direction_T4_S4_PKS4_S6_NS_24const_host_device_scalarIT5_EEPKT3_S6_PKS8_SC_S6_SE_S9_SC_S6_SE_SC_PS4_PS8_21rocsparse_index_base_SH_SH_SH_bbb
; %bb.0:
	s_add_u32 flat_scratch_lo, s6, s9
	s_addc_u32 flat_scratch_hi, s7, 0
	s_add_u32 s0, s0, s9
	s_load_dword s9, s[4:5], 0xb0
	s_load_dwordx4 s[16:19], s[4:5], 0x20
	s_load_dwordx4 s[12:15], s[4:5], 0x60
	s_addc_u32 s1, s1, 0
	v_pk_mov_b32 v[16:17], 0, 0
	s_waitcnt lgkmcnt(0)
	s_bitcmp1_b32 s9, 0
	v_mov_b32_e32 v1, s17
	s_cselect_b64 s[52:53], -1, 0
	s_bitcmp1_b32 s9, 16
	buffer_store_dword v1, off, s[0:3], 0 offset:4
	v_mov_b32_e32 v1, s16
	s_cselect_b64 s[6:7], -1, 0
	buffer_store_dword v1, off, s[0:3], 0
	v_mov_b32_e32 v1, s13
	buffer_store_dword v1, off, s[0:3], 0 offset:12
	v_mov_b32_e32 v1, s12
	s_xor_b64 s[10:11], s[6:7], -1
	buffer_store_dword v1, off, s[0:3], 0 offset:8
	v_cndmask_b32_e64 v1, 0, 1, s[10:11]
	s_bitcmp0_b32 s9, 0
	v_cmp_ne_u32_e64 s[10:11], 1, v1
	v_pk_mov_b32 v[22:23], v[16:17], v[16:17] op_sel:[0,1]
	v_pk_mov_b32 v[24:25], v[16:17], v[16:17] op_sel:[0,1]
	s_cbranch_scc1 .LBB65_3
; %bb.1:
	s_mov_b64 s[20:21], src_private_base
	s_and_b64 s[22:23], s[6:7], exec
	s_cselect_b32 s20, s21, s17
	v_mov_b32_e32 v1, 0
	v_mov_b32_e32 v2, s16
	v_cndmask_b32_e64 v2, v2, v1, s[6:7]
	v_mov_b32_e32 v3, s20
	flat_load_dwordx2 v[22:23], v[2:3]
	s_and_b64 vcc, exec, s[10:11]
	v_pk_mov_b32 v[24:25], s[18:19], s[18:19] op_sel:[0,1]
	s_cbranch_vccnz .LBB65_3
; %bb.2:
	v_pk_mov_b32 v[2:3], s[16:17], s[16:17] op_sel:[0,1]
	flat_load_dwordx2 v[24:25], v[2:3] offset:8
.LBB65_3:
	s_load_dwordx4 s[28:31], s[4:5], 0xa0
	s_bitcmp1_b32 s9, 8
	s_cselect_b64 s[34:35], -1, 0
	s_bfe_u32 s9, s9, 0x10008
	s_cmp_eq_u32 s9, 0
	v_pk_mov_b32 v[18:19], v[16:17], v[16:17] op_sel:[0,1]
	s_cbranch_scc1 .LBB65_6
; %bb.4:
	s_mov_b64 s[16:17], src_private_base
	s_and_b64 s[18:19], s[6:7], exec
	s_cselect_b32 s9, s17, s13
	v_mov_b32_e32 v1, 8
	v_mov_b32_e32 v2, s12
	v_cndmask_b32_e64 v2, v2, v1, s[6:7]
	v_mov_b32_e32 v3, s9
	flat_load_dwordx2 v[18:19], v[2:3]
	s_and_b64 vcc, exec, s[10:11]
	v_pk_mov_b32 v[16:17], s[14:15], s[14:15] op_sel:[0,1]
	s_cbranch_vccnz .LBB65_6
; %bb.5:
	v_pk_mov_b32 v[2:3], s[12:13], s[12:13] op_sel:[0,1]
	flat_load_dwordx2 v[16:17], v[2:3] offset:8
.LBB65_6:
	s_load_dwordx4 s[44:47], s[4:5], 0x90
	s_load_dwordx8 s[12:19], s[4:5], 0x70
	s_load_dwordx4 s[48:51], s[4:5], 0x50
	s_load_dwordx8 s[20:27], s[4:5], 0x0
	s_load_dwordx8 s[36:43], s[4:5], 0x30
	v_and_b32_e32 v50, 15, v0
	v_lshrrev_b32_e32 v4, 4, v0
	v_mov_b32_e32 v0, 0x2000
	v_lshl_or_b32 v51, v4, 5, v0
	v_cmp_gt_u32_e64 s[4:5], 8, v50
	s_and_saveexec_b64 s[6:7], s[4:5]
	s_cbranch_execz .LBB65_8
; %bb.7:
	v_lshl_add_u32 v0, v50, 2, v51
	s_waitcnt lgkmcnt(0)
	v_mov_b32_e32 v1, s22
	ds_write_b32 v0, v1
.LBB65_8:
	s_or_b64 exec, exec, s[6:7]
	v_lshlrev_b32_e32 v0, 4, v50
	v_lshl_or_b32 v6, v4, 9, v0
	v_mov_b32_e32 v0, 0
	v_or_b32_e32 v5, -16, v50
	s_mov_b64 s[6:7], 0
	v_mov_b32_e32 v1, v0
	v_mov_b32_e32 v2, v0
	;; [unrolled: 1-line block ×3, first 2 shown]
.LBB65_9:                               ; =>This Inner Loop Header: Depth=1
	v_add_co_u32_e32 v5, vcc, 16, v5
	s_xor_b64 s[10:11], vcc, -1
	s_and_b64 s[10:11], exec, s[10:11]
	ds_write_b128 v6, v[0:3]
	s_or_b64 s[6:7], s[10:11], s[6:7]
	v_add_u32_e32 v6, 0x100, v6
	s_andn2_b64 exec, exec, s[6:7]
	s_cbranch_execnz .LBB65_9
; %bb.10:
	s_or_b64 exec, exec, s[6:7]
	v_lshl_or_b32 v20, s8, 4, v4
	s_waitcnt lgkmcnt(0)
	v_cmp_gt_i32_e32 vcc, s21, v20
	s_barrier
	s_and_saveexec_b64 s[6:7], vcc
	s_cbranch_execz .LBB65_16
; %bb.11:
	s_cmp_eq_u64 s[26:27], 0
	s_cbranch_scc1 .LBB65_13
; %bb.12:
	s_load_dword s6, s[24:25], 0x0
	v_mov_b32_e32 v2, s27
	s_waitcnt lgkmcnt(0)
	v_add_u32_e32 v0, s6, v20
	v_ashrrev_i32_e32 v1, 31, v0
	v_lshlrev_b64 v[0:1], 2, v[0:1]
	v_add_co_u32_e32 v0, vcc, s26, v0
	v_addc_co_u32_e32 v1, vcc, v2, v1, vcc
	global_load_dword v20, v[0:1], off
.LBB65_13:
	v_lshlrev_b32_e32 v52, 9, v4
	s_andn2_b64 vcc, exec, s[52:53]
	s_waitcnt vmcnt(0)
	v_ashrrev_i32_e32 v21, 31, v20
	s_cbranch_vccz .LBB65_17
; %bb.14:
	s_andn2_b64 vcc, exec, s[34:35]
	s_cbranch_vccz .LBB65_72
.LBB65_15:
	s_and_b64 exec, exec, s[4:5]
	s_cbranch_execnz .LBB65_124
.LBB65_16:
	s_endpgm
.LBB65_17:
	v_lshlrev_b64 v[0:1], 2, v[20:21]
	v_mov_b32_e32 v2, s37
	v_add_co_u32_e32 v0, vcc, s36, v0
	v_addc_co_u32_e32 v1, vcc, v2, v1, vcc
	global_load_dwordx2 v[0:1], v[0:1], off
	v_subrev_u32_e32 v2, s28, v50
	s_waitcnt vmcnt(0)
	v_subrev_u32_e32 v53, s28, v1
	v_add_u32_e32 v26, v0, v2
	v_cmp_lt_i32_e32 vcc, v26, v53
	s_and_saveexec_b64 s[6:7], vcc
	s_cbranch_execz .LBB65_71
; %bb.18:
	s_cmp_eq_u32 s20, 0
	s_cselect_b32 s21, 1, 2
	s_cselect_b32 s23, 2, 1
	v_add_u32_e32 v54, 16, v52
	v_add_u32_e32 v55, 32, v52
	;; [unrolled: 1-line block ×3, first 2 shown]
	s_mov_b64 s[8:9], 0
	v_mov_b32_e32 v57, s39
	v_mov_b32_e32 v58, s43
	s_branch .LBB65_20
.LBB65_19:                              ;   in Loop: Header=BB65_20 Depth=1
	s_or_b64 exec, exec, s[10:11]
	v_add_u32_e32 v26, 16, v26
	v_cmp_ge_i32_e32 vcc, v26, v53
	s_or_b64 s[8:9], vcc, s[8:9]
	s_andn2_b64 exec, exec, s[8:9]
	s_cbranch_execz .LBB65_71
.LBB65_20:                              ; =>This Loop Header: Depth=1
                                        ;     Child Loop BB65_23 Depth 2
                                        ;       Child Loop BB65_25 Depth 3
                                        ;       Child Loop BB65_37 Depth 3
	;; [unrolled: 1-line block ×4, first 2 shown]
	v_ashrrev_i32_e32 v27, 31, v26
	v_lshlrev_b64 v[0:1], 2, v[26:27]
	v_add_co_u32_e32 v0, vcc, s38, v0
	v_addc_co_u32_e32 v1, vcc, v57, v1, vcc
	global_load_dword v0, v[0:1], off
	s_waitcnt vmcnt(0)
	v_subrev_u32_e32 v0, s28, v0
	v_ashrrev_i32_e32 v1, 31, v0
	v_lshlrev_b64 v[0:1], 2, v[0:1]
	v_add_co_u32_e32 v0, vcc, s42, v0
	v_addc_co_u32_e32 v1, vcc, v58, v1, vcc
	global_load_dwordx2 v[0:1], v[0:1], off
	s_waitcnt vmcnt(0)
	v_cmp_lt_i32_e32 vcc, v0, v1
	s_and_saveexec_b64 s[10:11], vcc
	s_cbranch_execz .LBB65_19
; %bb.21:                               ;   in Loop: Header=BB65_20 Depth=1
	v_lshlrev_b32_e32 v14, 2, v26
	v_ashrrev_i32_e32 v15, 31, v14
	v_lshlrev_b64 v[2:3], 4, v[14:15]
	v_mov_b32_e32 v27, s41
	v_add_co_u32_e32 v10, vcc, s40, v2
	v_addc_co_u32_e32 v11, vcc, v27, v3, vcc
	global_load_dwordx4 v[2:5], v[10:11], off
	global_load_dwordx4 v[6:9], v[10:11], off offset:48
	v_or_b32_e32 v10, s21, v14
	v_ashrrev_i32_e32 v11, 31, v10
	v_lshlrev_b64 v[10:11], 4, v[10:11]
	v_or_b32_e32 v14, s23, v14
	v_add_co_u32_e32 v10, vcc, s40, v10
	v_ashrrev_i32_e32 v15, 31, v14
	v_addc_co_u32_e32 v11, vcc, v27, v11, vcc
	v_lshlrev_b64 v[14:15], 4, v[14:15]
	v_add_co_u32_e32 v14, vcc, s40, v14
	v_addc_co_u32_e32 v15, vcc, v27, v15, vcc
	global_load_dwordx4 v[10:13], v[10:11], off
	v_subrev_u32_e32 v27, s29, v1
	global_load_dwordx4 v[46:49], v[14:15], off
	v_subrev_u32_e32 v28, s29, v0
	s_mov_b64 s[24:25], 0
	s_waitcnt vmcnt(3)
	v_mul_f64 v[30:31], v[4:5], -v[24:25]
	v_mul_f64 v[32:33], v[22:23], v[4:5]
	s_waitcnt vmcnt(2)
	v_mul_f64 v[34:35], v[8:9], -v[24:25]
	v_mul_f64 v[36:37], v[22:23], v[8:9]
	v_fmac_f64_e32 v[30:31], v[22:23], v[2:3]
	v_fmac_f64_e32 v[32:33], v[24:25], v[2:3]
	;; [unrolled: 1-line block ×4, first 2 shown]
	s_waitcnt vmcnt(1)
	v_mul_f64 v[38:39], v[12:13], -v[24:25]
	v_mul_f64 v[40:41], v[22:23], v[12:13]
	s_waitcnt vmcnt(0)
	v_mul_f64 v[42:43], v[48:49], -v[24:25]
	v_mul_f64 v[44:45], v[22:23], v[48:49]
	v_fmac_f64_e32 v[38:39], v[22:23], v[10:11]
	v_fmac_f64_e32 v[40:41], v[24:25], v[10:11]
	;; [unrolled: 1-line block ×4, first 2 shown]
	s_branch .LBB65_23
.LBB65_22:                              ;   in Loop: Header=BB65_23 Depth=2
	s_or_b64 exec, exec, s[26:27]
	v_add_u32_e32 v28, 1, v28
	v_cmp_ge_i32_e32 vcc, v28, v27
	s_or_b64 s[24:25], vcc, s[24:25]
	s_andn2_b64 exec, exec, s[24:25]
	s_cbranch_execz .LBB65_19
.LBB65_23:                              ;   Parent Loop BB65_20 Depth=1
                                        ; =>  This Loop Header: Depth=2
                                        ;       Child Loop BB65_25 Depth 3
                                        ;       Child Loop BB65_37 Depth 3
	;; [unrolled: 1-line block ×4, first 2 shown]
	v_ashrrev_i32_e32 v29, 31, v28
	v_lshlrev_b64 v[0:1], 2, v[28:29]
	v_mov_b32_e32 v2, s49
	v_add_co_u32_e32 v0, vcc, s48, v0
	v_addc_co_u32_e32 v1, vcc, v2, v1, vcc
	global_load_dword v29, v[0:1], off
	v_lshlrev_b32_e32 v0, 2, v28
	v_ashrrev_i32_e32 v1, 31, v0
	v_or_b32_e32 v2, s21, v0
	v_or_b32_e32 v4, s23, v0
	v_lshlrev_b64 v[0:1], 4, v[0:1]
	v_mov_b32_e32 v6, s51
	v_add_co_u32_e32 v46, vcc, s50, v0
	v_ashrrev_i32_e32 v5, 31, v4
	v_addc_co_u32_e32 v47, vcc, v6, v1, vcc
	v_lshlrev_b64 v[0:1], 4, v[4:5]
	v_add_co_u32_e32 v0, vcc, s50, v0
	v_addc_co_u32_e32 v1, vcc, v6, v1, vcc
	v_ashrrev_i32_e32 v3, 31, v2
	global_load_dwordx4 v[12:15], v[0:1], off
	global_load_dwordx4 v[8:11], v[46:47], off
	v_lshlrev_b64 v[0:1], 4, v[2:3]
	v_add_co_u32_e32 v48, vcc, s50, v0
	v_addc_co_u32_e32 v49, vcc, v6, v1, vcc
	global_load_dwordx4 v[0:3], v[48:49], off
	global_load_dwordx4 v[4:7], v[46:47], off offset:48
	s_mov_b64 s[26:27], 0
	s_waitcnt vmcnt(4)
	v_subrev_u32_e32 v29, s29, v29
	v_and_b32_e32 v59, 7, v29
	v_mov_b32_e32 v60, v59
	s_waitcnt vmcnt(3)
	v_mul_f64 v[48:49], v[14:15], -v[40:41]
	v_mul_f64 v[46:47], v[38:39], v[14:15]
	v_fmac_f64_e32 v[48:49], v[38:39], v[12:13]
	v_fmac_f64_e32 v[46:47], v[40:41], v[12:13]
	s_waitcnt vmcnt(2)
	v_fmac_f64_e32 v[48:49], v[30:31], v[8:9]
	v_fmac_f64_e32 v[46:47], v[32:33], v[8:9]
	v_fma_f64 v[48:49], -v[32:33], v[10:11], v[48:49]
	v_fmac_f64_e32 v[46:47], v[30:31], v[10:11]
	s_branch .LBB65_25
.LBB65_24:                              ;   in Loop: Header=BB65_25 Depth=3
	s_or_b64 exec, exec, s[36:37]
	s_xor_b64 s[36:37], s[52:53], -1
	s_and_b64 s[36:37], exec, s[36:37]
	s_or_b64 s[26:27], s[36:37], s[26:27]
	s_andn2_b64 exec, exec, s[26:27]
	s_cbranch_execz .LBB65_35
.LBB65_25:                              ;   Parent Loop BB65_20 Depth=1
                                        ;     Parent Loop BB65_23 Depth=2
                                        ; =>    This Inner Loop Header: Depth=3
	v_lshl_add_u32 v61, v60, 2, v51
	ds_read_b32 v62, v61
                                        ; implicit-def: $sgpr52_sgpr53
	s_waitcnt lgkmcnt(0)
	v_cmp_ne_u32_e32 vcc, v62, v29
	s_and_saveexec_b64 s[36:37], vcc
	s_xor_b64 s[36:37], exec, s[36:37]
	s_cbranch_execz .LBB65_33
; %bb.26:                               ;   in Loop: Header=BB65_25 Depth=3
	v_cmp_ne_u32_e32 vcc, s22, v62
                                        ; implicit-def: $sgpr52_sgpr53
	s_and_saveexec_b64 s[54:55], vcc
	s_xor_b64 s[54:55], exec, s[54:55]
; %bb.27:                               ;   in Loop: Header=BB65_25 Depth=3
	v_add_u32_e32 v60, 1, v60
	v_and_b32_e32 v60, 7, v60
	s_mov_b64 s[52:53], -1
                                        ; implicit-def: $vgpr61
; %bb.28:                               ;   in Loop: Header=BB65_25 Depth=3
	s_andn2_saveexec_b64 s[54:55], s[54:55]
	s_cbranch_execz .LBB65_32
; %bb.29:                               ;   in Loop: Header=BB65_25 Depth=3
	v_mov_b32_e32 v62, s22
	ds_cmpst_rtn_b32 v61, v61, v62, v29
	s_mov_b64 s[56:57], -1
	s_waitcnt lgkmcnt(0)
	v_cmp_eq_u32_e32 vcc, s22, v61
	s_and_saveexec_b64 s[58:59], vcc
	s_cbranch_execz .LBB65_31
; %bb.30:                               ;   in Loop: Header=BB65_25 Depth=3
	v_lshl_add_u32 v61, v60, 6, v52
	ds_add_f64 v61, v[48:49]
	ds_add_f64 v61, v[46:47] offset:8
	s_xor_b64 s[56:57], exec, -1
.LBB65_31:                              ;   in Loop: Header=BB65_25 Depth=3
	s_or_b64 exec, exec, s[58:59]
	s_andn2_b64 s[52:53], s[52:53], exec
	s_and_b64 s[56:57], s[56:57], exec
	s_or_b64 s[52:53], s[52:53], s[56:57]
.LBB65_32:                              ;   in Loop: Header=BB65_25 Depth=3
	s_or_b64 exec, exec, s[54:55]
	s_and_b64 s[52:53], s[52:53], exec
.LBB65_33:                              ;   in Loop: Header=BB65_25 Depth=3
	s_andn2_saveexec_b64 s[36:37], s[36:37]
	s_cbranch_execz .LBB65_24
; %bb.34:                               ;   in Loop: Header=BB65_25 Depth=3
	v_lshl_add_u32 v61, v60, 6, v52
	ds_add_f64 v61, v[48:49]
	ds_add_f64 v61, v[46:47] offset:8
	s_andn2_b64 s[52:53], s[52:53], exec
	s_branch .LBB65_24
.LBB65_35:                              ;   in Loop: Header=BB65_23 Depth=2
	s_or_b64 exec, exec, s[26:27]
	s_waitcnt vmcnt(0)
	v_mul_f64 v[48:49], v[6:7], -v[40:41]
	v_mul_f64 v[46:47], v[38:39], v[6:7]
	v_fmac_f64_e32 v[48:49], v[38:39], v[4:5]
	v_fmac_f64_e32 v[46:47], v[40:41], v[4:5]
	;; [unrolled: 1-line block ×4, first 2 shown]
	v_fma_f64 v[48:49], -v[32:33], v[2:3], v[48:49]
	v_fmac_f64_e32 v[46:47], v[30:31], v[2:3]
	s_mov_b64 s[26:27], 0
	v_mov_b32_e32 v60, v59
	s_branch .LBB65_37
.LBB65_36:                              ;   in Loop: Header=BB65_37 Depth=3
	s_or_b64 exec, exec, s[36:37]
	s_xor_b64 s[36:37], s[52:53], -1
	s_and_b64 s[36:37], exec, s[36:37]
	s_or_b64 s[26:27], s[36:37], s[26:27]
	s_andn2_b64 exec, exec, s[26:27]
	s_cbranch_execz .LBB65_47
.LBB65_37:                              ;   Parent Loop BB65_20 Depth=1
                                        ;     Parent Loop BB65_23 Depth=2
                                        ; =>    This Inner Loop Header: Depth=3
	v_lshl_add_u32 v61, v60, 2, v51
	ds_read_b32 v62, v61
                                        ; implicit-def: $sgpr52_sgpr53
	s_waitcnt lgkmcnt(0)
	v_cmp_ne_u32_e32 vcc, v62, v29
	s_and_saveexec_b64 s[36:37], vcc
	s_xor_b64 s[36:37], exec, s[36:37]
	s_cbranch_execz .LBB65_45
; %bb.38:                               ;   in Loop: Header=BB65_37 Depth=3
	v_cmp_ne_u32_e32 vcc, s22, v62
                                        ; implicit-def: $sgpr52_sgpr53
	s_and_saveexec_b64 s[54:55], vcc
	s_xor_b64 s[54:55], exec, s[54:55]
; %bb.39:                               ;   in Loop: Header=BB65_37 Depth=3
	v_add_u32_e32 v60, 1, v60
	v_and_b32_e32 v60, 7, v60
	s_mov_b64 s[52:53], -1
                                        ; implicit-def: $vgpr61
; %bb.40:                               ;   in Loop: Header=BB65_37 Depth=3
	s_andn2_saveexec_b64 s[54:55], s[54:55]
	s_cbranch_execz .LBB65_44
; %bb.41:                               ;   in Loop: Header=BB65_37 Depth=3
	v_mov_b32_e32 v62, s22
	ds_cmpst_rtn_b32 v61, v61, v62, v29
	s_mov_b64 s[56:57], -1
	s_waitcnt lgkmcnt(0)
	v_cmp_eq_u32_e32 vcc, s22, v61
	s_and_saveexec_b64 s[58:59], vcc
	s_cbranch_execz .LBB65_43
; %bb.42:                               ;   in Loop: Header=BB65_37 Depth=3
	v_lshl_add_u32 v61, v60, 6, v54
	ds_add_f64 v61, v[48:49]
	ds_add_f64 v61, v[46:47] offset:8
	s_xor_b64 s[56:57], exec, -1
.LBB65_43:                              ;   in Loop: Header=BB65_37 Depth=3
	s_or_b64 exec, exec, s[58:59]
	s_andn2_b64 s[52:53], s[52:53], exec
	s_and_b64 s[56:57], s[56:57], exec
	s_or_b64 s[52:53], s[52:53], s[56:57]
.LBB65_44:                              ;   in Loop: Header=BB65_37 Depth=3
	s_or_b64 exec, exec, s[54:55]
	s_and_b64 s[52:53], s[52:53], exec
.LBB65_45:                              ;   in Loop: Header=BB65_37 Depth=3
	s_andn2_saveexec_b64 s[36:37], s[36:37]
	s_cbranch_execz .LBB65_36
; %bb.46:                               ;   in Loop: Header=BB65_37 Depth=3
	v_lshl_add_u32 v61, v60, 6, v54
	ds_add_f64 v61, v[48:49]
	ds_add_f64 v61, v[46:47] offset:8
	s_andn2_b64 s[52:53], s[52:53], exec
	s_branch .LBB65_36
.LBB65_47:                              ;   in Loop: Header=BB65_23 Depth=2
	s_or_b64 exec, exec, s[26:27]
	v_mul_f64 v[46:47], v[14:15], -v[36:37]
	v_mul_f64 v[14:15], v[34:35], v[14:15]
	v_fmac_f64_e32 v[46:47], v[34:35], v[12:13]
	v_fmac_f64_e32 v[14:15], v[36:37], v[12:13]
	;; [unrolled: 1-line block ×4, first 2 shown]
	v_fma_f64 v[12:13], -v[44:45], v[10:11], v[46:47]
	v_fmac_f64_e32 v[14:15], v[42:43], v[10:11]
	s_mov_b64 s[26:27], 0
	v_mov_b32_e32 v8, v59
	s_branch .LBB65_49
.LBB65_48:                              ;   in Loop: Header=BB65_49 Depth=3
	s_or_b64 exec, exec, s[36:37]
	s_xor_b64 s[36:37], s[52:53], -1
	s_and_b64 s[36:37], exec, s[36:37]
	s_or_b64 s[26:27], s[36:37], s[26:27]
	s_andn2_b64 exec, exec, s[26:27]
	s_cbranch_execz .LBB65_59
.LBB65_49:                              ;   Parent Loop BB65_20 Depth=1
                                        ;     Parent Loop BB65_23 Depth=2
                                        ; =>    This Inner Loop Header: Depth=3
	v_lshl_add_u32 v9, v8, 2, v51
	ds_read_b32 v10, v9
                                        ; implicit-def: $sgpr52_sgpr53
	s_waitcnt lgkmcnt(0)
	v_cmp_ne_u32_e32 vcc, v10, v29
	s_and_saveexec_b64 s[36:37], vcc
	s_xor_b64 s[36:37], exec, s[36:37]
	s_cbranch_execz .LBB65_57
; %bb.50:                               ;   in Loop: Header=BB65_49 Depth=3
	v_cmp_ne_u32_e32 vcc, s22, v10
                                        ; implicit-def: $sgpr52_sgpr53
	s_and_saveexec_b64 s[54:55], vcc
	s_xor_b64 s[54:55], exec, s[54:55]
; %bb.51:                               ;   in Loop: Header=BB65_49 Depth=3
	v_add_u32_e32 v8, 1, v8
	v_and_b32_e32 v8, 7, v8
	s_mov_b64 s[52:53], -1
                                        ; implicit-def: $vgpr9
; %bb.52:                               ;   in Loop: Header=BB65_49 Depth=3
	s_andn2_saveexec_b64 s[54:55], s[54:55]
	s_cbranch_execz .LBB65_56
; %bb.53:                               ;   in Loop: Header=BB65_49 Depth=3
	v_mov_b32_e32 v10, s22
	ds_cmpst_rtn_b32 v9, v9, v10, v29
	s_mov_b64 s[56:57], -1
	s_waitcnt lgkmcnt(0)
	v_cmp_eq_u32_e32 vcc, s22, v9
	s_and_saveexec_b64 s[58:59], vcc
	s_cbranch_execz .LBB65_55
; %bb.54:                               ;   in Loop: Header=BB65_49 Depth=3
	v_lshl_add_u32 v9, v8, 6, v55
	ds_add_f64 v9, v[12:13]
	ds_add_f64 v9, v[14:15] offset:8
	s_xor_b64 s[56:57], exec, -1
.LBB65_55:                              ;   in Loop: Header=BB65_49 Depth=3
	s_or_b64 exec, exec, s[58:59]
	s_andn2_b64 s[52:53], s[52:53], exec
	s_and_b64 s[56:57], s[56:57], exec
	s_or_b64 s[52:53], s[52:53], s[56:57]
.LBB65_56:                              ;   in Loop: Header=BB65_49 Depth=3
	s_or_b64 exec, exec, s[54:55]
	s_and_b64 s[52:53], s[52:53], exec
.LBB65_57:                              ;   in Loop: Header=BB65_49 Depth=3
	s_andn2_saveexec_b64 s[36:37], s[36:37]
	s_cbranch_execz .LBB65_48
; %bb.58:                               ;   in Loop: Header=BB65_49 Depth=3
	v_lshl_add_u32 v9, v8, 6, v55
	ds_add_f64 v9, v[12:13]
	ds_add_f64 v9, v[14:15] offset:8
	s_andn2_b64 s[52:53], s[52:53], exec
	s_branch .LBB65_48
.LBB65_59:                              ;   in Loop: Header=BB65_23 Depth=2
	s_or_b64 exec, exec, s[26:27]
	v_mul_f64 v[8:9], v[6:7], -v[36:37]
	v_mul_f64 v[6:7], v[34:35], v[6:7]
	v_fmac_f64_e32 v[8:9], v[34:35], v[4:5]
	v_fmac_f64_e32 v[6:7], v[36:37], v[4:5]
	v_fmac_f64_e32 v[8:9], v[42:43], v[0:1]
	v_fmac_f64_e32 v[6:7], v[44:45], v[0:1]
	v_fma_f64 v[4:5], -v[44:45], v[2:3], v[8:9]
	v_fmac_f64_e32 v[6:7], v[42:43], v[2:3]
	s_mov_b64 s[26:27], 0
	s_branch .LBB65_61
.LBB65_60:                              ;   in Loop: Header=BB65_61 Depth=3
	s_or_b64 exec, exec, s[36:37]
	s_xor_b64 s[36:37], s[52:53], -1
	s_and_b64 s[36:37], exec, s[36:37]
	s_or_b64 s[26:27], s[36:37], s[26:27]
	s_andn2_b64 exec, exec, s[26:27]
	s_cbranch_execz .LBB65_22
.LBB65_61:                              ;   Parent Loop BB65_20 Depth=1
                                        ;     Parent Loop BB65_23 Depth=2
                                        ; =>    This Inner Loop Header: Depth=3
	v_lshl_add_u32 v0, v59, 2, v51
	ds_read_b32 v1, v0
                                        ; implicit-def: $sgpr52_sgpr53
	s_waitcnt lgkmcnt(0)
	v_cmp_ne_u32_e32 vcc, v1, v29
	s_and_saveexec_b64 s[36:37], vcc
	s_xor_b64 s[36:37], exec, s[36:37]
	s_cbranch_execz .LBB65_69
; %bb.62:                               ;   in Loop: Header=BB65_61 Depth=3
	v_cmp_ne_u32_e32 vcc, s22, v1
                                        ; implicit-def: $sgpr52_sgpr53
	s_and_saveexec_b64 s[54:55], vcc
	s_xor_b64 s[54:55], exec, s[54:55]
; %bb.63:                               ;   in Loop: Header=BB65_61 Depth=3
	v_add_u32_e32 v0, 1, v59
	v_and_b32_e32 v59, 7, v0
	s_mov_b64 s[52:53], -1
                                        ; implicit-def: $vgpr0
; %bb.64:                               ;   in Loop: Header=BB65_61 Depth=3
	s_andn2_saveexec_b64 s[54:55], s[54:55]
	s_cbranch_execz .LBB65_68
; %bb.65:                               ;   in Loop: Header=BB65_61 Depth=3
	v_mov_b32_e32 v1, s22
	ds_cmpst_rtn_b32 v0, v0, v1, v29
	s_mov_b64 s[56:57], -1
	s_waitcnt lgkmcnt(0)
	v_cmp_eq_u32_e32 vcc, s22, v0
	s_and_saveexec_b64 s[58:59], vcc
	s_cbranch_execz .LBB65_67
; %bb.66:                               ;   in Loop: Header=BB65_61 Depth=3
	v_lshl_add_u32 v0, v59, 6, v56
	ds_add_f64 v0, v[4:5]
	ds_add_f64 v0, v[6:7] offset:8
	s_xor_b64 s[56:57], exec, -1
.LBB65_67:                              ;   in Loop: Header=BB65_61 Depth=3
	s_or_b64 exec, exec, s[58:59]
	s_andn2_b64 s[52:53], s[52:53], exec
	s_and_b64 s[56:57], s[56:57], exec
	s_or_b64 s[52:53], s[52:53], s[56:57]
.LBB65_68:                              ;   in Loop: Header=BB65_61 Depth=3
	s_or_b64 exec, exec, s[54:55]
	s_and_b64 s[52:53], s[52:53], exec
.LBB65_69:                              ;   in Loop: Header=BB65_61 Depth=3
	s_andn2_saveexec_b64 s[36:37], s[36:37]
	s_cbranch_execz .LBB65_60
; %bb.70:                               ;   in Loop: Header=BB65_61 Depth=3
	v_lshl_add_u32 v0, v59, 6, v56
	ds_add_f64 v0, v[4:5]
	ds_add_f64 v0, v[6:7] offset:8
	s_andn2_b64 s[52:53], s[52:53], exec
	s_branch .LBB65_60
.LBB65_71:
	s_or_b64 exec, exec, s[6:7]
	s_andn2_b64 vcc, exec, s[34:35]
	s_waitcnt lgkmcnt(0)
	s_cbranch_vccnz .LBB65_15
.LBB65_72:
	v_lshlrev_b64 v[0:1], 2, v[20:21]
	v_mov_b32_e32 v2, s13
	v_add_co_u32_e32 v0, vcc, s12, v0
	v_addc_co_u32_e32 v1, vcc, v2, v1, vcc
	global_load_dwordx2 v[0:1], v[0:1], off
	v_subrev_u32_e32 v2, s31, v50
	s_waitcnt vmcnt(0)
	v_subrev_u32_e32 v24, s31, v1
	v_add_u32_e32 v12, v0, v2
	v_cmp_lt_i32_e32 vcc, v12, v24
	s_and_saveexec_b64 s[6:7], vcc
	s_cbranch_execz .LBB65_123
; %bb.73:
	s_cmp_eq_u32 s20, 0
	s_cselect_b32 s21, 1, 2
	s_cselect_b32 s23, 2, 1
	v_add_u32_e32 v25, 16, v52
	v_add_u32_e32 v26, 32, v52
	;; [unrolled: 1-line block ×3, first 2 shown]
	s_mov_b64 s[8:9], 0
	v_mov_b32_e32 v28, s17
	v_mov_b32_e32 v29, s15
	s_branch .LBB65_75
.LBB65_74:                              ;   in Loop: Header=BB65_75 Depth=1
	s_or_b64 exec, exec, s[10:11]
	v_add_u32_e32 v12, 16, v12
	v_cmp_ge_i32_e32 vcc, v12, v24
	s_or_b64 s[8:9], vcc, s[8:9]
	s_andn2_b64 exec, exec, s[8:9]
	s_cbranch_execz .LBB65_123
.LBB65_75:                              ; =>This Loop Header: Depth=1
                                        ;     Child Loop BB65_77 Depth 2
                                        ;     Child Loop BB65_89 Depth 2
	;; [unrolled: 1-line block ×4, first 2 shown]
	v_lshlrev_b32_e32 v4, 2, v12
	v_ashrrev_i32_e32 v5, 31, v4
	v_lshlrev_b64 v[0:1], 4, v[4:5]
	v_add_co_u32_e32 v6, vcc, s16, v0
	v_addc_co_u32_e32 v7, vcc, v28, v1, vcc
	global_load_dwordx4 v[32:35], v[6:7], off
	global_load_dwordx4 v[0:3], v[6:7], off offset:48
	v_or_b32_e32 v6, s21, v4
	v_ashrrev_i32_e32 v7, 31, v6
	v_lshlrev_b64 v[6:7], 4, v[6:7]
	v_ashrrev_i32_e32 v13, 31, v12
	v_add_co_u32_e32 v14, vcc, s16, v6
	v_addc_co_u32_e32 v15, vcc, v28, v7, vcc
	v_lshlrev_b64 v[6:7], 2, v[12:13]
	v_add_co_u32_e32 v6, vcc, s14, v6
	v_or_b32_e32 v4, s23, v4
	v_addc_co_u32_e32 v7, vcc, v29, v7, vcc
	v_ashrrev_i32_e32 v5, 31, v4
	global_load_dword v13, v[6:7], off
	v_lshlrev_b64 v[4:5], 4, v[4:5]
	v_add_co_u32_e32 v22, vcc, s16, v4
	v_addc_co_u32_e32 v23, vcc, v28, v5, vcc
	global_load_dwordx4 v[8:11], v[14:15], off
	global_load_dwordx4 v[4:7], v[22:23], off
	s_mov_b64 s[10:11], 0
	s_waitcnt vmcnt(4)
	v_mul_f64 v[14:15], v[34:35], -v[16:17]
	v_mul_f64 v[22:23], v[18:19], v[34:35]
	v_fmac_f64_e32 v[14:15], v[18:19], v[32:33]
	v_fmac_f64_e32 v[22:23], v[16:17], v[32:33]
	s_waitcnt vmcnt(2)
	v_subrev_u32_e32 v13, s31, v13
	v_and_b32_e32 v30, 7, v13
	v_mov_b32_e32 v31, v30
	s_branch .LBB65_77
.LBB65_76:                              ;   in Loop: Header=BB65_77 Depth=2
	s_or_b64 exec, exec, s[12:13]
	s_xor_b64 s[12:13], s[24:25], -1
	s_and_b64 s[12:13], exec, s[12:13]
	s_or_b64 s[10:11], s[12:13], s[10:11]
	s_andn2_b64 exec, exec, s[10:11]
	s_cbranch_execz .LBB65_87
.LBB65_77:                              ;   Parent Loop BB65_75 Depth=1
                                        ; =>  This Inner Loop Header: Depth=2
	v_lshl_add_u32 v32, v31, 2, v51
	ds_read_b32 v33, v32
                                        ; implicit-def: $sgpr24_sgpr25
	s_waitcnt lgkmcnt(0)
	v_cmp_ne_u32_e32 vcc, v33, v13
	s_and_saveexec_b64 s[12:13], vcc
	s_xor_b64 s[12:13], exec, s[12:13]
	s_cbranch_execz .LBB65_85
; %bb.78:                               ;   in Loop: Header=BB65_77 Depth=2
	v_cmp_ne_u32_e32 vcc, s22, v33
                                        ; implicit-def: $sgpr24_sgpr25
	s_and_saveexec_b64 s[26:27], vcc
	s_xor_b64 s[26:27], exec, s[26:27]
; %bb.79:                               ;   in Loop: Header=BB65_77 Depth=2
	v_add_u32_e32 v31, 1, v31
	v_and_b32_e32 v31, 7, v31
	s_mov_b64 s[24:25], -1
                                        ; implicit-def: $vgpr32
; %bb.80:                               ;   in Loop: Header=BB65_77 Depth=2
	s_andn2_saveexec_b64 s[26:27], s[26:27]
	s_cbranch_execz .LBB65_84
; %bb.81:                               ;   in Loop: Header=BB65_77 Depth=2
	v_mov_b32_e32 v33, s22
	ds_cmpst_rtn_b32 v32, v32, v33, v13
	s_mov_b64 s[28:29], -1
	s_waitcnt lgkmcnt(0)
	v_cmp_eq_u32_e32 vcc, s22, v32
	s_and_saveexec_b64 s[34:35], vcc
	s_cbranch_execz .LBB65_83
; %bb.82:                               ;   in Loop: Header=BB65_77 Depth=2
	v_lshl_add_u32 v32, v31, 6, v52
	ds_add_f64 v32, v[14:15]
	ds_add_f64 v32, v[22:23] offset:8
	s_xor_b64 s[28:29], exec, -1
.LBB65_83:                              ;   in Loop: Header=BB65_77 Depth=2
	s_or_b64 exec, exec, s[34:35]
	s_andn2_b64 s[24:25], s[24:25], exec
	s_and_b64 s[28:29], s[28:29], exec
	s_or_b64 s[24:25], s[24:25], s[28:29]
.LBB65_84:                              ;   in Loop: Header=BB65_77 Depth=2
	s_or_b64 exec, exec, s[26:27]
	s_and_b64 s[24:25], s[24:25], exec
.LBB65_85:                              ;   in Loop: Header=BB65_77 Depth=2
	s_andn2_saveexec_b64 s[12:13], s[12:13]
	s_cbranch_execz .LBB65_76
; %bb.86:                               ;   in Loop: Header=BB65_77 Depth=2
	v_lshl_add_u32 v32, v31, 6, v52
	ds_add_f64 v32, v[14:15]
	ds_add_f64 v32, v[22:23] offset:8
	s_andn2_b64 s[24:25], s[24:25], exec
	s_branch .LBB65_76
.LBB65_87:                              ;   in Loop: Header=BB65_75 Depth=1
	s_or_b64 exec, exec, s[10:11]
	s_waitcnt vmcnt(1)
	v_mul_f64 v[14:15], v[10:11], -v[16:17]
	v_mul_f64 v[10:11], v[18:19], v[10:11]
	v_fmac_f64_e32 v[14:15], v[18:19], v[8:9]
	v_fmac_f64_e32 v[10:11], v[16:17], v[8:9]
	s_mov_b64 s[10:11], 0
	v_mov_b32_e32 v8, v30
	s_branch .LBB65_89
.LBB65_88:                              ;   in Loop: Header=BB65_89 Depth=2
	s_or_b64 exec, exec, s[12:13]
	s_xor_b64 s[12:13], s[24:25], -1
	s_and_b64 s[12:13], exec, s[12:13]
	s_or_b64 s[10:11], s[12:13], s[10:11]
	s_andn2_b64 exec, exec, s[10:11]
	s_cbranch_execz .LBB65_99
.LBB65_89:                              ;   Parent Loop BB65_75 Depth=1
                                        ; =>  This Inner Loop Header: Depth=2
	v_lshl_add_u32 v9, v8, 2, v51
	ds_read_b32 v22, v9
                                        ; implicit-def: $sgpr24_sgpr25
	s_waitcnt lgkmcnt(0)
	v_cmp_ne_u32_e32 vcc, v22, v13
	s_and_saveexec_b64 s[12:13], vcc
	s_xor_b64 s[12:13], exec, s[12:13]
	s_cbranch_execz .LBB65_97
; %bb.90:                               ;   in Loop: Header=BB65_89 Depth=2
	v_cmp_ne_u32_e32 vcc, s22, v22
                                        ; implicit-def: $sgpr24_sgpr25
	s_and_saveexec_b64 s[26:27], vcc
	s_xor_b64 s[26:27], exec, s[26:27]
; %bb.91:                               ;   in Loop: Header=BB65_89 Depth=2
	v_add_u32_e32 v8, 1, v8
	v_and_b32_e32 v8, 7, v8
	s_mov_b64 s[24:25], -1
                                        ; implicit-def: $vgpr9
; %bb.92:                               ;   in Loop: Header=BB65_89 Depth=2
	s_andn2_saveexec_b64 s[26:27], s[26:27]
	s_cbranch_execz .LBB65_96
; %bb.93:                               ;   in Loop: Header=BB65_89 Depth=2
	v_mov_b32_e32 v22, s22
	ds_cmpst_rtn_b32 v9, v9, v22, v13
	s_mov_b64 s[28:29], -1
	s_waitcnt lgkmcnt(0)
	v_cmp_eq_u32_e32 vcc, s22, v9
	s_and_saveexec_b64 s[34:35], vcc
	s_cbranch_execz .LBB65_95
; %bb.94:                               ;   in Loop: Header=BB65_89 Depth=2
	v_lshl_add_u32 v9, v8, 6, v25
	ds_add_f64 v9, v[14:15]
	ds_add_f64 v9, v[10:11] offset:8
	s_xor_b64 s[28:29], exec, -1
.LBB65_95:                              ;   in Loop: Header=BB65_89 Depth=2
	s_or_b64 exec, exec, s[34:35]
	s_andn2_b64 s[24:25], s[24:25], exec
	s_and_b64 s[28:29], s[28:29], exec
	s_or_b64 s[24:25], s[24:25], s[28:29]
.LBB65_96:                              ;   in Loop: Header=BB65_89 Depth=2
	s_or_b64 exec, exec, s[26:27]
	s_and_b64 s[24:25], s[24:25], exec
.LBB65_97:                              ;   in Loop: Header=BB65_89 Depth=2
	s_andn2_saveexec_b64 s[12:13], s[12:13]
	s_cbranch_execz .LBB65_88
; %bb.98:                               ;   in Loop: Header=BB65_89 Depth=2
	v_lshl_add_u32 v9, v8, 6, v25
	ds_add_f64 v9, v[14:15]
	ds_add_f64 v9, v[10:11] offset:8
	s_andn2_b64 s[24:25], s[24:25], exec
	s_branch .LBB65_88
.LBB65_99:                              ;   in Loop: Header=BB65_75 Depth=1
	s_or_b64 exec, exec, s[10:11]
	s_waitcnt vmcnt(0)
	v_mul_f64 v[8:9], v[6:7], -v[16:17]
	v_mul_f64 v[6:7], v[18:19], v[6:7]
	v_fmac_f64_e32 v[8:9], v[18:19], v[4:5]
	v_fmac_f64_e32 v[6:7], v[16:17], v[4:5]
	s_mov_b64 s[10:11], 0
	v_mov_b32_e32 v4, v30
	s_branch .LBB65_101
.LBB65_100:                             ;   in Loop: Header=BB65_101 Depth=2
	s_or_b64 exec, exec, s[12:13]
	s_xor_b64 s[12:13], s[24:25], -1
	s_and_b64 s[12:13], exec, s[12:13]
	s_or_b64 s[10:11], s[12:13], s[10:11]
	s_andn2_b64 exec, exec, s[10:11]
	s_cbranch_execz .LBB65_111
.LBB65_101:                             ;   Parent Loop BB65_75 Depth=1
                                        ; =>  This Inner Loop Header: Depth=2
	v_lshl_add_u32 v5, v4, 2, v51
	ds_read_b32 v10, v5
                                        ; implicit-def: $sgpr24_sgpr25
	s_waitcnt lgkmcnt(0)
	v_cmp_ne_u32_e32 vcc, v10, v13
	s_and_saveexec_b64 s[12:13], vcc
	s_xor_b64 s[12:13], exec, s[12:13]
	s_cbranch_execz .LBB65_109
; %bb.102:                              ;   in Loop: Header=BB65_101 Depth=2
	v_cmp_ne_u32_e32 vcc, s22, v10
                                        ; implicit-def: $sgpr24_sgpr25
	s_and_saveexec_b64 s[26:27], vcc
	s_xor_b64 s[26:27], exec, s[26:27]
; %bb.103:                              ;   in Loop: Header=BB65_101 Depth=2
	v_add_u32_e32 v4, 1, v4
	v_and_b32_e32 v4, 7, v4
	s_mov_b64 s[24:25], -1
                                        ; implicit-def: $vgpr5
; %bb.104:                              ;   in Loop: Header=BB65_101 Depth=2
	s_andn2_saveexec_b64 s[26:27], s[26:27]
	s_cbranch_execz .LBB65_108
; %bb.105:                              ;   in Loop: Header=BB65_101 Depth=2
	v_mov_b32_e32 v10, s22
	ds_cmpst_rtn_b32 v5, v5, v10, v13
	s_mov_b64 s[28:29], -1
	s_waitcnt lgkmcnt(0)
	v_cmp_eq_u32_e32 vcc, s22, v5
	s_and_saveexec_b64 s[34:35], vcc
	s_cbranch_execz .LBB65_107
; %bb.106:                              ;   in Loop: Header=BB65_101 Depth=2
	v_lshl_add_u32 v5, v4, 6, v26
	ds_add_f64 v5, v[8:9]
	ds_add_f64 v5, v[6:7] offset:8
	s_xor_b64 s[28:29], exec, -1
.LBB65_107:                             ;   in Loop: Header=BB65_101 Depth=2
	s_or_b64 exec, exec, s[34:35]
	s_andn2_b64 s[24:25], s[24:25], exec
	s_and_b64 s[28:29], s[28:29], exec
	s_or_b64 s[24:25], s[24:25], s[28:29]
.LBB65_108:                             ;   in Loop: Header=BB65_101 Depth=2
	s_or_b64 exec, exec, s[26:27]
	s_and_b64 s[24:25], s[24:25], exec
.LBB65_109:                             ;   in Loop: Header=BB65_101 Depth=2
	s_andn2_saveexec_b64 s[12:13], s[12:13]
	s_cbranch_execz .LBB65_100
; %bb.110:                              ;   in Loop: Header=BB65_101 Depth=2
	v_lshl_add_u32 v5, v4, 6, v26
	ds_add_f64 v5, v[8:9]
	ds_add_f64 v5, v[6:7] offset:8
	s_andn2_b64 s[24:25], s[24:25], exec
	s_branch .LBB65_100
.LBB65_111:                             ;   in Loop: Header=BB65_75 Depth=1
	s_or_b64 exec, exec, s[10:11]
	v_mul_f64 v[4:5], v[2:3], -v[16:17]
	v_mul_f64 v[2:3], v[18:19], v[2:3]
	v_fmac_f64_e32 v[4:5], v[18:19], v[0:1]
	v_fmac_f64_e32 v[2:3], v[16:17], v[0:1]
	s_mov_b64 s[10:11], 0
	s_branch .LBB65_113
.LBB65_112:                             ;   in Loop: Header=BB65_113 Depth=2
	s_or_b64 exec, exec, s[12:13]
	s_xor_b64 s[12:13], s[24:25], -1
	s_and_b64 s[12:13], exec, s[12:13]
	s_or_b64 s[10:11], s[12:13], s[10:11]
	s_andn2_b64 exec, exec, s[10:11]
	s_cbranch_execz .LBB65_74
.LBB65_113:                             ;   Parent Loop BB65_75 Depth=1
                                        ; =>  This Inner Loop Header: Depth=2
	v_lshl_add_u32 v0, v30, 2, v51
	ds_read_b32 v1, v0
                                        ; implicit-def: $sgpr24_sgpr25
	s_waitcnt lgkmcnt(0)
	v_cmp_ne_u32_e32 vcc, v1, v13
	s_and_saveexec_b64 s[12:13], vcc
	s_xor_b64 s[12:13], exec, s[12:13]
	s_cbranch_execz .LBB65_121
; %bb.114:                              ;   in Loop: Header=BB65_113 Depth=2
	v_cmp_ne_u32_e32 vcc, s22, v1
                                        ; implicit-def: $sgpr24_sgpr25
	s_and_saveexec_b64 s[26:27], vcc
	s_xor_b64 s[26:27], exec, s[26:27]
; %bb.115:                              ;   in Loop: Header=BB65_113 Depth=2
	v_add_u32_e32 v0, 1, v30
	v_and_b32_e32 v30, 7, v0
	s_mov_b64 s[24:25], -1
                                        ; implicit-def: $vgpr0
; %bb.116:                              ;   in Loop: Header=BB65_113 Depth=2
	s_andn2_saveexec_b64 s[26:27], s[26:27]
	s_cbranch_execz .LBB65_120
; %bb.117:                              ;   in Loop: Header=BB65_113 Depth=2
	v_mov_b32_e32 v1, s22
	ds_cmpst_rtn_b32 v0, v0, v1, v13
	s_mov_b64 s[28:29], -1
	s_waitcnt lgkmcnt(0)
	v_cmp_eq_u32_e32 vcc, s22, v0
	s_and_saveexec_b64 s[34:35], vcc
	s_cbranch_execz .LBB65_119
; %bb.118:                              ;   in Loop: Header=BB65_113 Depth=2
	v_lshl_add_u32 v0, v30, 6, v27
	ds_add_f64 v0, v[4:5]
	ds_add_f64 v0, v[2:3] offset:8
	s_xor_b64 s[28:29], exec, -1
.LBB65_119:                             ;   in Loop: Header=BB65_113 Depth=2
	s_or_b64 exec, exec, s[34:35]
	s_andn2_b64 s[24:25], s[24:25], exec
	s_and_b64 s[28:29], s[28:29], exec
	s_or_b64 s[24:25], s[24:25], s[28:29]
.LBB65_120:                             ;   in Loop: Header=BB65_113 Depth=2
	s_or_b64 exec, exec, s[26:27]
	s_and_b64 s[24:25], s[24:25], exec
.LBB65_121:                             ;   in Loop: Header=BB65_113 Depth=2
	s_andn2_saveexec_b64 s[12:13], s[12:13]
	s_cbranch_execz .LBB65_112
; %bb.122:                              ;   in Loop: Header=BB65_113 Depth=2
	v_lshl_add_u32 v0, v30, 6, v27
	ds_add_f64 v0, v[4:5]
	ds_add_f64 v0, v[2:3] offset:8
	s_andn2_b64 s[24:25], s[24:25], exec
	s_branch .LBB65_112
.LBB65_123:
	s_or_b64 exec, exec, s[6:7]
	s_waitcnt lgkmcnt(0)
	s_and_b64 exec, exec, s[4:5]
	s_cbranch_execz .LBB65_16
.LBB65_124:
	v_lshl_add_u32 v0, v50, 2, v51
	ds_read_b32 v0, v0
	s_waitcnt lgkmcnt(0)
	v_cmp_gt_i32_e32 vcc, s22, v0
	s_and_b64 exec, exec, vcc
	s_cbranch_execz .LBB65_16
; %bb.125:
	v_lshlrev_b64 v[2:3], 2, v[20:21]
	v_mov_b32_e32 v1, s19
	v_add_co_u32_e32 v2, vcc, s18, v2
	v_addc_co_u32_e32 v3, vcc, v1, v3, vcc
	global_load_dword v1, v[2:3], off
	ds_read_b128 v[2:5], v51
	ds_read_b128 v[6:9], v51 offset:16
	s_cmp_eq_u32 s20, 0
	v_lshlrev_b32_e32 v18, 2, v50
	s_cselect_b32 s4, 1, 2
	s_waitcnt lgkmcnt(1)
	v_cmp_gt_i32_e32 vcc, v0, v2
	v_cndmask_b32_e64 v2, 0, 1, vcc
	v_cmp_gt_i32_e32 vcc, v0, v4
	v_cndmask_b32_e64 v4, 0, 1, vcc
	s_waitcnt lgkmcnt(0)
	v_cmp_gt_i32_e32 vcc, v0, v6
	v_cndmask_b32_e64 v6, 0, 1, vcc
	v_cmp_gt_i32_e32 vcc, v0, v8
	v_cndmask_b32_e64 v8, 0, 1, vcc
	v_cmp_gt_i32_e32 vcc, v0, v3
	s_cselect_b32 s5, 2, 1
	v_add_u32_e32 v26, s30, v0
	v_or_b32_e32 v19, s4, v18
	v_or_b32_e32 v18, s5, v18
	v_lshl_add_u32 v14, v50, 6, v52
	v_lshl_add_u32 v19, v19, 4, v52
	;; [unrolled: 1-line block ×3, first 2 shown]
	ds_read2_b64 v[10:13], v14 offset1:1
	ds_read2_b64 v[14:17], v14 offset0:6 offset1:7
	ds_read2_b64 v[18:21], v19 offset1:1
	ds_read2_b64 v[22:25], v22 offset1:1
	v_mov_b32_e32 v27, s45
	v_mov_b32_e32 v28, s47
	s_waitcnt vmcnt(0)
	v_subrev_u32_e32 v1, s30, v1
	v_addc_co_u32_e32 v1, vcc, v1, v2, vcc
	v_cmp_gt_i32_e32 vcc, v0, v5
	v_addc_co_u32_e32 v1, vcc, v1, v4, vcc
	v_cmp_gt_i32_e32 vcc, v0, v7
	;; [unrolled: 2-line block ×3, first 2 shown]
	v_addc_co_u32_e32 v0, vcc, v1, v8, vcc
	v_ashrrev_i32_e32 v1, 31, v0
	v_lshlrev_b32_e32 v2, 2, v0
	v_lshlrev_b64 v[0:1], 2, v[0:1]
	v_ashrrev_i32_e32 v3, 31, v2
	v_add_co_u32_e32 v0, vcc, s44, v0
	v_addc_co_u32_e32 v1, vcc, v27, v1, vcc
	v_lshlrev_b64 v[2:3], 4, v[2:3]
	global_store_dword v[0:1], v26, off
	v_add_co_u32_e32 v0, vcc, s46, v2
	v_addc_co_u32_e32 v1, vcc, v28, v3, vcc
	s_waitcnt lgkmcnt(3)
	global_store_dwordx4 v[0:1], v[10:13], off
	s_waitcnt lgkmcnt(1)
	global_store_dwordx4 v[0:1], v[18:21], off offset:16
	s_waitcnt lgkmcnt(0)
	global_store_dwordx4 v[0:1], v[22:25], off offset:32
	global_store_dwordx4 v[0:1], v[14:17], off offset:48
	s_endpgm
	.section	.rodata,"a",@progbits
	.p2align	6, 0x0
	.amdhsa_kernel _ZN9rocsparseL27bsrgemm_fill_wf_per_row_2x2ILj256ELj16ELj8ELj137Eii21rocsparse_complex_numIdEEEv20rocsparse_direction_T4_S4_PKS4_S6_NS_24const_host_device_scalarIT5_EEPKT3_S6_PKS8_SC_S6_SE_S9_SC_S6_SE_SC_PS4_PS8_21rocsparse_index_base_SH_SH_SH_bbb
		.amdhsa_group_segment_fixed_size 8704
		.amdhsa_private_segment_fixed_size 24
		.amdhsa_kernarg_size 180
		.amdhsa_user_sgpr_count 8
		.amdhsa_user_sgpr_private_segment_buffer 1
		.amdhsa_user_sgpr_dispatch_ptr 0
		.amdhsa_user_sgpr_queue_ptr 0
		.amdhsa_user_sgpr_kernarg_segment_ptr 1
		.amdhsa_user_sgpr_dispatch_id 0
		.amdhsa_user_sgpr_flat_scratch_init 1
		.amdhsa_user_sgpr_kernarg_preload_length 0
		.amdhsa_user_sgpr_kernarg_preload_offset 0
		.amdhsa_user_sgpr_private_segment_size 0
		.amdhsa_uses_dynamic_stack 0
		.amdhsa_system_sgpr_private_segment_wavefront_offset 1
		.amdhsa_system_sgpr_workgroup_id_x 1
		.amdhsa_system_sgpr_workgroup_id_y 0
		.amdhsa_system_sgpr_workgroup_id_z 0
		.amdhsa_system_sgpr_workgroup_info 0
		.amdhsa_system_vgpr_workitem_id 0
		.amdhsa_next_free_vgpr 63
		.amdhsa_next_free_sgpr 60
		.amdhsa_accum_offset 64
		.amdhsa_reserve_vcc 1
		.amdhsa_reserve_flat_scratch 1
		.amdhsa_float_round_mode_32 0
		.amdhsa_float_round_mode_16_64 0
		.amdhsa_float_denorm_mode_32 3
		.amdhsa_float_denorm_mode_16_64 3
		.amdhsa_dx10_clamp 1
		.amdhsa_ieee_mode 1
		.amdhsa_fp16_overflow 0
		.amdhsa_tg_split 0
		.amdhsa_exception_fp_ieee_invalid_op 0
		.amdhsa_exception_fp_denorm_src 0
		.amdhsa_exception_fp_ieee_div_zero 0
		.amdhsa_exception_fp_ieee_overflow 0
		.amdhsa_exception_fp_ieee_underflow 0
		.amdhsa_exception_fp_ieee_inexact 0
		.amdhsa_exception_int_div_zero 0
	.end_amdhsa_kernel
	.section	.text._ZN9rocsparseL27bsrgemm_fill_wf_per_row_2x2ILj256ELj16ELj8ELj137Eii21rocsparse_complex_numIdEEEv20rocsparse_direction_T4_S4_PKS4_S6_NS_24const_host_device_scalarIT5_EEPKT3_S6_PKS8_SC_S6_SE_S9_SC_S6_SE_SC_PS4_PS8_21rocsparse_index_base_SH_SH_SH_bbb,"axG",@progbits,_ZN9rocsparseL27bsrgemm_fill_wf_per_row_2x2ILj256ELj16ELj8ELj137Eii21rocsparse_complex_numIdEEEv20rocsparse_direction_T4_S4_PKS4_S6_NS_24const_host_device_scalarIT5_EEPKT3_S6_PKS8_SC_S6_SE_S9_SC_S6_SE_SC_PS4_PS8_21rocsparse_index_base_SH_SH_SH_bbb,comdat
.Lfunc_end65:
	.size	_ZN9rocsparseL27bsrgemm_fill_wf_per_row_2x2ILj256ELj16ELj8ELj137Eii21rocsparse_complex_numIdEEEv20rocsparse_direction_T4_S4_PKS4_S6_NS_24const_host_device_scalarIT5_EEPKT3_S6_PKS8_SC_S6_SE_S9_SC_S6_SE_SC_PS4_PS8_21rocsparse_index_base_SH_SH_SH_bbb, .Lfunc_end65-_ZN9rocsparseL27bsrgemm_fill_wf_per_row_2x2ILj256ELj16ELj8ELj137Eii21rocsparse_complex_numIdEEEv20rocsparse_direction_T4_S4_PKS4_S6_NS_24const_host_device_scalarIT5_EEPKT3_S6_PKS8_SC_S6_SE_S9_SC_S6_SE_SC_PS4_PS8_21rocsparse_index_base_SH_SH_SH_bbb
                                        ; -- End function
	.section	.AMDGPU.csdata,"",@progbits
; Kernel info:
; codeLenInByte = 4064
; NumSgprs: 66
; NumVgprs: 63
; NumAgprs: 0
; TotalNumVgprs: 63
; ScratchSize: 24
; MemoryBound: 0
; FloatMode: 240
; IeeeMode: 1
; LDSByteSize: 8704 bytes/workgroup (compile time only)
; SGPRBlocks: 8
; VGPRBlocks: 7
; NumSGPRsForWavesPerEU: 66
; NumVGPRsForWavesPerEU: 63
; AccumOffset: 64
; Occupancy: 7
; WaveLimiterHint : 1
; COMPUTE_PGM_RSRC2:SCRATCH_EN: 1
; COMPUTE_PGM_RSRC2:USER_SGPR: 8
; COMPUTE_PGM_RSRC2:TRAP_HANDLER: 0
; COMPUTE_PGM_RSRC2:TGID_X_EN: 1
; COMPUTE_PGM_RSRC2:TGID_Y_EN: 0
; COMPUTE_PGM_RSRC2:TGID_Z_EN: 0
; COMPUTE_PGM_RSRC2:TIDIG_COMP_CNT: 0
; COMPUTE_PGM_RSRC3_GFX90A:ACCUM_OFFSET: 15
; COMPUTE_PGM_RSRC3_GFX90A:TG_SPLIT: 0
	.section	.text._ZN9rocsparseL27bsrgemm_fill_wf_per_row_2x2ILj256ELj16ELj16ELj137Eii21rocsparse_complex_numIdEEEv20rocsparse_direction_T4_S4_PKS4_S6_NS_24const_host_device_scalarIT5_EEPKT3_S6_PKS8_SC_S6_SE_S9_SC_S6_SE_SC_PS4_PS8_21rocsparse_index_base_SH_SH_SH_bbb,"axG",@progbits,_ZN9rocsparseL27bsrgemm_fill_wf_per_row_2x2ILj256ELj16ELj16ELj137Eii21rocsparse_complex_numIdEEEv20rocsparse_direction_T4_S4_PKS4_S6_NS_24const_host_device_scalarIT5_EEPKT3_S6_PKS8_SC_S6_SE_S9_SC_S6_SE_SC_PS4_PS8_21rocsparse_index_base_SH_SH_SH_bbb,comdat
	.globl	_ZN9rocsparseL27bsrgemm_fill_wf_per_row_2x2ILj256ELj16ELj16ELj137Eii21rocsparse_complex_numIdEEEv20rocsparse_direction_T4_S4_PKS4_S6_NS_24const_host_device_scalarIT5_EEPKT3_S6_PKS8_SC_S6_SE_S9_SC_S6_SE_SC_PS4_PS8_21rocsparse_index_base_SH_SH_SH_bbb ; -- Begin function _ZN9rocsparseL27bsrgemm_fill_wf_per_row_2x2ILj256ELj16ELj16ELj137Eii21rocsparse_complex_numIdEEEv20rocsparse_direction_T4_S4_PKS4_S6_NS_24const_host_device_scalarIT5_EEPKT3_S6_PKS8_SC_S6_SE_S9_SC_S6_SE_SC_PS4_PS8_21rocsparse_index_base_SH_SH_SH_bbb
	.p2align	8
	.type	_ZN9rocsparseL27bsrgemm_fill_wf_per_row_2x2ILj256ELj16ELj16ELj137Eii21rocsparse_complex_numIdEEEv20rocsparse_direction_T4_S4_PKS4_S6_NS_24const_host_device_scalarIT5_EEPKT3_S6_PKS8_SC_S6_SE_S9_SC_S6_SE_SC_PS4_PS8_21rocsparse_index_base_SH_SH_SH_bbb,@function
_ZN9rocsparseL27bsrgemm_fill_wf_per_row_2x2ILj256ELj16ELj16ELj137Eii21rocsparse_complex_numIdEEEv20rocsparse_direction_T4_S4_PKS4_S6_NS_24const_host_device_scalarIT5_EEPKT3_S6_PKS8_SC_S6_SE_S9_SC_S6_SE_SC_PS4_PS8_21rocsparse_index_base_SH_SH_SH_bbb: ; @_ZN9rocsparseL27bsrgemm_fill_wf_per_row_2x2ILj256ELj16ELj16ELj137Eii21rocsparse_complex_numIdEEEv20rocsparse_direction_T4_S4_PKS4_S6_NS_24const_host_device_scalarIT5_EEPKT3_S6_PKS8_SC_S6_SE_S9_SC_S6_SE_SC_PS4_PS8_21rocsparse_index_base_SH_SH_SH_bbb
; %bb.0:
	s_load_dword s9, s[6:7], 0xb0
	s_load_dwordx4 s[28:31], s[6:7], 0xa0
	s_load_dwordx2 s[2:3], s[4:5], 0x4
	s_load_dwordx4 s[12:15], s[6:7], 0x20
	s_load_dwordx4 s[48:51], s[6:7], 0x60
	v_and_b32_e32 v1, 0x3ff, v0
	s_waitcnt lgkmcnt(0)
	s_bitcmp1_b32 s9, 0
	s_cselect_b64 s[10:11], -1, 0
	s_bitcmp1_b32 s9, 16
	s_cselect_b64 s[0:1], -1, 0
	s_lshr_b32 s2, s2, 16
	s_mul_i32 s2, s2, s3
	v_mul_lo_u32 v2, s2, v1
	v_bfe_u32 v3, v0, 10, 10
	v_mad_u32_u24 v2, v3, s3, v2
	v_bfe_u32 v0, v0, 20, 10
	v_add_lshl_u32 v0, v2, v0, 3
	v_pk_mov_b32 v[2:3], s[12:13], s[12:13] op_sel:[0,1]
	v_pk_mov_b32 v[4:5], s[48:49], s[48:49] op_sel:[0,1]
	s_xor_b64 s[2:3], s[0:1], -1
	ds_write2st64_b64 v0, v[4:5], v[2:3] offset0:34 offset1:38
	v_pk_mov_b32 v[16:17], 0, 0
	v_cndmask_b32_e64 v2, 0, 1, s[2:3]
	s_bitcmp0_b32 s9, 0
	v_cmp_ne_u32_e64 s[2:3], 1, v2
	v_pk_mov_b32 v[22:23], v[16:17], v[16:17] op_sel:[0,1]
	v_pk_mov_b32 v[24:25], v[16:17], v[16:17] op_sel:[0,1]
	s_cbranch_scc1 .LBB66_3
; %bb.1:
	s_mov_b64 s[4:5], src_shared_base
	s_and_b64 s[16:17], s[0:1], exec
	v_add_u32_e32 v2, 0x4c00, v0
	s_cselect_b32 s4, s5, s13
	v_mov_b32_e32 v3, s12
	v_cndmask_b32_e64 v2, v3, v2, s[0:1]
	v_mov_b32_e32 v3, s4
	flat_load_dwordx2 v[22:23], v[2:3]
	s_and_b64 vcc, exec, s[2:3]
	v_pk_mov_b32 v[24:25], s[14:15], s[14:15] op_sel:[0,1]
	s_cbranch_vccnz .LBB66_3
; %bb.2:
	v_pk_mov_b32 v[2:3], s[12:13], s[12:13] op_sel:[0,1]
	flat_load_dwordx2 v[24:25], v[2:3] offset:8
.LBB66_3:
	s_load_dwordx4 s[36:39], s[6:7], 0x90
	s_load_dwordx8 s[12:19], s[6:7], 0x70
	s_load_dwordx4 s[40:43], s[6:7], 0x50
	s_load_dwordx4 s[44:47], s[6:7], 0x10
	s_load_dwordx8 s[20:27], s[6:7], 0x30
	s_bitcmp1_b32 s9, 8
	s_cselect_b64 s[4:5], -1, 0
	s_bfe_u32 s9, s9, 0x10008
	s_mov_b64 s[34:35], 0
	s_cmp_eq_u32 s9, 0
	v_pk_mov_b32 v[18:19], v[16:17], v[16:17] op_sel:[0,1]
	s_cbranch_scc1 .LBB66_6
; %bb.4:
	s_mov_b64 s[52:53], src_shared_base
	s_and_b64 s[54:55], s[0:1], exec
	v_add_u32_e32 v0, 0x4400, v0
	s_cselect_b32 s9, s53, s49
	v_mov_b32_e32 v2, s48
	v_cndmask_b32_e64 v2, v2, v0, s[0:1]
	v_mov_b32_e32 v3, s9
	flat_load_dwordx2 v[18:19], v[2:3]
	s_and_b64 vcc, exec, s[2:3]
	v_pk_mov_b32 v[16:17], s[50:51], s[50:51] op_sel:[0,1]
	s_cbranch_vccnz .LBB66_6
; %bb.5:
	v_pk_mov_b32 v[2:3], s[48:49], s[48:49] op_sel:[0,1]
	flat_load_dwordx2 v[16:17], v[2:3] offset:8
.LBB66_6:
	s_load_dwordx4 s[0:3], s[6:7], 0x0
	v_and_b32_e32 v50, 15, v1
	v_lshrrev_b32_e32 v4, 4, v1
	v_and_b32_e32 v0, 0xf0, v1
	v_mov_b32_e32 v1, 0x4000
	v_lshl_or_b32 v52, v0, 2, v1
	v_lshl_or_b32 v53, v50, 2, v52
	s_waitcnt lgkmcnt(0)
	v_mov_b32_e32 v0, s2
	ds_write_b32 v53, v0
	v_lshlrev_b32_e32 v0, 4, v50
	v_lshl_or_b32 v6, v4, 10, v0
	v_mov_b32_e32 v0, 0
	v_or_b32_e32 v5, -16, v50
	v_mov_b32_e32 v1, v0
	v_mov_b32_e32 v2, v0
	;; [unrolled: 1-line block ×3, first 2 shown]
.LBB66_7:                               ; =>This Inner Loop Header: Depth=1
	v_add_u32_e32 v5, 16, v5
	v_cmp_lt_u32_e32 vcc, 47, v5
	ds_write_b128 v6, v[0:3]
	s_or_b64 s[34:35], vcc, s[34:35]
	v_add_u32_e32 v6, 0x100, v6
	s_andn2_b64 exec, exec, s[34:35]
	s_cbranch_execnz .LBB66_7
; %bb.8:
	s_or_b64 exec, exec, s[34:35]
	v_lshl_or_b32 v0, s8, 4, v4
	v_cmp_gt_i32_e32 vcc, s1, v0
	s_waitcnt lgkmcnt(0)
	s_barrier
	s_and_saveexec_b64 s[6:7], vcc
	s_cbranch_execz .LBB66_122
; %bb.9:
	s_cmp_eq_u64 s[46:47], 0
	s_cbranch_scc1 .LBB66_11
; %bb.10:
	s_load_dword s1, s[44:45], 0x0
	v_mov_b32_e32 v2, s47
	s_waitcnt lgkmcnt(0)
	v_add_u32_e32 v0, s1, v0
	v_ashrrev_i32_e32 v1, 31, v0
	v_lshlrev_b64 v[0:1], 2, v[0:1]
	v_add_co_u32_e32 v0, vcc, s46, v0
	v_addc_co_u32_e32 v1, vcc, v2, v1, vcc
	global_load_dword v0, v[0:1], off
.LBB66_11:
	s_waitcnt vmcnt(0)
	v_ashrrev_i32_e32 v1, 31, v0
	v_lshlrev_b32_e32 v51, 10, v4
	s_andn2_b64 vcc, exec, s[10:11]
	v_lshlrev_b64 v[20:21], 2, v[0:1]
	s_cbranch_vccnz .LBB66_67
; %bb.12:
	v_mov_b32_e32 v1, s21
	v_add_co_u32_e32 v0, vcc, s20, v20
	v_addc_co_u32_e32 v1, vcc, v1, v21, vcc
	global_load_dwordx2 v[0:1], v[0:1], off
	v_subrev_u32_e32 v2, s28, v50
	s_waitcnt vmcnt(0)
	v_subrev_u32_e32 v54, s28, v1
	v_add_u32_e32 v26, v0, v2
	v_cmp_lt_i32_e32 vcc, v26, v54
	s_and_saveexec_b64 s[6:7], vcc
	s_cbranch_execz .LBB66_66
; %bb.13:
	s_cmp_eq_u32 s0, 0
	s_cselect_b32 s1, 1, 2
	s_cselect_b32 s3, 2, 1
	v_add_u32_e32 v55, 16, v51
	v_add_u32_e32 v56, 32, v51
	;; [unrolled: 1-line block ×3, first 2 shown]
	s_mov_b64 s[8:9], 0
	v_mov_b32_e32 v58, s23
	v_mov_b32_e32 v59, s27
	s_branch .LBB66_15
.LBB66_14:                              ;   in Loop: Header=BB66_15 Depth=1
	s_or_b64 exec, exec, s[10:11]
	v_add_u32_e32 v26, 16, v26
	v_cmp_ge_i32_e32 vcc, v26, v54
	s_or_b64 s[8:9], vcc, s[8:9]
	s_andn2_b64 exec, exec, s[8:9]
	s_cbranch_execz .LBB66_66
.LBB66_15:                              ; =>This Loop Header: Depth=1
                                        ;     Child Loop BB66_18 Depth 2
                                        ;       Child Loop BB66_20 Depth 3
                                        ;       Child Loop BB66_32 Depth 3
	;; [unrolled: 1-line block ×4, first 2 shown]
	v_ashrrev_i32_e32 v27, 31, v26
	v_lshlrev_b64 v[0:1], 2, v[26:27]
	v_add_co_u32_e32 v0, vcc, s22, v0
	v_addc_co_u32_e32 v1, vcc, v58, v1, vcc
	global_load_dword v0, v[0:1], off
	s_waitcnt vmcnt(0)
	v_subrev_u32_e32 v0, s28, v0
	v_ashrrev_i32_e32 v1, 31, v0
	v_lshlrev_b64 v[0:1], 2, v[0:1]
	v_add_co_u32_e32 v0, vcc, s26, v0
	v_addc_co_u32_e32 v1, vcc, v59, v1, vcc
	global_load_dwordx2 v[0:1], v[0:1], off
	s_waitcnt vmcnt(0)
	v_cmp_lt_i32_e32 vcc, v0, v1
	s_and_saveexec_b64 s[10:11], vcc
	s_cbranch_execz .LBB66_14
; %bb.16:                               ;   in Loop: Header=BB66_15 Depth=1
	v_lshlrev_b32_e32 v14, 2, v26
	v_ashrrev_i32_e32 v15, 31, v14
	v_lshlrev_b64 v[2:3], 4, v[14:15]
	v_mov_b32_e32 v27, s25
	v_add_co_u32_e32 v10, vcc, s24, v2
	v_addc_co_u32_e32 v11, vcc, v27, v3, vcc
	global_load_dwordx4 v[2:5], v[10:11], off
	global_load_dwordx4 v[6:9], v[10:11], off offset:48
	v_or_b32_e32 v10, s1, v14
	v_ashrrev_i32_e32 v11, 31, v10
	v_lshlrev_b64 v[10:11], 4, v[10:11]
	v_or_b32_e32 v14, s3, v14
	v_add_co_u32_e32 v10, vcc, s24, v10
	v_ashrrev_i32_e32 v15, 31, v14
	v_addc_co_u32_e32 v11, vcc, v27, v11, vcc
	v_lshlrev_b64 v[14:15], 4, v[14:15]
	v_add_co_u32_e32 v14, vcc, s24, v14
	v_addc_co_u32_e32 v15, vcc, v27, v15, vcc
	global_load_dwordx4 v[10:13], v[10:11], off
	v_subrev_u32_e32 v27, s29, v1
	global_load_dwordx4 v[46:49], v[14:15], off
	v_subrev_u32_e32 v28, s29, v0
	s_mov_b64 s[20:21], 0
	s_waitcnt vmcnt(3)
	v_mul_f64 v[30:31], v[4:5], -v[24:25]
	v_mul_f64 v[32:33], v[22:23], v[4:5]
	s_waitcnt vmcnt(2)
	v_mul_f64 v[34:35], v[8:9], -v[24:25]
	v_mul_f64 v[36:37], v[22:23], v[8:9]
	v_fmac_f64_e32 v[30:31], v[22:23], v[2:3]
	v_fmac_f64_e32 v[32:33], v[24:25], v[2:3]
	;; [unrolled: 1-line block ×4, first 2 shown]
	s_waitcnt vmcnt(1)
	v_mul_f64 v[38:39], v[12:13], -v[24:25]
	v_mul_f64 v[40:41], v[22:23], v[12:13]
	s_waitcnt vmcnt(0)
	v_mul_f64 v[42:43], v[48:49], -v[24:25]
	v_mul_f64 v[44:45], v[22:23], v[48:49]
	v_fmac_f64_e32 v[38:39], v[22:23], v[10:11]
	v_fmac_f64_e32 v[40:41], v[24:25], v[10:11]
	;; [unrolled: 1-line block ×4, first 2 shown]
	s_branch .LBB66_18
.LBB66_17:                              ;   in Loop: Header=BB66_18 Depth=2
	s_or_b64 exec, exec, s[34:35]
	v_add_u32_e32 v28, 1, v28
	v_cmp_ge_i32_e32 vcc, v28, v27
	s_or_b64 s[20:21], vcc, s[20:21]
	s_andn2_b64 exec, exec, s[20:21]
	s_cbranch_execz .LBB66_14
.LBB66_18:                              ;   Parent Loop BB66_15 Depth=1
                                        ; =>  This Loop Header: Depth=2
                                        ;       Child Loop BB66_20 Depth 3
                                        ;       Child Loop BB66_32 Depth 3
	;; [unrolled: 1-line block ×4, first 2 shown]
	v_ashrrev_i32_e32 v29, 31, v28
	v_lshlrev_b64 v[0:1], 2, v[28:29]
	v_mov_b32_e32 v2, s41
	v_add_co_u32_e32 v0, vcc, s40, v0
	v_addc_co_u32_e32 v1, vcc, v2, v1, vcc
	global_load_dword v29, v[0:1], off
	v_lshlrev_b32_e32 v0, 2, v28
	v_or_b32_e32 v4, s3, v0
	v_ashrrev_i32_e32 v5, 31, v4
	v_lshlrev_b64 v[4:5], 4, v[4:5]
	v_ashrrev_i32_e32 v1, 31, v0
	v_mov_b32_e32 v6, s43
	v_add_co_u32_e32 v4, vcc, s42, v4
	v_or_b32_e32 v2, s1, v0
	v_lshlrev_b64 v[0:1], 4, v[0:1]
	v_addc_co_u32_e32 v5, vcc, v6, v5, vcc
	global_load_dwordx4 v[12:15], v[4:5], off
	v_add_co_u32_e32 v46, vcc, s42, v0
	v_ashrrev_i32_e32 v3, 31, v2
	v_addc_co_u32_e32 v47, vcc, v6, v1, vcc
	global_load_dwordx4 v[8:11], v[46:47], off
	v_lshlrev_b64 v[0:1], 4, v[2:3]
	v_add_co_u32_e32 v48, vcc, s42, v0
	v_addc_co_u32_e32 v49, vcc, v6, v1, vcc
	global_load_dwordx4 v[0:3], v[48:49], off
	global_load_dwordx4 v[4:7], v[46:47], off offset:48
	s_mov_b64 s[34:35], 0
	s_waitcnt vmcnt(4)
	v_subrev_u32_e32 v29, s29, v29
	v_lshl_add_u32 v60, v29, 3, v29
	v_and_b32_e32 v60, 15, v60
	v_mov_b32_e32 v61, v60
	s_waitcnt vmcnt(3)
	v_mul_f64 v[48:49], v[14:15], -v[40:41]
	v_mul_f64 v[46:47], v[38:39], v[14:15]
	v_fmac_f64_e32 v[48:49], v[38:39], v[12:13]
	v_fmac_f64_e32 v[46:47], v[40:41], v[12:13]
	s_waitcnt vmcnt(2)
	v_fmac_f64_e32 v[48:49], v[30:31], v[8:9]
	v_fmac_f64_e32 v[46:47], v[32:33], v[8:9]
	v_fma_f64 v[48:49], -v[32:33], v[10:11], v[48:49]
	v_fmac_f64_e32 v[46:47], v[30:31], v[10:11]
	s_branch .LBB66_20
.LBB66_19:                              ;   in Loop: Header=BB66_20 Depth=3
	s_or_b64 exec, exec, s[44:45]
	s_xor_b64 s[44:45], s[46:47], -1
	s_and_b64 s[44:45], exec, s[44:45]
	s_or_b64 s[34:35], s[44:45], s[34:35]
	s_andn2_b64 exec, exec, s[34:35]
	s_cbranch_execz .LBB66_30
.LBB66_20:                              ;   Parent Loop BB66_15 Depth=1
                                        ;     Parent Loop BB66_18 Depth=2
                                        ; =>    This Inner Loop Header: Depth=3
	v_lshl_add_u32 v62, v61, 2, v52
	ds_read_b32 v63, v62
                                        ; implicit-def: $sgpr46_sgpr47
	s_waitcnt lgkmcnt(0)
	v_cmp_ne_u32_e32 vcc, v63, v29
	s_and_saveexec_b64 s[44:45], vcc
	s_xor_b64 s[44:45], exec, s[44:45]
	s_cbranch_execz .LBB66_28
; %bb.21:                               ;   in Loop: Header=BB66_20 Depth=3
	v_cmp_ne_u32_e32 vcc, s2, v63
                                        ; implicit-def: $sgpr46_sgpr47
	s_and_saveexec_b64 s[48:49], vcc
	s_xor_b64 s[48:49], exec, s[48:49]
; %bb.22:                               ;   in Loop: Header=BB66_20 Depth=3
	v_add_u32_e32 v61, 1, v61
	v_and_b32_e32 v61, 15, v61
	s_mov_b64 s[46:47], -1
                                        ; implicit-def: $vgpr62
; %bb.23:                               ;   in Loop: Header=BB66_20 Depth=3
	s_andn2_saveexec_b64 s[48:49], s[48:49]
	s_cbranch_execz .LBB66_27
; %bb.24:                               ;   in Loop: Header=BB66_20 Depth=3
	v_mov_b32_e32 v63, s2
	ds_cmpst_rtn_b32 v62, v62, v63, v29
	s_mov_b64 s[50:51], -1
	s_waitcnt lgkmcnt(0)
	v_cmp_eq_u32_e32 vcc, s2, v62
	s_and_saveexec_b64 s[52:53], vcc
	s_cbranch_execz .LBB66_26
; %bb.25:                               ;   in Loop: Header=BB66_20 Depth=3
	v_lshl_add_u32 v62, v61, 6, v51
	ds_add_f64 v62, v[48:49]
	ds_add_f64 v62, v[46:47] offset:8
	s_xor_b64 s[50:51], exec, -1
.LBB66_26:                              ;   in Loop: Header=BB66_20 Depth=3
	s_or_b64 exec, exec, s[52:53]
	s_andn2_b64 s[46:47], s[46:47], exec
	s_and_b64 s[50:51], s[50:51], exec
	s_or_b64 s[46:47], s[46:47], s[50:51]
.LBB66_27:                              ;   in Loop: Header=BB66_20 Depth=3
	s_or_b64 exec, exec, s[48:49]
	s_and_b64 s[46:47], s[46:47], exec
.LBB66_28:                              ;   in Loop: Header=BB66_20 Depth=3
	s_andn2_saveexec_b64 s[44:45], s[44:45]
	s_cbranch_execz .LBB66_19
; %bb.29:                               ;   in Loop: Header=BB66_20 Depth=3
	v_lshl_add_u32 v62, v61, 6, v51
	ds_add_f64 v62, v[48:49]
	ds_add_f64 v62, v[46:47] offset:8
	s_andn2_b64 s[46:47], s[46:47], exec
	s_branch .LBB66_19
.LBB66_30:                              ;   in Loop: Header=BB66_18 Depth=2
	s_or_b64 exec, exec, s[34:35]
	s_waitcnt vmcnt(0)
	v_mul_f64 v[48:49], v[6:7], -v[40:41]
	v_mul_f64 v[46:47], v[38:39], v[6:7]
	v_fmac_f64_e32 v[48:49], v[38:39], v[4:5]
	v_fmac_f64_e32 v[46:47], v[40:41], v[4:5]
	;; [unrolled: 1-line block ×4, first 2 shown]
	v_fma_f64 v[48:49], -v[32:33], v[2:3], v[48:49]
	v_fmac_f64_e32 v[46:47], v[30:31], v[2:3]
	s_mov_b64 s[34:35], 0
	v_mov_b32_e32 v61, v60
	s_branch .LBB66_32
.LBB66_31:                              ;   in Loop: Header=BB66_32 Depth=3
	s_or_b64 exec, exec, s[44:45]
	s_xor_b64 s[44:45], s[46:47], -1
	s_and_b64 s[44:45], exec, s[44:45]
	s_or_b64 s[34:35], s[44:45], s[34:35]
	s_andn2_b64 exec, exec, s[34:35]
	s_cbranch_execz .LBB66_42
.LBB66_32:                              ;   Parent Loop BB66_15 Depth=1
                                        ;     Parent Loop BB66_18 Depth=2
                                        ; =>    This Inner Loop Header: Depth=3
	v_lshl_add_u32 v62, v61, 2, v52
	ds_read_b32 v63, v62
                                        ; implicit-def: $sgpr46_sgpr47
	s_waitcnt lgkmcnt(0)
	v_cmp_ne_u32_e32 vcc, v63, v29
	s_and_saveexec_b64 s[44:45], vcc
	s_xor_b64 s[44:45], exec, s[44:45]
	s_cbranch_execz .LBB66_40
; %bb.33:                               ;   in Loop: Header=BB66_32 Depth=3
	v_cmp_ne_u32_e32 vcc, s2, v63
                                        ; implicit-def: $sgpr46_sgpr47
	s_and_saveexec_b64 s[48:49], vcc
	s_xor_b64 s[48:49], exec, s[48:49]
; %bb.34:                               ;   in Loop: Header=BB66_32 Depth=3
	v_add_u32_e32 v61, 1, v61
	v_and_b32_e32 v61, 15, v61
	s_mov_b64 s[46:47], -1
                                        ; implicit-def: $vgpr62
; %bb.35:                               ;   in Loop: Header=BB66_32 Depth=3
	s_andn2_saveexec_b64 s[48:49], s[48:49]
	s_cbranch_execz .LBB66_39
; %bb.36:                               ;   in Loop: Header=BB66_32 Depth=3
	v_mov_b32_e32 v63, s2
	ds_cmpst_rtn_b32 v62, v62, v63, v29
	s_mov_b64 s[50:51], -1
	s_waitcnt lgkmcnt(0)
	v_cmp_eq_u32_e32 vcc, s2, v62
	s_and_saveexec_b64 s[52:53], vcc
	s_cbranch_execz .LBB66_38
; %bb.37:                               ;   in Loop: Header=BB66_32 Depth=3
	v_lshl_add_u32 v62, v61, 6, v55
	ds_add_f64 v62, v[48:49]
	ds_add_f64 v62, v[46:47] offset:8
	s_xor_b64 s[50:51], exec, -1
.LBB66_38:                              ;   in Loop: Header=BB66_32 Depth=3
	s_or_b64 exec, exec, s[52:53]
	s_andn2_b64 s[46:47], s[46:47], exec
	s_and_b64 s[50:51], s[50:51], exec
	s_or_b64 s[46:47], s[46:47], s[50:51]
.LBB66_39:                              ;   in Loop: Header=BB66_32 Depth=3
	s_or_b64 exec, exec, s[48:49]
	s_and_b64 s[46:47], s[46:47], exec
.LBB66_40:                              ;   in Loop: Header=BB66_32 Depth=3
	s_andn2_saveexec_b64 s[44:45], s[44:45]
	s_cbranch_execz .LBB66_31
; %bb.41:                               ;   in Loop: Header=BB66_32 Depth=3
	v_lshl_add_u32 v62, v61, 6, v55
	ds_add_f64 v62, v[48:49]
	ds_add_f64 v62, v[46:47] offset:8
	s_andn2_b64 s[46:47], s[46:47], exec
	s_branch .LBB66_31
.LBB66_42:                              ;   in Loop: Header=BB66_18 Depth=2
	s_or_b64 exec, exec, s[34:35]
	v_mul_f64 v[46:47], v[14:15], -v[36:37]
	v_mul_f64 v[14:15], v[34:35], v[14:15]
	v_fmac_f64_e32 v[46:47], v[34:35], v[12:13]
	v_fmac_f64_e32 v[14:15], v[36:37], v[12:13]
	;; [unrolled: 1-line block ×4, first 2 shown]
	v_fma_f64 v[12:13], -v[44:45], v[10:11], v[46:47]
	v_fmac_f64_e32 v[14:15], v[42:43], v[10:11]
	s_mov_b64 s[34:35], 0
	v_mov_b32_e32 v8, v60
	s_branch .LBB66_44
.LBB66_43:                              ;   in Loop: Header=BB66_44 Depth=3
	s_or_b64 exec, exec, s[44:45]
	s_xor_b64 s[44:45], s[46:47], -1
	s_and_b64 s[44:45], exec, s[44:45]
	s_or_b64 s[34:35], s[44:45], s[34:35]
	s_andn2_b64 exec, exec, s[34:35]
	s_cbranch_execz .LBB66_54
.LBB66_44:                              ;   Parent Loop BB66_15 Depth=1
                                        ;     Parent Loop BB66_18 Depth=2
                                        ; =>    This Inner Loop Header: Depth=3
	v_lshl_add_u32 v9, v8, 2, v52
	ds_read_b32 v10, v9
                                        ; implicit-def: $sgpr46_sgpr47
	s_waitcnt lgkmcnt(0)
	v_cmp_ne_u32_e32 vcc, v10, v29
	s_and_saveexec_b64 s[44:45], vcc
	s_xor_b64 s[44:45], exec, s[44:45]
	s_cbranch_execz .LBB66_52
; %bb.45:                               ;   in Loop: Header=BB66_44 Depth=3
	v_cmp_ne_u32_e32 vcc, s2, v10
                                        ; implicit-def: $sgpr46_sgpr47
	s_and_saveexec_b64 s[48:49], vcc
	s_xor_b64 s[48:49], exec, s[48:49]
; %bb.46:                               ;   in Loop: Header=BB66_44 Depth=3
	v_add_u32_e32 v8, 1, v8
	v_and_b32_e32 v8, 15, v8
	s_mov_b64 s[46:47], -1
                                        ; implicit-def: $vgpr9
; %bb.47:                               ;   in Loop: Header=BB66_44 Depth=3
	s_andn2_saveexec_b64 s[48:49], s[48:49]
	s_cbranch_execz .LBB66_51
; %bb.48:                               ;   in Loop: Header=BB66_44 Depth=3
	v_mov_b32_e32 v10, s2
	ds_cmpst_rtn_b32 v9, v9, v10, v29
	s_mov_b64 s[50:51], -1
	s_waitcnt lgkmcnt(0)
	v_cmp_eq_u32_e32 vcc, s2, v9
	s_and_saveexec_b64 s[52:53], vcc
	s_cbranch_execz .LBB66_50
; %bb.49:                               ;   in Loop: Header=BB66_44 Depth=3
	v_lshl_add_u32 v9, v8, 6, v56
	ds_add_f64 v9, v[12:13]
	ds_add_f64 v9, v[14:15] offset:8
	s_xor_b64 s[50:51], exec, -1
.LBB66_50:                              ;   in Loop: Header=BB66_44 Depth=3
	s_or_b64 exec, exec, s[52:53]
	s_andn2_b64 s[46:47], s[46:47], exec
	s_and_b64 s[50:51], s[50:51], exec
	s_or_b64 s[46:47], s[46:47], s[50:51]
.LBB66_51:                              ;   in Loop: Header=BB66_44 Depth=3
	s_or_b64 exec, exec, s[48:49]
	s_and_b64 s[46:47], s[46:47], exec
.LBB66_52:                              ;   in Loop: Header=BB66_44 Depth=3
	s_andn2_saveexec_b64 s[44:45], s[44:45]
	s_cbranch_execz .LBB66_43
; %bb.53:                               ;   in Loop: Header=BB66_44 Depth=3
	v_lshl_add_u32 v9, v8, 6, v56
	ds_add_f64 v9, v[12:13]
	ds_add_f64 v9, v[14:15] offset:8
	s_andn2_b64 s[46:47], s[46:47], exec
	s_branch .LBB66_43
.LBB66_54:                              ;   in Loop: Header=BB66_18 Depth=2
	s_or_b64 exec, exec, s[34:35]
	v_mul_f64 v[8:9], v[6:7], -v[36:37]
	v_mul_f64 v[6:7], v[34:35], v[6:7]
	v_fmac_f64_e32 v[8:9], v[34:35], v[4:5]
	v_fmac_f64_e32 v[6:7], v[36:37], v[4:5]
	;; [unrolled: 1-line block ×4, first 2 shown]
	v_fma_f64 v[4:5], -v[44:45], v[2:3], v[8:9]
	v_fmac_f64_e32 v[6:7], v[42:43], v[2:3]
	s_mov_b64 s[34:35], 0
	s_branch .LBB66_56
.LBB66_55:                              ;   in Loop: Header=BB66_56 Depth=3
	s_or_b64 exec, exec, s[44:45]
	s_xor_b64 s[44:45], s[46:47], -1
	s_and_b64 s[44:45], exec, s[44:45]
	s_or_b64 s[34:35], s[44:45], s[34:35]
	s_andn2_b64 exec, exec, s[34:35]
	s_cbranch_execz .LBB66_17
.LBB66_56:                              ;   Parent Loop BB66_15 Depth=1
                                        ;     Parent Loop BB66_18 Depth=2
                                        ; =>    This Inner Loop Header: Depth=3
	v_lshl_add_u32 v0, v60, 2, v52
	ds_read_b32 v1, v0
                                        ; implicit-def: $sgpr46_sgpr47
	s_waitcnt lgkmcnt(0)
	v_cmp_ne_u32_e32 vcc, v1, v29
	s_and_saveexec_b64 s[44:45], vcc
	s_xor_b64 s[44:45], exec, s[44:45]
	s_cbranch_execz .LBB66_64
; %bb.57:                               ;   in Loop: Header=BB66_56 Depth=3
	v_cmp_ne_u32_e32 vcc, s2, v1
                                        ; implicit-def: $sgpr46_sgpr47
	s_and_saveexec_b64 s[48:49], vcc
	s_xor_b64 s[48:49], exec, s[48:49]
; %bb.58:                               ;   in Loop: Header=BB66_56 Depth=3
	v_add_u32_e32 v0, 1, v60
	v_and_b32_e32 v60, 15, v0
	s_mov_b64 s[46:47], -1
                                        ; implicit-def: $vgpr0
; %bb.59:                               ;   in Loop: Header=BB66_56 Depth=3
	s_andn2_saveexec_b64 s[48:49], s[48:49]
	s_cbranch_execz .LBB66_63
; %bb.60:                               ;   in Loop: Header=BB66_56 Depth=3
	v_mov_b32_e32 v1, s2
	ds_cmpst_rtn_b32 v0, v0, v1, v29
	s_mov_b64 s[50:51], -1
	s_waitcnt lgkmcnt(0)
	v_cmp_eq_u32_e32 vcc, s2, v0
	s_and_saveexec_b64 s[52:53], vcc
	s_cbranch_execz .LBB66_62
; %bb.61:                               ;   in Loop: Header=BB66_56 Depth=3
	v_lshl_add_u32 v0, v60, 6, v57
	ds_add_f64 v0, v[4:5]
	ds_add_f64 v0, v[6:7] offset:8
	s_xor_b64 s[50:51], exec, -1
.LBB66_62:                              ;   in Loop: Header=BB66_56 Depth=3
	s_or_b64 exec, exec, s[52:53]
	s_andn2_b64 s[46:47], s[46:47], exec
	s_and_b64 s[50:51], s[50:51], exec
	s_or_b64 s[46:47], s[46:47], s[50:51]
.LBB66_63:                              ;   in Loop: Header=BB66_56 Depth=3
	s_or_b64 exec, exec, s[48:49]
	s_and_b64 s[46:47], s[46:47], exec
.LBB66_64:                              ;   in Loop: Header=BB66_56 Depth=3
	s_andn2_saveexec_b64 s[44:45], s[44:45]
	s_cbranch_execz .LBB66_55
; %bb.65:                               ;   in Loop: Header=BB66_56 Depth=3
	v_lshl_add_u32 v0, v60, 6, v57
	ds_add_f64 v0, v[4:5]
	ds_add_f64 v0, v[6:7] offset:8
	s_andn2_b64 s[46:47], s[46:47], exec
	s_branch .LBB66_55
.LBB66_66:
	s_or_b64 exec, exec, s[6:7]
.LBB66_67:
	s_andn2_b64 vcc, exec, s[4:5]
	s_waitcnt lgkmcnt(0)
	s_cbranch_vccnz .LBB66_120
; %bb.68:
	v_mov_b32_e32 v1, s13
	v_add_co_u32_e32 v0, vcc, s12, v20
	v_addc_co_u32_e32 v1, vcc, v1, v21, vcc
	global_load_dwordx2 v[0:1], v[0:1], off
	v_subrev_u32_e32 v2, s31, v50
	s_waitcnt vmcnt(0)
	v_subrev_u32_e32 v24, s31, v1
	v_add_u32_e32 v12, v0, v2
	v_cmp_lt_i32_e32 vcc, v12, v24
	s_and_saveexec_b64 s[4:5], vcc
	s_cbranch_execz .LBB66_119
; %bb.69:
	s_cmp_eq_u32 s0, 0
	s_cselect_b32 s1, 1, 2
	s_cselect_b32 s3, 2, 1
	v_add_u32_e32 v25, 16, v51
	v_add_u32_e32 v26, 32, v51
	;; [unrolled: 1-line block ×3, first 2 shown]
	s_mov_b64 s[6:7], 0
	v_mov_b32_e32 v28, s17
	v_mov_b32_e32 v29, s15
	s_branch .LBB66_71
.LBB66_70:                              ;   in Loop: Header=BB66_71 Depth=1
	s_or_b64 exec, exec, s[8:9]
	v_add_u32_e32 v12, 16, v12
	v_cmp_ge_i32_e32 vcc, v12, v24
	s_or_b64 s[6:7], vcc, s[6:7]
	s_andn2_b64 exec, exec, s[6:7]
	s_cbranch_execz .LBB66_119
.LBB66_71:                              ; =>This Loop Header: Depth=1
                                        ;     Child Loop BB66_73 Depth 2
                                        ;     Child Loop BB66_85 Depth 2
	;; [unrolled: 1-line block ×4, first 2 shown]
	v_lshlrev_b32_e32 v4, 2, v12
	v_ashrrev_i32_e32 v5, 31, v4
	v_lshlrev_b64 v[0:1], 4, v[4:5]
	v_add_co_u32_e32 v6, vcc, s16, v0
	v_addc_co_u32_e32 v7, vcc, v28, v1, vcc
	global_load_dwordx4 v[30:33], v[6:7], off
	global_load_dwordx4 v[0:3], v[6:7], off offset:48
	v_or_b32_e32 v6, s1, v4
	v_ashrrev_i32_e32 v7, 31, v6
	v_lshlrev_b64 v[6:7], 4, v[6:7]
	v_ashrrev_i32_e32 v13, 31, v12
	v_add_co_u32_e32 v14, vcc, s16, v6
	v_addc_co_u32_e32 v15, vcc, v28, v7, vcc
	v_lshlrev_b64 v[6:7], 2, v[12:13]
	v_add_co_u32_e32 v6, vcc, s14, v6
	v_addc_co_u32_e32 v7, vcc, v29, v7, vcc
	global_load_dword v13, v[6:7], off
	v_or_b32_e32 v4, s3, v4
	v_ashrrev_i32_e32 v5, 31, v4
	v_lshlrev_b64 v[4:5], 4, v[4:5]
	v_add_co_u32_e32 v22, vcc, s16, v4
	v_addc_co_u32_e32 v23, vcc, v28, v5, vcc
	global_load_dwordx4 v[8:11], v[14:15], off
	global_load_dwordx4 v[4:7], v[22:23], off
	s_mov_b64 s[8:9], 0
	s_waitcnt vmcnt(4)
	v_mul_f64 v[14:15], v[32:33], -v[16:17]
	v_mul_f64 v[22:23], v[18:19], v[32:33]
	v_fmac_f64_e32 v[14:15], v[18:19], v[30:31]
	v_fmac_f64_e32 v[22:23], v[16:17], v[30:31]
	s_waitcnt vmcnt(2)
	v_subrev_u32_e32 v13, s31, v13
	v_lshl_add_u32 v32, v13, 3, v13
	v_and_b32_e32 v30, 15, v32
	v_mov_b32_e32 v31, v30
	s_branch .LBB66_73
.LBB66_72:                              ;   in Loop: Header=BB66_73 Depth=2
	s_or_b64 exec, exec, s[10:11]
	s_xor_b64 s[10:11], s[12:13], -1
	s_and_b64 s[10:11], exec, s[10:11]
	s_or_b64 s[8:9], s[10:11], s[8:9]
	s_andn2_b64 exec, exec, s[8:9]
	s_cbranch_execz .LBB66_83
.LBB66_73:                              ;   Parent Loop BB66_71 Depth=1
                                        ; =>  This Inner Loop Header: Depth=2
	v_lshl_add_u32 v32, v31, 2, v52
	ds_read_b32 v33, v32
                                        ; implicit-def: $sgpr12_sgpr13
	s_waitcnt lgkmcnt(0)
	v_cmp_ne_u32_e32 vcc, v33, v13
	s_and_saveexec_b64 s[10:11], vcc
	s_xor_b64 s[10:11], exec, s[10:11]
	s_cbranch_execz .LBB66_81
; %bb.74:                               ;   in Loop: Header=BB66_73 Depth=2
	v_cmp_ne_u32_e32 vcc, s2, v33
                                        ; implicit-def: $sgpr12_sgpr13
	s_and_saveexec_b64 s[20:21], vcc
	s_xor_b64 s[20:21], exec, s[20:21]
; %bb.75:                               ;   in Loop: Header=BB66_73 Depth=2
	v_add_u32_e32 v31, 1, v31
	v_and_b32_e32 v31, 15, v31
	s_mov_b64 s[12:13], -1
                                        ; implicit-def: $vgpr32
; %bb.76:                               ;   in Loop: Header=BB66_73 Depth=2
	s_andn2_saveexec_b64 s[20:21], s[20:21]
	s_cbranch_execz .LBB66_80
; %bb.77:                               ;   in Loop: Header=BB66_73 Depth=2
	v_mov_b32_e32 v33, s2
	ds_cmpst_rtn_b32 v32, v32, v33, v13
	s_mov_b64 s[22:23], -1
	s_waitcnt lgkmcnt(0)
	v_cmp_eq_u32_e32 vcc, s2, v32
	s_and_saveexec_b64 s[24:25], vcc
	s_cbranch_execz .LBB66_79
; %bb.78:                               ;   in Loop: Header=BB66_73 Depth=2
	v_lshl_add_u32 v32, v31, 6, v51
	ds_add_f64 v32, v[14:15]
	ds_add_f64 v32, v[22:23] offset:8
	s_xor_b64 s[22:23], exec, -1
.LBB66_79:                              ;   in Loop: Header=BB66_73 Depth=2
	s_or_b64 exec, exec, s[24:25]
	s_andn2_b64 s[12:13], s[12:13], exec
	s_and_b64 s[22:23], s[22:23], exec
	s_or_b64 s[12:13], s[12:13], s[22:23]
.LBB66_80:                              ;   in Loop: Header=BB66_73 Depth=2
	s_or_b64 exec, exec, s[20:21]
	s_and_b64 s[12:13], s[12:13], exec
.LBB66_81:                              ;   in Loop: Header=BB66_73 Depth=2
	s_andn2_saveexec_b64 s[10:11], s[10:11]
	s_cbranch_execz .LBB66_72
; %bb.82:                               ;   in Loop: Header=BB66_73 Depth=2
	v_lshl_add_u32 v32, v31, 6, v51
	ds_add_f64 v32, v[14:15]
	ds_add_f64 v32, v[22:23] offset:8
	s_andn2_b64 s[12:13], s[12:13], exec
	s_branch .LBB66_72
.LBB66_83:                              ;   in Loop: Header=BB66_71 Depth=1
	s_or_b64 exec, exec, s[8:9]
	s_waitcnt vmcnt(1)
	v_mul_f64 v[14:15], v[10:11], -v[16:17]
	v_mul_f64 v[10:11], v[18:19], v[10:11]
	v_fmac_f64_e32 v[14:15], v[18:19], v[8:9]
	v_fmac_f64_e32 v[10:11], v[16:17], v[8:9]
	s_mov_b64 s[8:9], 0
	v_mov_b32_e32 v8, v30
	s_branch .LBB66_85
.LBB66_84:                              ;   in Loop: Header=BB66_85 Depth=2
	s_or_b64 exec, exec, s[10:11]
	s_xor_b64 s[10:11], s[12:13], -1
	s_and_b64 s[10:11], exec, s[10:11]
	s_or_b64 s[8:9], s[10:11], s[8:9]
	s_andn2_b64 exec, exec, s[8:9]
	s_cbranch_execz .LBB66_95
.LBB66_85:                              ;   Parent Loop BB66_71 Depth=1
                                        ; =>  This Inner Loop Header: Depth=2
	v_lshl_add_u32 v9, v8, 2, v52
	ds_read_b32 v22, v9
                                        ; implicit-def: $sgpr12_sgpr13
	s_waitcnt lgkmcnt(0)
	v_cmp_ne_u32_e32 vcc, v22, v13
	s_and_saveexec_b64 s[10:11], vcc
	s_xor_b64 s[10:11], exec, s[10:11]
	s_cbranch_execz .LBB66_93
; %bb.86:                               ;   in Loop: Header=BB66_85 Depth=2
	v_cmp_ne_u32_e32 vcc, s2, v22
                                        ; implicit-def: $sgpr12_sgpr13
	s_and_saveexec_b64 s[20:21], vcc
	s_xor_b64 s[20:21], exec, s[20:21]
; %bb.87:                               ;   in Loop: Header=BB66_85 Depth=2
	v_add_u32_e32 v8, 1, v8
	v_and_b32_e32 v8, 15, v8
	s_mov_b64 s[12:13], -1
                                        ; implicit-def: $vgpr9
; %bb.88:                               ;   in Loop: Header=BB66_85 Depth=2
	s_andn2_saveexec_b64 s[20:21], s[20:21]
	s_cbranch_execz .LBB66_92
; %bb.89:                               ;   in Loop: Header=BB66_85 Depth=2
	v_mov_b32_e32 v22, s2
	ds_cmpst_rtn_b32 v9, v9, v22, v13
	s_mov_b64 s[22:23], -1
	s_waitcnt lgkmcnt(0)
	v_cmp_eq_u32_e32 vcc, s2, v9
	s_and_saveexec_b64 s[24:25], vcc
	s_cbranch_execz .LBB66_91
; %bb.90:                               ;   in Loop: Header=BB66_85 Depth=2
	v_lshl_add_u32 v9, v8, 6, v25
	ds_add_f64 v9, v[14:15]
	ds_add_f64 v9, v[10:11] offset:8
	s_xor_b64 s[22:23], exec, -1
.LBB66_91:                              ;   in Loop: Header=BB66_85 Depth=2
	s_or_b64 exec, exec, s[24:25]
	s_andn2_b64 s[12:13], s[12:13], exec
	s_and_b64 s[22:23], s[22:23], exec
	s_or_b64 s[12:13], s[12:13], s[22:23]
.LBB66_92:                              ;   in Loop: Header=BB66_85 Depth=2
	s_or_b64 exec, exec, s[20:21]
	s_and_b64 s[12:13], s[12:13], exec
.LBB66_93:                              ;   in Loop: Header=BB66_85 Depth=2
	s_andn2_saveexec_b64 s[10:11], s[10:11]
	s_cbranch_execz .LBB66_84
; %bb.94:                               ;   in Loop: Header=BB66_85 Depth=2
	v_lshl_add_u32 v9, v8, 6, v25
	ds_add_f64 v9, v[14:15]
	ds_add_f64 v9, v[10:11] offset:8
	s_andn2_b64 s[12:13], s[12:13], exec
	s_branch .LBB66_84
.LBB66_95:                              ;   in Loop: Header=BB66_71 Depth=1
	s_or_b64 exec, exec, s[8:9]
	s_waitcnt vmcnt(0)
	v_mul_f64 v[8:9], v[6:7], -v[16:17]
	v_mul_f64 v[6:7], v[18:19], v[6:7]
	v_fmac_f64_e32 v[8:9], v[18:19], v[4:5]
	v_fmac_f64_e32 v[6:7], v[16:17], v[4:5]
	s_mov_b64 s[8:9], 0
	v_mov_b32_e32 v4, v30
	s_branch .LBB66_97
.LBB66_96:                              ;   in Loop: Header=BB66_97 Depth=2
	s_or_b64 exec, exec, s[10:11]
	s_xor_b64 s[10:11], s[12:13], -1
	s_and_b64 s[10:11], exec, s[10:11]
	s_or_b64 s[8:9], s[10:11], s[8:9]
	s_andn2_b64 exec, exec, s[8:9]
	s_cbranch_execz .LBB66_107
.LBB66_97:                              ;   Parent Loop BB66_71 Depth=1
                                        ; =>  This Inner Loop Header: Depth=2
	v_lshl_add_u32 v5, v4, 2, v52
	ds_read_b32 v10, v5
                                        ; implicit-def: $sgpr12_sgpr13
	s_waitcnt lgkmcnt(0)
	v_cmp_ne_u32_e32 vcc, v10, v13
	s_and_saveexec_b64 s[10:11], vcc
	s_xor_b64 s[10:11], exec, s[10:11]
	s_cbranch_execz .LBB66_105
; %bb.98:                               ;   in Loop: Header=BB66_97 Depth=2
	v_cmp_ne_u32_e32 vcc, s2, v10
                                        ; implicit-def: $sgpr12_sgpr13
	s_and_saveexec_b64 s[20:21], vcc
	s_xor_b64 s[20:21], exec, s[20:21]
; %bb.99:                               ;   in Loop: Header=BB66_97 Depth=2
	v_add_u32_e32 v4, 1, v4
	v_and_b32_e32 v4, 15, v4
	s_mov_b64 s[12:13], -1
                                        ; implicit-def: $vgpr5
; %bb.100:                              ;   in Loop: Header=BB66_97 Depth=2
	s_andn2_saveexec_b64 s[20:21], s[20:21]
	s_cbranch_execz .LBB66_104
; %bb.101:                              ;   in Loop: Header=BB66_97 Depth=2
	v_mov_b32_e32 v10, s2
	ds_cmpst_rtn_b32 v5, v5, v10, v13
	s_mov_b64 s[22:23], -1
	s_waitcnt lgkmcnt(0)
	v_cmp_eq_u32_e32 vcc, s2, v5
	s_and_saveexec_b64 s[24:25], vcc
	s_cbranch_execz .LBB66_103
; %bb.102:                              ;   in Loop: Header=BB66_97 Depth=2
	v_lshl_add_u32 v5, v4, 6, v26
	ds_add_f64 v5, v[8:9]
	ds_add_f64 v5, v[6:7] offset:8
	s_xor_b64 s[22:23], exec, -1
.LBB66_103:                             ;   in Loop: Header=BB66_97 Depth=2
	s_or_b64 exec, exec, s[24:25]
	s_andn2_b64 s[12:13], s[12:13], exec
	s_and_b64 s[22:23], s[22:23], exec
	s_or_b64 s[12:13], s[12:13], s[22:23]
.LBB66_104:                             ;   in Loop: Header=BB66_97 Depth=2
	s_or_b64 exec, exec, s[20:21]
	s_and_b64 s[12:13], s[12:13], exec
.LBB66_105:                             ;   in Loop: Header=BB66_97 Depth=2
	s_andn2_saveexec_b64 s[10:11], s[10:11]
	s_cbranch_execz .LBB66_96
; %bb.106:                              ;   in Loop: Header=BB66_97 Depth=2
	v_lshl_add_u32 v5, v4, 6, v26
	ds_add_f64 v5, v[8:9]
	ds_add_f64 v5, v[6:7] offset:8
	s_andn2_b64 s[12:13], s[12:13], exec
	s_branch .LBB66_96
.LBB66_107:                             ;   in Loop: Header=BB66_71 Depth=1
	s_or_b64 exec, exec, s[8:9]
	v_mul_f64 v[4:5], v[2:3], -v[16:17]
	v_mul_f64 v[2:3], v[18:19], v[2:3]
	v_fmac_f64_e32 v[4:5], v[18:19], v[0:1]
	v_fmac_f64_e32 v[2:3], v[16:17], v[0:1]
	s_mov_b64 s[8:9], 0
	s_branch .LBB66_109
.LBB66_108:                             ;   in Loop: Header=BB66_109 Depth=2
	s_or_b64 exec, exec, s[10:11]
	s_xor_b64 s[10:11], s[12:13], -1
	s_and_b64 s[10:11], exec, s[10:11]
	s_or_b64 s[8:9], s[10:11], s[8:9]
	s_andn2_b64 exec, exec, s[8:9]
	s_cbranch_execz .LBB66_70
.LBB66_109:                             ;   Parent Loop BB66_71 Depth=1
                                        ; =>  This Inner Loop Header: Depth=2
	v_lshl_add_u32 v0, v30, 2, v52
	ds_read_b32 v1, v0
                                        ; implicit-def: $sgpr12_sgpr13
	s_waitcnt lgkmcnt(0)
	v_cmp_ne_u32_e32 vcc, v1, v13
	s_and_saveexec_b64 s[10:11], vcc
	s_xor_b64 s[10:11], exec, s[10:11]
	s_cbranch_execz .LBB66_117
; %bb.110:                              ;   in Loop: Header=BB66_109 Depth=2
	v_cmp_ne_u32_e32 vcc, s2, v1
                                        ; implicit-def: $sgpr12_sgpr13
	s_and_saveexec_b64 s[20:21], vcc
	s_xor_b64 s[20:21], exec, s[20:21]
; %bb.111:                              ;   in Loop: Header=BB66_109 Depth=2
	v_add_u32_e32 v0, 1, v30
	v_and_b32_e32 v30, 15, v0
	s_mov_b64 s[12:13], -1
                                        ; implicit-def: $vgpr0
; %bb.112:                              ;   in Loop: Header=BB66_109 Depth=2
	s_andn2_saveexec_b64 s[20:21], s[20:21]
	s_cbranch_execz .LBB66_116
; %bb.113:                              ;   in Loop: Header=BB66_109 Depth=2
	v_mov_b32_e32 v1, s2
	ds_cmpst_rtn_b32 v0, v0, v1, v13
	s_mov_b64 s[22:23], -1
	s_waitcnt lgkmcnt(0)
	v_cmp_eq_u32_e32 vcc, s2, v0
	s_and_saveexec_b64 s[24:25], vcc
	s_cbranch_execz .LBB66_115
; %bb.114:                              ;   in Loop: Header=BB66_109 Depth=2
	v_lshl_add_u32 v0, v30, 6, v27
	ds_add_f64 v0, v[4:5]
	ds_add_f64 v0, v[2:3] offset:8
	s_xor_b64 s[22:23], exec, -1
.LBB66_115:                             ;   in Loop: Header=BB66_109 Depth=2
	s_or_b64 exec, exec, s[24:25]
	s_andn2_b64 s[12:13], s[12:13], exec
	s_and_b64 s[22:23], s[22:23], exec
	s_or_b64 s[12:13], s[12:13], s[22:23]
.LBB66_116:                             ;   in Loop: Header=BB66_109 Depth=2
	s_or_b64 exec, exec, s[20:21]
	s_and_b64 s[12:13], s[12:13], exec
.LBB66_117:                             ;   in Loop: Header=BB66_109 Depth=2
	s_andn2_saveexec_b64 s[10:11], s[10:11]
	s_cbranch_execz .LBB66_108
; %bb.118:                              ;   in Loop: Header=BB66_109 Depth=2
	v_lshl_add_u32 v0, v30, 6, v27
	ds_add_f64 v0, v[4:5]
	ds_add_f64 v0, v[2:3] offset:8
	s_andn2_b64 s[12:13], s[12:13], exec
	s_branch .LBB66_108
.LBB66_119:
	s_or_b64 exec, exec, s[4:5]
.LBB66_120:
	s_waitcnt lgkmcnt(0)
	ds_read_b32 v0, v53
	s_waitcnt lgkmcnt(0)
	v_cmp_gt_i32_e32 vcc, s2, v0
	s_and_b64 exec, exec, vcc
	s_cbranch_execz .LBB66_122
; %bb.121:
	v_mov_b32_e32 v1, s19
	v_add_co_u32_e32 v2, vcc, s18, v20
	v_addc_co_u32_e32 v3, vcc, v1, v21, vcc
	global_load_dword v1, v[2:3], off
	ds_read_b128 v[2:5], v52
	ds_read_b128 v[6:9], v52 offset:16
	ds_read_b128 v[10:13], v52 offset:32
	;; [unrolled: 1-line block ×3, first 2 shown]
	s_cmp_eq_u32 s0, 0
	s_waitcnt lgkmcnt(3)
	v_cmp_gt_i32_e32 vcc, v0, v2
	v_cndmask_b32_e64 v2, 0, 1, vcc
	v_cmp_gt_i32_e32 vcc, v0, v4
	v_cndmask_b32_e64 v4, 0, 1, vcc
	s_waitcnt lgkmcnt(2)
	v_cmp_gt_i32_e32 vcc, v0, v6
	v_cndmask_b32_e64 v6, 0, 1, vcc
	v_cmp_gt_i32_e32 vcc, v0, v8
	v_cndmask_b32_e64 v8, 0, 1, vcc
	;; [unrolled: 5-line block ×4, first 2 shown]
	v_cmp_gt_i32_e32 vcc, v0, v3
	v_lshlrev_b32_e32 v26, 2, v50
	s_cselect_b32 s0, 1, 2
	s_cselect_b32 s1, 2, 1
	v_add_u32_e32 v34, s30, v0
	v_or_b32_e32 v27, s0, v26
	v_or_b32_e32 v26, s1, v26
	v_lshl_add_u32 v22, v50, 6, v51
	v_lshl_add_u32 v27, v27, 4, v51
	;; [unrolled: 1-line block ×3, first 2 shown]
	ds_read2_b64 v[18:21], v22 offset1:1
	ds_read2_b64 v[22:25], v22 offset0:6 offset1:7
	ds_read2_b64 v[26:29], v27 offset1:1
	ds_read2_b64 v[30:33], v30 offset1:1
	v_mov_b32_e32 v35, s37
	v_mov_b32_e32 v36, s39
	s_waitcnt vmcnt(0)
	v_subrev_u32_e32 v1, s30, v1
	v_addc_co_u32_e32 v1, vcc, v1, v2, vcc
	v_cmp_gt_i32_e32 vcc, v0, v5
	v_addc_co_u32_e32 v1, vcc, v1, v4, vcc
	v_cmp_gt_i32_e32 vcc, v0, v7
	;; [unrolled: 2-line block ×7, first 2 shown]
	v_addc_co_u32_e32 v0, vcc, v1, v16, vcc
	v_ashrrev_i32_e32 v1, 31, v0
	v_lshlrev_b32_e32 v2, 2, v0
	v_lshlrev_b64 v[0:1], 2, v[0:1]
	v_ashrrev_i32_e32 v3, 31, v2
	v_add_co_u32_e32 v0, vcc, s36, v0
	v_addc_co_u32_e32 v1, vcc, v35, v1, vcc
	v_lshlrev_b64 v[2:3], 4, v[2:3]
	global_store_dword v[0:1], v34, off
	v_add_co_u32_e32 v0, vcc, s38, v2
	v_addc_co_u32_e32 v1, vcc, v36, v3, vcc
	s_waitcnt lgkmcnt(3)
	global_store_dwordx4 v[0:1], v[18:21], off
	s_waitcnt lgkmcnt(1)
	global_store_dwordx4 v[0:1], v[26:29], off offset:16
	s_waitcnt lgkmcnt(0)
	global_store_dwordx4 v[0:1], v[30:33], off offset:32
	global_store_dwordx4 v[0:1], v[22:25], off offset:48
.LBB66_122:
	s_endpgm
	.section	.rodata,"a",@progbits
	.p2align	6, 0x0
	.amdhsa_kernel _ZN9rocsparseL27bsrgemm_fill_wf_per_row_2x2ILj256ELj16ELj16ELj137Eii21rocsparse_complex_numIdEEEv20rocsparse_direction_T4_S4_PKS4_S6_NS_24const_host_device_scalarIT5_EEPKT3_S6_PKS8_SC_S6_SE_S9_SC_S6_SE_SC_PS4_PS8_21rocsparse_index_base_SH_SH_SH_bbb
		.amdhsa_group_segment_fixed_size 21504
		.amdhsa_private_segment_fixed_size 0
		.amdhsa_kernarg_size 180
		.amdhsa_user_sgpr_count 8
		.amdhsa_user_sgpr_private_segment_buffer 1
		.amdhsa_user_sgpr_dispatch_ptr 1
		.amdhsa_user_sgpr_queue_ptr 0
		.amdhsa_user_sgpr_kernarg_segment_ptr 1
		.amdhsa_user_sgpr_dispatch_id 0
		.amdhsa_user_sgpr_flat_scratch_init 0
		.amdhsa_user_sgpr_kernarg_preload_length 0
		.amdhsa_user_sgpr_kernarg_preload_offset 0
		.amdhsa_user_sgpr_private_segment_size 0
		.amdhsa_uses_dynamic_stack 0
		.amdhsa_system_sgpr_private_segment_wavefront_offset 0
		.amdhsa_system_sgpr_workgroup_id_x 1
		.amdhsa_system_sgpr_workgroup_id_y 0
		.amdhsa_system_sgpr_workgroup_id_z 0
		.amdhsa_system_sgpr_workgroup_info 0
		.amdhsa_system_vgpr_workitem_id 2
		.amdhsa_next_free_vgpr 64
		.amdhsa_next_free_sgpr 56
		.amdhsa_accum_offset 64
		.amdhsa_reserve_vcc 1
		.amdhsa_reserve_flat_scratch 0
		.amdhsa_float_round_mode_32 0
		.amdhsa_float_round_mode_16_64 0
		.amdhsa_float_denorm_mode_32 3
		.amdhsa_float_denorm_mode_16_64 3
		.amdhsa_dx10_clamp 1
		.amdhsa_ieee_mode 1
		.amdhsa_fp16_overflow 0
		.amdhsa_tg_split 0
		.amdhsa_exception_fp_ieee_invalid_op 0
		.amdhsa_exception_fp_denorm_src 0
		.amdhsa_exception_fp_ieee_div_zero 0
		.amdhsa_exception_fp_ieee_overflow 0
		.amdhsa_exception_fp_ieee_underflow 0
		.amdhsa_exception_fp_ieee_inexact 0
		.amdhsa_exception_int_div_zero 0
	.end_amdhsa_kernel
	.section	.text._ZN9rocsparseL27bsrgemm_fill_wf_per_row_2x2ILj256ELj16ELj16ELj137Eii21rocsparse_complex_numIdEEEv20rocsparse_direction_T4_S4_PKS4_S6_NS_24const_host_device_scalarIT5_EEPKT3_S6_PKS8_SC_S6_SE_S9_SC_S6_SE_SC_PS4_PS8_21rocsparse_index_base_SH_SH_SH_bbb,"axG",@progbits,_ZN9rocsparseL27bsrgemm_fill_wf_per_row_2x2ILj256ELj16ELj16ELj137Eii21rocsparse_complex_numIdEEEv20rocsparse_direction_T4_S4_PKS4_S6_NS_24const_host_device_scalarIT5_EEPKT3_S6_PKS8_SC_S6_SE_S9_SC_S6_SE_SC_PS4_PS8_21rocsparse_index_base_SH_SH_SH_bbb,comdat
.Lfunc_end66:
	.size	_ZN9rocsparseL27bsrgemm_fill_wf_per_row_2x2ILj256ELj16ELj16ELj137Eii21rocsparse_complex_numIdEEEv20rocsparse_direction_T4_S4_PKS4_S6_NS_24const_host_device_scalarIT5_EEPKT3_S6_PKS8_SC_S6_SE_S9_SC_S6_SE_SC_PS4_PS8_21rocsparse_index_base_SH_SH_SH_bbb, .Lfunc_end66-_ZN9rocsparseL27bsrgemm_fill_wf_per_row_2x2ILj256ELj16ELj16ELj137Eii21rocsparse_complex_numIdEEEv20rocsparse_direction_T4_S4_PKS4_S6_NS_24const_host_device_scalarIT5_EEPKT3_S6_PKS8_SC_S6_SE_S9_SC_S6_SE_SC_PS4_PS8_21rocsparse_index_base_SH_SH_SH_bbb
                                        ; -- End function
	.section	.AMDGPU.csdata,"",@progbits
; Kernel info:
; codeLenInByte = 4156
; NumSgprs: 60
; NumVgprs: 64
; NumAgprs: 0
; TotalNumVgprs: 64
; ScratchSize: 0
; MemoryBound: 0
; FloatMode: 240
; IeeeMode: 1
; LDSByteSize: 21504 bytes/workgroup (compile time only)
; SGPRBlocks: 7
; VGPRBlocks: 7
; NumSGPRsForWavesPerEU: 60
; NumVGPRsForWavesPerEU: 64
; AccumOffset: 64
; Occupancy: 3
; WaveLimiterHint : 1
; COMPUTE_PGM_RSRC2:SCRATCH_EN: 0
; COMPUTE_PGM_RSRC2:USER_SGPR: 8
; COMPUTE_PGM_RSRC2:TRAP_HANDLER: 0
; COMPUTE_PGM_RSRC2:TGID_X_EN: 1
; COMPUTE_PGM_RSRC2:TGID_Y_EN: 0
; COMPUTE_PGM_RSRC2:TGID_Z_EN: 0
; COMPUTE_PGM_RSRC2:TIDIG_COMP_CNT: 2
; COMPUTE_PGM_RSRC3_GFX90A:ACCUM_OFFSET: 15
; COMPUTE_PGM_RSRC3_GFX90A:TG_SPLIT: 0
	.section	.text._ZN9rocsparseL27bsrgemm_fill_wf_per_row_2x2ILj256ELj16ELj32ELj137Eii21rocsparse_complex_numIdEEEv20rocsparse_direction_T4_S4_PKS4_S6_NS_24const_host_device_scalarIT5_EEPKT3_S6_PKS8_SC_S6_SE_S9_SC_S6_SE_SC_PS4_PS8_21rocsparse_index_base_SH_SH_SH_bbb,"axG",@progbits,_ZN9rocsparseL27bsrgemm_fill_wf_per_row_2x2ILj256ELj16ELj32ELj137Eii21rocsparse_complex_numIdEEEv20rocsparse_direction_T4_S4_PKS4_S6_NS_24const_host_device_scalarIT5_EEPKT3_S6_PKS8_SC_S6_SE_S9_SC_S6_SE_SC_PS4_PS8_21rocsparse_index_base_SH_SH_SH_bbb,comdat
	.globl	_ZN9rocsparseL27bsrgemm_fill_wf_per_row_2x2ILj256ELj16ELj32ELj137Eii21rocsparse_complex_numIdEEEv20rocsparse_direction_T4_S4_PKS4_S6_NS_24const_host_device_scalarIT5_EEPKT3_S6_PKS8_SC_S6_SE_S9_SC_S6_SE_SC_PS4_PS8_21rocsparse_index_base_SH_SH_SH_bbb ; -- Begin function _ZN9rocsparseL27bsrgemm_fill_wf_per_row_2x2ILj256ELj16ELj32ELj137Eii21rocsparse_complex_numIdEEEv20rocsparse_direction_T4_S4_PKS4_S6_NS_24const_host_device_scalarIT5_EEPKT3_S6_PKS8_SC_S6_SE_S9_SC_S6_SE_SC_PS4_PS8_21rocsparse_index_base_SH_SH_SH_bbb
	.p2align	8
	.type	_ZN9rocsparseL27bsrgemm_fill_wf_per_row_2x2ILj256ELj16ELj32ELj137Eii21rocsparse_complex_numIdEEEv20rocsparse_direction_T4_S4_PKS4_S6_NS_24const_host_device_scalarIT5_EEPKT3_S6_PKS8_SC_S6_SE_S9_SC_S6_SE_SC_PS4_PS8_21rocsparse_index_base_SH_SH_SH_bbb,@function
_ZN9rocsparseL27bsrgemm_fill_wf_per_row_2x2ILj256ELj16ELj32ELj137Eii21rocsparse_complex_numIdEEEv20rocsparse_direction_T4_S4_PKS4_S6_NS_24const_host_device_scalarIT5_EEPKT3_S6_PKS8_SC_S6_SE_S9_SC_S6_SE_SC_PS4_PS8_21rocsparse_index_base_SH_SH_SH_bbb: ; @_ZN9rocsparseL27bsrgemm_fill_wf_per_row_2x2ILj256ELj16ELj32ELj137Eii21rocsparse_complex_numIdEEEv20rocsparse_direction_T4_S4_PKS4_S6_NS_24const_host_device_scalarIT5_EEPKT3_S6_PKS8_SC_S6_SE_S9_SC_S6_SE_SC_PS4_PS8_21rocsparse_index_base_SH_SH_SH_bbb
; %bb.0:
	s_load_dword s9, s[6:7], 0xb0
	s_load_dwordx4 s[28:31], s[6:7], 0xa0
	s_load_dwordx2 s[2:3], s[4:5], 0x4
	s_load_dwordx4 s[12:15], s[6:7], 0x20
	s_load_dwordx4 s[48:51], s[6:7], 0x60
	v_and_b32_e32 v1, 0x3ff, v0
	s_waitcnt lgkmcnt(0)
	s_bitcmp1_b32 s9, 0
	s_cselect_b64 s[10:11], -1, 0
	s_bitcmp1_b32 s9, 16
	s_cselect_b64 s[0:1], -1, 0
	s_lshr_b32 s2, s2, 16
	s_mul_i32 s2, s2, s3
	v_mul_lo_u32 v2, s2, v1
	v_bfe_u32 v3, v0, 10, 10
	v_mad_u32_u24 v2, v3, s3, v2
	v_bfe_u32 v0, v0, 20, 10
	v_add_lshl_u32 v0, v2, v0, 3
	v_pk_mov_b32 v[2:3], s[12:13], s[12:13] op_sel:[0,1]
	v_pk_mov_b32 v[4:5], s[48:49], s[48:49] op_sel:[0,1]
	s_xor_b64 s[2:3], s[0:1], -1
	ds_write2st64_b64 v0, v[4:5], v[2:3] offset0:68 offset1:72
	v_pk_mov_b32 v[16:17], 0, 0
	v_cndmask_b32_e64 v2, 0, 1, s[2:3]
	s_bitcmp0_b32 s9, 0
	v_cmp_ne_u32_e64 s[2:3], 1, v2
	v_pk_mov_b32 v[22:23], v[16:17], v[16:17] op_sel:[0,1]
	v_pk_mov_b32 v[24:25], v[16:17], v[16:17] op_sel:[0,1]
	s_cbranch_scc1 .LBB67_3
; %bb.1:
	s_mov_b64 s[4:5], src_shared_base
	s_and_b64 s[16:17], s[0:1], exec
	v_add_u32_e32 v2, 0x9000, v0
	s_cselect_b32 s4, s5, s13
	v_mov_b32_e32 v3, s12
	v_cndmask_b32_e64 v2, v3, v2, s[0:1]
	v_mov_b32_e32 v3, s4
	flat_load_dwordx2 v[22:23], v[2:3]
	s_and_b64 vcc, exec, s[2:3]
	v_pk_mov_b32 v[24:25], s[14:15], s[14:15] op_sel:[0,1]
	s_cbranch_vccnz .LBB67_3
; %bb.2:
	v_pk_mov_b32 v[2:3], s[12:13], s[12:13] op_sel:[0,1]
	flat_load_dwordx2 v[24:25], v[2:3] offset:8
.LBB67_3:
	s_load_dwordx4 s[36:39], s[6:7], 0x90
	s_load_dwordx8 s[12:19], s[6:7], 0x70
	s_load_dwordx4 s[40:43], s[6:7], 0x50
	s_load_dwordx4 s[44:47], s[6:7], 0x10
	s_load_dwordx8 s[20:27], s[6:7], 0x30
	s_bitcmp1_b32 s9, 8
	s_cselect_b64 s[4:5], -1, 0
	s_bfe_u32 s9, s9, 0x10008
	s_mov_b64 s[34:35], 0
	s_cmp_eq_u32 s9, 0
	v_pk_mov_b32 v[18:19], v[16:17], v[16:17] op_sel:[0,1]
	s_cbranch_scc1 .LBB67_6
; %bb.4:
	s_mov_b64 s[52:53], src_shared_base
	s_and_b64 s[54:55], s[0:1], exec
	v_add_u32_e32 v0, 0x8800, v0
	s_cselect_b32 s9, s53, s49
	v_mov_b32_e32 v2, s48
	v_cndmask_b32_e64 v2, v2, v0, s[0:1]
	v_mov_b32_e32 v3, s9
	flat_load_dwordx2 v[18:19], v[2:3]
	s_and_b64 vcc, exec, s[2:3]
	v_pk_mov_b32 v[16:17], s[50:51], s[50:51] op_sel:[0,1]
	s_cbranch_vccnz .LBB67_6
; %bb.5:
	v_pk_mov_b32 v[2:3], s[48:49], s[48:49] op_sel:[0,1]
	flat_load_dwordx2 v[16:17], v[2:3] offset:8
.LBB67_6:
	s_load_dwordx4 s[0:3], s[6:7], 0x0
	v_lshrrev_b32_e32 v54, 4, v1
	v_mov_b32_e32 v0, 0x8000
	v_and_b32_e32 v52, 15, v1
	v_lshl_or_b32 v50, v54, 7, v0
	v_lshl_or_b32 v0, v52, 2, v50
	s_waitcnt lgkmcnt(0)
	v_mov_b32_e32 v1, s2
	ds_write2_b32 v0, v1, v1 offset1:16
	v_or_b32_e32 v51, -16, v52
	v_lshlrev_b32_e32 v53, 11, v54
	v_mov_b32_e32 v0, 0
	v_lshl_or_b32 v4, v52, 4, v53
	v_mov_b32_e32 v1, v0
	v_mov_b32_e32 v2, v0
	v_mov_b32_e32 v3, v0
	s_movk_i32 s3, 0x6f
	v_mov_b32_e32 v5, v51
.LBB67_7:                               ; =>This Inner Loop Header: Depth=1
	v_add_u32_e32 v5, 16, v5
	v_cmp_lt_u32_e32 vcc, s3, v5
	ds_write_b128 v4, v[0:3]
	s_or_b64 s[34:35], vcc, s[34:35]
	v_add_u32_e32 v4, 0x100, v4
	s_andn2_b64 exec, exec, s[34:35]
	s_cbranch_execnz .LBB67_7
; %bb.8:
	s_or_b64 exec, exec, s[34:35]
	v_lshl_or_b32 v0, s8, 4, v54
	v_cmp_gt_i32_e32 vcc, s1, v0
	s_waitcnt lgkmcnt(0)
	s_barrier
	s_and_saveexec_b64 s[6:7], vcc
	s_cbranch_execz .LBB67_124
; %bb.9:
	s_cmp_eq_u64 s[46:47], 0
	s_cbranch_scc1 .LBB67_11
; %bb.10:
	s_load_dword s1, s[44:45], 0x0
	v_mov_b32_e32 v2, s47
	s_waitcnt lgkmcnt(0)
	v_add_u32_e32 v0, s1, v0
	v_ashrrev_i32_e32 v1, 31, v0
	v_lshlrev_b64 v[0:1], 2, v[0:1]
	v_add_co_u32_e32 v0, vcc, s46, v0
	v_addc_co_u32_e32 v1, vcc, v2, v1, vcc
	global_load_dword v0, v[0:1], off
.LBB67_11:
	s_waitcnt vmcnt(0)
	v_ashrrev_i32_e32 v1, 31, v0
	s_andn2_b64 vcc, exec, s[10:11]
	v_lshlrev_b64 v[20:21], 2, v[0:1]
	s_cbranch_vccnz .LBB67_67
; %bb.12:
	v_mov_b32_e32 v1, s21
	v_add_co_u32_e32 v0, vcc, s20, v20
	v_addc_co_u32_e32 v1, vcc, v1, v21, vcc
	global_load_dwordx2 v[0:1], v[0:1], off
	v_subrev_u32_e32 v2, s28, v52
	s_waitcnt vmcnt(0)
	v_subrev_u32_e32 v55, s28, v1
	v_add_u32_e32 v26, v0, v2
	v_cmp_lt_i32_e32 vcc, v26, v55
	s_and_saveexec_b64 s[6:7], vcc
	s_cbranch_execz .LBB67_66
; %bb.13:
	s_cmp_eq_u32 s0, 0
	s_cselect_b32 s1, 1, 2
	s_cselect_b32 s3, 2, 1
	v_add_u32_e32 v56, 16, v53
	v_add_u32_e32 v57, 32, v53
	;; [unrolled: 1-line block ×3, first 2 shown]
	s_mov_b64 s[8:9], 0
	v_mov_b32_e32 v59, s23
	v_mov_b32_e32 v60, s27
	s_branch .LBB67_15
.LBB67_14:                              ;   in Loop: Header=BB67_15 Depth=1
	s_or_b64 exec, exec, s[10:11]
	v_add_u32_e32 v26, 16, v26
	v_cmp_ge_i32_e32 vcc, v26, v55
	s_or_b64 s[8:9], vcc, s[8:9]
	s_andn2_b64 exec, exec, s[8:9]
	s_cbranch_execz .LBB67_66
.LBB67_15:                              ; =>This Loop Header: Depth=1
                                        ;     Child Loop BB67_18 Depth 2
                                        ;       Child Loop BB67_20 Depth 3
                                        ;       Child Loop BB67_32 Depth 3
	;; [unrolled: 1-line block ×4, first 2 shown]
	v_ashrrev_i32_e32 v27, 31, v26
	v_lshlrev_b64 v[0:1], 2, v[26:27]
	v_add_co_u32_e32 v0, vcc, s22, v0
	v_addc_co_u32_e32 v1, vcc, v59, v1, vcc
	global_load_dword v0, v[0:1], off
	s_waitcnt vmcnt(0)
	v_subrev_u32_e32 v0, s28, v0
	v_ashrrev_i32_e32 v1, 31, v0
	v_lshlrev_b64 v[0:1], 2, v[0:1]
	v_add_co_u32_e32 v0, vcc, s26, v0
	v_addc_co_u32_e32 v1, vcc, v60, v1, vcc
	global_load_dwordx2 v[0:1], v[0:1], off
	s_waitcnt vmcnt(0)
	v_cmp_lt_i32_e32 vcc, v0, v1
	s_and_saveexec_b64 s[10:11], vcc
	s_cbranch_execz .LBB67_14
; %bb.16:                               ;   in Loop: Header=BB67_15 Depth=1
	v_lshlrev_b32_e32 v14, 2, v26
	v_ashrrev_i32_e32 v15, 31, v14
	v_lshlrev_b64 v[2:3], 4, v[14:15]
	v_mov_b32_e32 v27, s25
	v_add_co_u32_e32 v10, vcc, s24, v2
	v_addc_co_u32_e32 v11, vcc, v27, v3, vcc
	global_load_dwordx4 v[2:5], v[10:11], off
	global_load_dwordx4 v[6:9], v[10:11], off offset:48
	v_or_b32_e32 v10, s1, v14
	v_ashrrev_i32_e32 v11, 31, v10
	v_lshlrev_b64 v[10:11], 4, v[10:11]
	v_or_b32_e32 v14, s3, v14
	v_add_co_u32_e32 v10, vcc, s24, v10
	v_ashrrev_i32_e32 v15, 31, v14
	v_addc_co_u32_e32 v11, vcc, v27, v11, vcc
	v_lshlrev_b64 v[14:15], 4, v[14:15]
	v_add_co_u32_e32 v14, vcc, s24, v14
	v_addc_co_u32_e32 v15, vcc, v27, v15, vcc
	global_load_dwordx4 v[10:13], v[10:11], off
	v_subrev_u32_e32 v27, s29, v1
	global_load_dwordx4 v[46:49], v[14:15], off
	v_subrev_u32_e32 v28, s29, v0
	s_mov_b64 s[20:21], 0
	s_waitcnt vmcnt(3)
	v_mul_f64 v[30:31], v[4:5], -v[24:25]
	v_mul_f64 v[32:33], v[22:23], v[4:5]
	s_waitcnt vmcnt(2)
	v_mul_f64 v[34:35], v[8:9], -v[24:25]
	v_mul_f64 v[36:37], v[22:23], v[8:9]
	v_fmac_f64_e32 v[30:31], v[22:23], v[2:3]
	v_fmac_f64_e32 v[32:33], v[24:25], v[2:3]
	;; [unrolled: 1-line block ×4, first 2 shown]
	s_waitcnt vmcnt(1)
	v_mul_f64 v[38:39], v[12:13], -v[24:25]
	v_mul_f64 v[40:41], v[22:23], v[12:13]
	s_waitcnt vmcnt(0)
	v_mul_f64 v[42:43], v[48:49], -v[24:25]
	v_mul_f64 v[44:45], v[22:23], v[48:49]
	v_fmac_f64_e32 v[38:39], v[22:23], v[10:11]
	v_fmac_f64_e32 v[40:41], v[24:25], v[10:11]
	v_fmac_f64_e32 v[42:43], v[22:23], v[46:47]
	v_fmac_f64_e32 v[44:45], v[24:25], v[46:47]
	s_branch .LBB67_18
.LBB67_17:                              ;   in Loop: Header=BB67_18 Depth=2
	s_or_b64 exec, exec, s[34:35]
	v_add_u32_e32 v28, 1, v28
	v_cmp_ge_i32_e32 vcc, v28, v27
	s_or_b64 s[20:21], vcc, s[20:21]
	s_andn2_b64 exec, exec, s[20:21]
	s_cbranch_execz .LBB67_14
.LBB67_18:                              ;   Parent Loop BB67_15 Depth=1
                                        ; =>  This Loop Header: Depth=2
                                        ;       Child Loop BB67_20 Depth 3
                                        ;       Child Loop BB67_32 Depth 3
	;; [unrolled: 1-line block ×4, first 2 shown]
	v_ashrrev_i32_e32 v29, 31, v28
	v_lshlrev_b64 v[0:1], 2, v[28:29]
	v_mov_b32_e32 v2, s41
	v_add_co_u32_e32 v0, vcc, s40, v0
	v_addc_co_u32_e32 v1, vcc, v2, v1, vcc
	global_load_dword v29, v[0:1], off
	v_lshlrev_b32_e32 v0, 2, v28
	v_or_b32_e32 v4, s3, v0
	v_ashrrev_i32_e32 v5, 31, v4
	v_lshlrev_b64 v[4:5], 4, v[4:5]
	v_ashrrev_i32_e32 v1, 31, v0
	v_mov_b32_e32 v6, s43
	v_add_co_u32_e32 v4, vcc, s42, v4
	v_or_b32_e32 v2, s1, v0
	v_lshlrev_b64 v[0:1], 4, v[0:1]
	v_addc_co_u32_e32 v5, vcc, v6, v5, vcc
	global_load_dwordx4 v[12:15], v[4:5], off
	v_add_co_u32_e32 v46, vcc, s42, v0
	v_ashrrev_i32_e32 v3, 31, v2
	v_addc_co_u32_e32 v47, vcc, v6, v1, vcc
	global_load_dwordx4 v[8:11], v[46:47], off
	v_lshlrev_b64 v[0:1], 4, v[2:3]
	v_add_co_u32_e32 v48, vcc, s42, v0
	v_addc_co_u32_e32 v49, vcc, v6, v1, vcc
	global_load_dwordx4 v[0:3], v[48:49], off
	global_load_dwordx4 v[4:7], v[46:47], off offset:48
	s_mov_b64 s[34:35], 0
	s_waitcnt vmcnt(4)
	v_subrev_u32_e32 v29, s29, v29
	v_lshl_add_u32 v61, v29, 3, v29
	v_and_b32_e32 v61, 31, v61
	v_mov_b32_e32 v62, v61
	s_waitcnt vmcnt(3)
	v_mul_f64 v[48:49], v[14:15], -v[40:41]
	v_mul_f64 v[46:47], v[38:39], v[14:15]
	v_fmac_f64_e32 v[48:49], v[38:39], v[12:13]
	v_fmac_f64_e32 v[46:47], v[40:41], v[12:13]
	s_waitcnt vmcnt(2)
	v_fmac_f64_e32 v[48:49], v[30:31], v[8:9]
	v_fmac_f64_e32 v[46:47], v[32:33], v[8:9]
	v_fma_f64 v[48:49], -v[32:33], v[10:11], v[48:49]
	v_fmac_f64_e32 v[46:47], v[30:31], v[10:11]
	s_branch .LBB67_20
.LBB67_19:                              ;   in Loop: Header=BB67_20 Depth=3
	s_or_b64 exec, exec, s[44:45]
	s_xor_b64 s[44:45], s[46:47], -1
	s_and_b64 s[44:45], exec, s[44:45]
	s_or_b64 s[34:35], s[44:45], s[34:35]
	s_andn2_b64 exec, exec, s[34:35]
	s_cbranch_execz .LBB67_30
.LBB67_20:                              ;   Parent Loop BB67_15 Depth=1
                                        ;     Parent Loop BB67_18 Depth=2
                                        ; =>    This Inner Loop Header: Depth=3
	v_lshl_add_u32 v63, v62, 2, v50
	ds_read_b32 v64, v63
                                        ; implicit-def: $sgpr46_sgpr47
	s_waitcnt lgkmcnt(0)
	v_cmp_ne_u32_e32 vcc, v64, v29
	s_and_saveexec_b64 s[44:45], vcc
	s_xor_b64 s[44:45], exec, s[44:45]
	s_cbranch_execz .LBB67_28
; %bb.21:                               ;   in Loop: Header=BB67_20 Depth=3
	v_cmp_ne_u32_e32 vcc, s2, v64
                                        ; implicit-def: $sgpr46_sgpr47
	s_and_saveexec_b64 s[48:49], vcc
	s_xor_b64 s[48:49], exec, s[48:49]
; %bb.22:                               ;   in Loop: Header=BB67_20 Depth=3
	v_add_u32_e32 v62, 1, v62
	v_and_b32_e32 v62, 31, v62
	s_mov_b64 s[46:47], -1
                                        ; implicit-def: $vgpr63
; %bb.23:                               ;   in Loop: Header=BB67_20 Depth=3
	s_andn2_saveexec_b64 s[48:49], s[48:49]
	s_cbranch_execz .LBB67_27
; %bb.24:                               ;   in Loop: Header=BB67_20 Depth=3
	v_mov_b32_e32 v64, s2
	ds_cmpst_rtn_b32 v63, v63, v64, v29
	s_mov_b64 s[50:51], -1
	s_waitcnt lgkmcnt(0)
	v_cmp_eq_u32_e32 vcc, s2, v63
	s_and_saveexec_b64 s[52:53], vcc
	s_cbranch_execz .LBB67_26
; %bb.25:                               ;   in Loop: Header=BB67_20 Depth=3
	v_lshl_add_u32 v63, v62, 6, v53
	ds_add_f64 v63, v[48:49]
	ds_add_f64 v63, v[46:47] offset:8
	s_xor_b64 s[50:51], exec, -1
.LBB67_26:                              ;   in Loop: Header=BB67_20 Depth=3
	s_or_b64 exec, exec, s[52:53]
	s_andn2_b64 s[46:47], s[46:47], exec
	s_and_b64 s[50:51], s[50:51], exec
	s_or_b64 s[46:47], s[46:47], s[50:51]
.LBB67_27:                              ;   in Loop: Header=BB67_20 Depth=3
	s_or_b64 exec, exec, s[48:49]
	s_and_b64 s[46:47], s[46:47], exec
.LBB67_28:                              ;   in Loop: Header=BB67_20 Depth=3
	s_andn2_saveexec_b64 s[44:45], s[44:45]
	s_cbranch_execz .LBB67_19
; %bb.29:                               ;   in Loop: Header=BB67_20 Depth=3
	v_lshl_add_u32 v63, v62, 6, v53
	ds_add_f64 v63, v[48:49]
	ds_add_f64 v63, v[46:47] offset:8
	s_andn2_b64 s[46:47], s[46:47], exec
	s_branch .LBB67_19
.LBB67_30:                              ;   in Loop: Header=BB67_18 Depth=2
	s_or_b64 exec, exec, s[34:35]
	s_waitcnt vmcnt(0)
	v_mul_f64 v[48:49], v[6:7], -v[40:41]
	v_mul_f64 v[46:47], v[38:39], v[6:7]
	v_fmac_f64_e32 v[48:49], v[38:39], v[4:5]
	v_fmac_f64_e32 v[46:47], v[40:41], v[4:5]
	;; [unrolled: 1-line block ×4, first 2 shown]
	v_fma_f64 v[48:49], -v[32:33], v[2:3], v[48:49]
	v_fmac_f64_e32 v[46:47], v[30:31], v[2:3]
	s_mov_b64 s[34:35], 0
	v_mov_b32_e32 v62, v61
	s_branch .LBB67_32
.LBB67_31:                              ;   in Loop: Header=BB67_32 Depth=3
	s_or_b64 exec, exec, s[44:45]
	s_xor_b64 s[44:45], s[46:47], -1
	s_and_b64 s[44:45], exec, s[44:45]
	s_or_b64 s[34:35], s[44:45], s[34:35]
	s_andn2_b64 exec, exec, s[34:35]
	s_cbranch_execz .LBB67_42
.LBB67_32:                              ;   Parent Loop BB67_15 Depth=1
                                        ;     Parent Loop BB67_18 Depth=2
                                        ; =>    This Inner Loop Header: Depth=3
	v_lshl_add_u32 v63, v62, 2, v50
	ds_read_b32 v64, v63
                                        ; implicit-def: $sgpr46_sgpr47
	s_waitcnt lgkmcnt(0)
	v_cmp_ne_u32_e32 vcc, v64, v29
	s_and_saveexec_b64 s[44:45], vcc
	s_xor_b64 s[44:45], exec, s[44:45]
	s_cbranch_execz .LBB67_40
; %bb.33:                               ;   in Loop: Header=BB67_32 Depth=3
	v_cmp_ne_u32_e32 vcc, s2, v64
                                        ; implicit-def: $sgpr46_sgpr47
	s_and_saveexec_b64 s[48:49], vcc
	s_xor_b64 s[48:49], exec, s[48:49]
; %bb.34:                               ;   in Loop: Header=BB67_32 Depth=3
	v_add_u32_e32 v62, 1, v62
	v_and_b32_e32 v62, 31, v62
	s_mov_b64 s[46:47], -1
                                        ; implicit-def: $vgpr63
; %bb.35:                               ;   in Loop: Header=BB67_32 Depth=3
	s_andn2_saveexec_b64 s[48:49], s[48:49]
	s_cbranch_execz .LBB67_39
; %bb.36:                               ;   in Loop: Header=BB67_32 Depth=3
	v_mov_b32_e32 v64, s2
	ds_cmpst_rtn_b32 v63, v63, v64, v29
	s_mov_b64 s[50:51], -1
	s_waitcnt lgkmcnt(0)
	v_cmp_eq_u32_e32 vcc, s2, v63
	s_and_saveexec_b64 s[52:53], vcc
	s_cbranch_execz .LBB67_38
; %bb.37:                               ;   in Loop: Header=BB67_32 Depth=3
	v_lshl_add_u32 v63, v62, 6, v56
	ds_add_f64 v63, v[48:49]
	ds_add_f64 v63, v[46:47] offset:8
	s_xor_b64 s[50:51], exec, -1
.LBB67_38:                              ;   in Loop: Header=BB67_32 Depth=3
	s_or_b64 exec, exec, s[52:53]
	s_andn2_b64 s[46:47], s[46:47], exec
	s_and_b64 s[50:51], s[50:51], exec
	s_or_b64 s[46:47], s[46:47], s[50:51]
.LBB67_39:                              ;   in Loop: Header=BB67_32 Depth=3
	s_or_b64 exec, exec, s[48:49]
	s_and_b64 s[46:47], s[46:47], exec
.LBB67_40:                              ;   in Loop: Header=BB67_32 Depth=3
	s_andn2_saveexec_b64 s[44:45], s[44:45]
	s_cbranch_execz .LBB67_31
; %bb.41:                               ;   in Loop: Header=BB67_32 Depth=3
	v_lshl_add_u32 v63, v62, 6, v56
	ds_add_f64 v63, v[48:49]
	ds_add_f64 v63, v[46:47] offset:8
	s_andn2_b64 s[46:47], s[46:47], exec
	s_branch .LBB67_31
.LBB67_42:                              ;   in Loop: Header=BB67_18 Depth=2
	s_or_b64 exec, exec, s[34:35]
	v_mul_f64 v[46:47], v[14:15], -v[36:37]
	v_mul_f64 v[14:15], v[34:35], v[14:15]
	v_fmac_f64_e32 v[46:47], v[34:35], v[12:13]
	v_fmac_f64_e32 v[14:15], v[36:37], v[12:13]
	;; [unrolled: 1-line block ×4, first 2 shown]
	v_fma_f64 v[12:13], -v[44:45], v[10:11], v[46:47]
	v_fmac_f64_e32 v[14:15], v[42:43], v[10:11]
	s_mov_b64 s[34:35], 0
	v_mov_b32_e32 v8, v61
	s_branch .LBB67_44
.LBB67_43:                              ;   in Loop: Header=BB67_44 Depth=3
	s_or_b64 exec, exec, s[44:45]
	s_xor_b64 s[44:45], s[46:47], -1
	s_and_b64 s[44:45], exec, s[44:45]
	s_or_b64 s[34:35], s[44:45], s[34:35]
	s_andn2_b64 exec, exec, s[34:35]
	s_cbranch_execz .LBB67_54
.LBB67_44:                              ;   Parent Loop BB67_15 Depth=1
                                        ;     Parent Loop BB67_18 Depth=2
                                        ; =>    This Inner Loop Header: Depth=3
	v_lshl_add_u32 v9, v8, 2, v50
	ds_read_b32 v10, v9
                                        ; implicit-def: $sgpr46_sgpr47
	s_waitcnt lgkmcnt(0)
	v_cmp_ne_u32_e32 vcc, v10, v29
	s_and_saveexec_b64 s[44:45], vcc
	s_xor_b64 s[44:45], exec, s[44:45]
	s_cbranch_execz .LBB67_52
; %bb.45:                               ;   in Loop: Header=BB67_44 Depth=3
	v_cmp_ne_u32_e32 vcc, s2, v10
                                        ; implicit-def: $sgpr46_sgpr47
	s_and_saveexec_b64 s[48:49], vcc
	s_xor_b64 s[48:49], exec, s[48:49]
; %bb.46:                               ;   in Loop: Header=BB67_44 Depth=3
	v_add_u32_e32 v8, 1, v8
	v_and_b32_e32 v8, 31, v8
	s_mov_b64 s[46:47], -1
                                        ; implicit-def: $vgpr9
; %bb.47:                               ;   in Loop: Header=BB67_44 Depth=3
	s_andn2_saveexec_b64 s[48:49], s[48:49]
	s_cbranch_execz .LBB67_51
; %bb.48:                               ;   in Loop: Header=BB67_44 Depth=3
	v_mov_b32_e32 v10, s2
	ds_cmpst_rtn_b32 v9, v9, v10, v29
	s_mov_b64 s[50:51], -1
	s_waitcnt lgkmcnt(0)
	v_cmp_eq_u32_e32 vcc, s2, v9
	s_and_saveexec_b64 s[52:53], vcc
	s_cbranch_execz .LBB67_50
; %bb.49:                               ;   in Loop: Header=BB67_44 Depth=3
	v_lshl_add_u32 v9, v8, 6, v57
	ds_add_f64 v9, v[12:13]
	ds_add_f64 v9, v[14:15] offset:8
	s_xor_b64 s[50:51], exec, -1
.LBB67_50:                              ;   in Loop: Header=BB67_44 Depth=3
	s_or_b64 exec, exec, s[52:53]
	s_andn2_b64 s[46:47], s[46:47], exec
	s_and_b64 s[50:51], s[50:51], exec
	s_or_b64 s[46:47], s[46:47], s[50:51]
.LBB67_51:                              ;   in Loop: Header=BB67_44 Depth=3
	s_or_b64 exec, exec, s[48:49]
	s_and_b64 s[46:47], s[46:47], exec
.LBB67_52:                              ;   in Loop: Header=BB67_44 Depth=3
	s_andn2_saveexec_b64 s[44:45], s[44:45]
	s_cbranch_execz .LBB67_43
; %bb.53:                               ;   in Loop: Header=BB67_44 Depth=3
	v_lshl_add_u32 v9, v8, 6, v57
	ds_add_f64 v9, v[12:13]
	ds_add_f64 v9, v[14:15] offset:8
	s_andn2_b64 s[46:47], s[46:47], exec
	s_branch .LBB67_43
.LBB67_54:                              ;   in Loop: Header=BB67_18 Depth=2
	s_or_b64 exec, exec, s[34:35]
	v_mul_f64 v[8:9], v[6:7], -v[36:37]
	v_mul_f64 v[6:7], v[34:35], v[6:7]
	v_fmac_f64_e32 v[8:9], v[34:35], v[4:5]
	v_fmac_f64_e32 v[6:7], v[36:37], v[4:5]
	;; [unrolled: 1-line block ×4, first 2 shown]
	v_fma_f64 v[4:5], -v[44:45], v[2:3], v[8:9]
	v_fmac_f64_e32 v[6:7], v[42:43], v[2:3]
	s_mov_b64 s[34:35], 0
	s_branch .LBB67_56
.LBB67_55:                              ;   in Loop: Header=BB67_56 Depth=3
	s_or_b64 exec, exec, s[44:45]
	s_xor_b64 s[44:45], s[46:47], -1
	s_and_b64 s[44:45], exec, s[44:45]
	s_or_b64 s[34:35], s[44:45], s[34:35]
	s_andn2_b64 exec, exec, s[34:35]
	s_cbranch_execz .LBB67_17
.LBB67_56:                              ;   Parent Loop BB67_15 Depth=1
                                        ;     Parent Loop BB67_18 Depth=2
                                        ; =>    This Inner Loop Header: Depth=3
	v_lshl_add_u32 v0, v61, 2, v50
	ds_read_b32 v1, v0
                                        ; implicit-def: $sgpr46_sgpr47
	s_waitcnt lgkmcnt(0)
	v_cmp_ne_u32_e32 vcc, v1, v29
	s_and_saveexec_b64 s[44:45], vcc
	s_xor_b64 s[44:45], exec, s[44:45]
	s_cbranch_execz .LBB67_64
; %bb.57:                               ;   in Loop: Header=BB67_56 Depth=3
	v_cmp_ne_u32_e32 vcc, s2, v1
                                        ; implicit-def: $sgpr46_sgpr47
	s_and_saveexec_b64 s[48:49], vcc
	s_xor_b64 s[48:49], exec, s[48:49]
; %bb.58:                               ;   in Loop: Header=BB67_56 Depth=3
	v_add_u32_e32 v0, 1, v61
	v_and_b32_e32 v61, 31, v0
	s_mov_b64 s[46:47], -1
                                        ; implicit-def: $vgpr0
; %bb.59:                               ;   in Loop: Header=BB67_56 Depth=3
	s_andn2_saveexec_b64 s[48:49], s[48:49]
	s_cbranch_execz .LBB67_63
; %bb.60:                               ;   in Loop: Header=BB67_56 Depth=3
	v_mov_b32_e32 v1, s2
	ds_cmpst_rtn_b32 v0, v0, v1, v29
	s_mov_b64 s[50:51], -1
	s_waitcnt lgkmcnt(0)
	v_cmp_eq_u32_e32 vcc, s2, v0
	s_and_saveexec_b64 s[52:53], vcc
	s_cbranch_execz .LBB67_62
; %bb.61:                               ;   in Loop: Header=BB67_56 Depth=3
	v_lshl_add_u32 v0, v61, 6, v58
	ds_add_f64 v0, v[4:5]
	ds_add_f64 v0, v[6:7] offset:8
	s_xor_b64 s[50:51], exec, -1
.LBB67_62:                              ;   in Loop: Header=BB67_56 Depth=3
	s_or_b64 exec, exec, s[52:53]
	s_andn2_b64 s[46:47], s[46:47], exec
	s_and_b64 s[50:51], s[50:51], exec
	s_or_b64 s[46:47], s[46:47], s[50:51]
.LBB67_63:                              ;   in Loop: Header=BB67_56 Depth=3
	s_or_b64 exec, exec, s[48:49]
	s_and_b64 s[46:47], s[46:47], exec
.LBB67_64:                              ;   in Loop: Header=BB67_56 Depth=3
	s_andn2_saveexec_b64 s[44:45], s[44:45]
	s_cbranch_execz .LBB67_55
; %bb.65:                               ;   in Loop: Header=BB67_56 Depth=3
	v_lshl_add_u32 v0, v61, 6, v58
	ds_add_f64 v0, v[4:5]
	ds_add_f64 v0, v[6:7] offset:8
	s_andn2_b64 s[46:47], s[46:47], exec
	s_branch .LBB67_55
.LBB67_66:
	s_or_b64 exec, exec, s[6:7]
.LBB67_67:
	v_lshlrev_b32_e32 v24, 7, v54
	s_andn2_b64 vcc, exec, s[4:5]
	s_waitcnt lgkmcnt(0)
	s_cbranch_vccnz .LBB67_120
; %bb.68:
	v_mov_b32_e32 v1, s13
	v_add_co_u32_e32 v0, vcc, s12, v20
	v_addc_co_u32_e32 v1, vcc, v1, v21, vcc
	global_load_dwordx2 v[0:1], v[0:1], off
	v_subrev_u32_e32 v2, s31, v52
	s_waitcnt vmcnt(0)
	v_subrev_u32_e32 v25, s31, v1
	v_add_u32_e32 v12, v0, v2
	v_cmp_lt_i32_e32 vcc, v12, v25
	s_and_saveexec_b64 s[4:5], vcc
	s_cbranch_execz .LBB67_119
; %bb.69:
	s_cmp_eq_u32 s0, 0
	s_cselect_b32 s1, 1, 2
	s_cselect_b32 s3, 2, 1
	v_add_u32_e32 v26, 16, v53
	v_add_u32_e32 v27, 32, v53
	;; [unrolled: 1-line block ×3, first 2 shown]
	s_mov_b64 s[6:7], 0
	v_mov_b32_e32 v29, s17
	v_mov_b32_e32 v30, s15
	s_branch .LBB67_71
.LBB67_70:                              ;   in Loop: Header=BB67_71 Depth=1
	s_or_b64 exec, exec, s[8:9]
	v_add_u32_e32 v12, 16, v12
	v_cmp_ge_i32_e32 vcc, v12, v25
	s_or_b64 s[6:7], vcc, s[6:7]
	s_andn2_b64 exec, exec, s[6:7]
	s_cbranch_execz .LBB67_119
.LBB67_71:                              ; =>This Loop Header: Depth=1
                                        ;     Child Loop BB67_73 Depth 2
                                        ;     Child Loop BB67_85 Depth 2
                                        ;     Child Loop BB67_97 Depth 2
                                        ;     Child Loop BB67_109 Depth 2
	v_lshlrev_b32_e32 v4, 2, v12
	v_ashrrev_i32_e32 v5, 31, v4
	v_lshlrev_b64 v[0:1], 4, v[4:5]
	v_add_co_u32_e32 v6, vcc, s16, v0
	v_addc_co_u32_e32 v7, vcc, v29, v1, vcc
	global_load_dwordx4 v[32:35], v[6:7], off
	global_load_dwordx4 v[0:3], v[6:7], off offset:48
	v_or_b32_e32 v6, s1, v4
	v_ashrrev_i32_e32 v7, 31, v6
	v_lshlrev_b64 v[6:7], 4, v[6:7]
	v_ashrrev_i32_e32 v13, 31, v12
	v_add_co_u32_e32 v14, vcc, s16, v6
	v_addc_co_u32_e32 v15, vcc, v29, v7, vcc
	v_lshlrev_b64 v[6:7], 2, v[12:13]
	v_add_co_u32_e32 v6, vcc, s14, v6
	v_addc_co_u32_e32 v7, vcc, v30, v7, vcc
	global_load_dword v13, v[6:7], off
	v_or_b32_e32 v4, s3, v4
	v_ashrrev_i32_e32 v5, 31, v4
	v_lshlrev_b64 v[4:5], 4, v[4:5]
	v_add_co_u32_e32 v22, vcc, s16, v4
	v_addc_co_u32_e32 v23, vcc, v29, v5, vcc
	global_load_dwordx4 v[8:11], v[14:15], off
	global_load_dwordx4 v[4:7], v[22:23], off
	s_mov_b64 s[8:9], 0
	s_waitcnt vmcnt(4)
	v_mul_f64 v[14:15], v[34:35], -v[16:17]
	v_mul_f64 v[22:23], v[18:19], v[34:35]
	v_fmac_f64_e32 v[14:15], v[18:19], v[32:33]
	v_fmac_f64_e32 v[22:23], v[16:17], v[32:33]
	s_waitcnt vmcnt(2)
	v_subrev_u32_e32 v13, s31, v13
	v_lshl_add_u32 v31, v13, 3, v13
	v_and_b32_e32 v31, 31, v31
	v_mov_b32_e32 v32, v31
	s_branch .LBB67_73
.LBB67_72:                              ;   in Loop: Header=BB67_73 Depth=2
	s_or_b64 exec, exec, s[10:11]
	s_xor_b64 s[10:11], s[12:13], -1
	s_and_b64 s[10:11], exec, s[10:11]
	s_or_b64 s[8:9], s[10:11], s[8:9]
	s_andn2_b64 exec, exec, s[8:9]
	s_cbranch_execz .LBB67_83
.LBB67_73:                              ;   Parent Loop BB67_71 Depth=1
                                        ; =>  This Inner Loop Header: Depth=2
	v_lshl_add_u32 v33, v32, 2, v50
	ds_read_b32 v34, v33
                                        ; implicit-def: $sgpr12_sgpr13
	s_waitcnt lgkmcnt(0)
	v_cmp_ne_u32_e32 vcc, v34, v13
	s_and_saveexec_b64 s[10:11], vcc
	s_xor_b64 s[10:11], exec, s[10:11]
	s_cbranch_execz .LBB67_81
; %bb.74:                               ;   in Loop: Header=BB67_73 Depth=2
	v_cmp_ne_u32_e32 vcc, s2, v34
                                        ; implicit-def: $sgpr12_sgpr13
	s_and_saveexec_b64 s[20:21], vcc
	s_xor_b64 s[20:21], exec, s[20:21]
; %bb.75:                               ;   in Loop: Header=BB67_73 Depth=2
	v_add_u32_e32 v32, 1, v32
	v_and_b32_e32 v32, 31, v32
	s_mov_b64 s[12:13], -1
                                        ; implicit-def: $vgpr33
; %bb.76:                               ;   in Loop: Header=BB67_73 Depth=2
	s_andn2_saveexec_b64 s[20:21], s[20:21]
	s_cbranch_execz .LBB67_80
; %bb.77:                               ;   in Loop: Header=BB67_73 Depth=2
	v_mov_b32_e32 v34, s2
	ds_cmpst_rtn_b32 v33, v33, v34, v13
	s_mov_b64 s[22:23], -1
	s_waitcnt lgkmcnt(0)
	v_cmp_eq_u32_e32 vcc, s2, v33
	s_and_saveexec_b64 s[24:25], vcc
	s_cbranch_execz .LBB67_79
; %bb.78:                               ;   in Loop: Header=BB67_73 Depth=2
	v_lshl_add_u32 v33, v32, 6, v53
	ds_add_f64 v33, v[14:15]
	ds_add_f64 v33, v[22:23] offset:8
	s_xor_b64 s[22:23], exec, -1
.LBB67_79:                              ;   in Loop: Header=BB67_73 Depth=2
	s_or_b64 exec, exec, s[24:25]
	s_andn2_b64 s[12:13], s[12:13], exec
	s_and_b64 s[22:23], s[22:23], exec
	s_or_b64 s[12:13], s[12:13], s[22:23]
.LBB67_80:                              ;   in Loop: Header=BB67_73 Depth=2
	s_or_b64 exec, exec, s[20:21]
	s_and_b64 s[12:13], s[12:13], exec
.LBB67_81:                              ;   in Loop: Header=BB67_73 Depth=2
	s_andn2_saveexec_b64 s[10:11], s[10:11]
	s_cbranch_execz .LBB67_72
; %bb.82:                               ;   in Loop: Header=BB67_73 Depth=2
	v_lshl_add_u32 v33, v32, 6, v53
	ds_add_f64 v33, v[14:15]
	ds_add_f64 v33, v[22:23] offset:8
	s_andn2_b64 s[12:13], s[12:13], exec
	s_branch .LBB67_72
.LBB67_83:                              ;   in Loop: Header=BB67_71 Depth=1
	s_or_b64 exec, exec, s[8:9]
	s_waitcnt vmcnt(1)
	v_mul_f64 v[14:15], v[10:11], -v[16:17]
	v_mul_f64 v[10:11], v[18:19], v[10:11]
	v_fmac_f64_e32 v[14:15], v[18:19], v[8:9]
	v_fmac_f64_e32 v[10:11], v[16:17], v[8:9]
	s_mov_b64 s[8:9], 0
	v_mov_b32_e32 v8, v31
	s_branch .LBB67_85
.LBB67_84:                              ;   in Loop: Header=BB67_85 Depth=2
	s_or_b64 exec, exec, s[10:11]
	s_xor_b64 s[10:11], s[12:13], -1
	s_and_b64 s[10:11], exec, s[10:11]
	s_or_b64 s[8:9], s[10:11], s[8:9]
	s_andn2_b64 exec, exec, s[8:9]
	s_cbranch_execz .LBB67_95
.LBB67_85:                              ;   Parent Loop BB67_71 Depth=1
                                        ; =>  This Inner Loop Header: Depth=2
	v_lshl_add_u32 v9, v8, 2, v50
	ds_read_b32 v22, v9
                                        ; implicit-def: $sgpr12_sgpr13
	s_waitcnt lgkmcnt(0)
	v_cmp_ne_u32_e32 vcc, v22, v13
	s_and_saveexec_b64 s[10:11], vcc
	s_xor_b64 s[10:11], exec, s[10:11]
	s_cbranch_execz .LBB67_93
; %bb.86:                               ;   in Loop: Header=BB67_85 Depth=2
	v_cmp_ne_u32_e32 vcc, s2, v22
                                        ; implicit-def: $sgpr12_sgpr13
	s_and_saveexec_b64 s[20:21], vcc
	s_xor_b64 s[20:21], exec, s[20:21]
; %bb.87:                               ;   in Loop: Header=BB67_85 Depth=2
	v_add_u32_e32 v8, 1, v8
	v_and_b32_e32 v8, 31, v8
	s_mov_b64 s[12:13], -1
                                        ; implicit-def: $vgpr9
; %bb.88:                               ;   in Loop: Header=BB67_85 Depth=2
	s_andn2_saveexec_b64 s[20:21], s[20:21]
	s_cbranch_execz .LBB67_92
; %bb.89:                               ;   in Loop: Header=BB67_85 Depth=2
	v_mov_b32_e32 v22, s2
	ds_cmpst_rtn_b32 v9, v9, v22, v13
	s_mov_b64 s[22:23], -1
	s_waitcnt lgkmcnt(0)
	v_cmp_eq_u32_e32 vcc, s2, v9
	s_and_saveexec_b64 s[24:25], vcc
	s_cbranch_execz .LBB67_91
; %bb.90:                               ;   in Loop: Header=BB67_85 Depth=2
	v_lshl_add_u32 v9, v8, 6, v26
	ds_add_f64 v9, v[14:15]
	ds_add_f64 v9, v[10:11] offset:8
	s_xor_b64 s[22:23], exec, -1
.LBB67_91:                              ;   in Loop: Header=BB67_85 Depth=2
	s_or_b64 exec, exec, s[24:25]
	s_andn2_b64 s[12:13], s[12:13], exec
	s_and_b64 s[22:23], s[22:23], exec
	s_or_b64 s[12:13], s[12:13], s[22:23]
.LBB67_92:                              ;   in Loop: Header=BB67_85 Depth=2
	s_or_b64 exec, exec, s[20:21]
	s_and_b64 s[12:13], s[12:13], exec
.LBB67_93:                              ;   in Loop: Header=BB67_85 Depth=2
	s_andn2_saveexec_b64 s[10:11], s[10:11]
	s_cbranch_execz .LBB67_84
; %bb.94:                               ;   in Loop: Header=BB67_85 Depth=2
	v_lshl_add_u32 v9, v8, 6, v26
	ds_add_f64 v9, v[14:15]
	ds_add_f64 v9, v[10:11] offset:8
	s_andn2_b64 s[12:13], s[12:13], exec
	s_branch .LBB67_84
.LBB67_95:                              ;   in Loop: Header=BB67_71 Depth=1
	s_or_b64 exec, exec, s[8:9]
	s_waitcnt vmcnt(0)
	v_mul_f64 v[8:9], v[6:7], -v[16:17]
	v_mul_f64 v[6:7], v[18:19], v[6:7]
	v_fmac_f64_e32 v[8:9], v[18:19], v[4:5]
	v_fmac_f64_e32 v[6:7], v[16:17], v[4:5]
	s_mov_b64 s[8:9], 0
	v_mov_b32_e32 v4, v31
	s_branch .LBB67_97
.LBB67_96:                              ;   in Loop: Header=BB67_97 Depth=2
	s_or_b64 exec, exec, s[10:11]
	s_xor_b64 s[10:11], s[12:13], -1
	s_and_b64 s[10:11], exec, s[10:11]
	s_or_b64 s[8:9], s[10:11], s[8:9]
	s_andn2_b64 exec, exec, s[8:9]
	s_cbranch_execz .LBB67_107
.LBB67_97:                              ;   Parent Loop BB67_71 Depth=1
                                        ; =>  This Inner Loop Header: Depth=2
	v_lshl_add_u32 v5, v4, 2, v50
	ds_read_b32 v10, v5
                                        ; implicit-def: $sgpr12_sgpr13
	s_waitcnt lgkmcnt(0)
	v_cmp_ne_u32_e32 vcc, v10, v13
	s_and_saveexec_b64 s[10:11], vcc
	s_xor_b64 s[10:11], exec, s[10:11]
	s_cbranch_execz .LBB67_105
; %bb.98:                               ;   in Loop: Header=BB67_97 Depth=2
	v_cmp_ne_u32_e32 vcc, s2, v10
                                        ; implicit-def: $sgpr12_sgpr13
	s_and_saveexec_b64 s[20:21], vcc
	s_xor_b64 s[20:21], exec, s[20:21]
; %bb.99:                               ;   in Loop: Header=BB67_97 Depth=2
	v_add_u32_e32 v4, 1, v4
	v_and_b32_e32 v4, 31, v4
	s_mov_b64 s[12:13], -1
                                        ; implicit-def: $vgpr5
; %bb.100:                              ;   in Loop: Header=BB67_97 Depth=2
	s_andn2_saveexec_b64 s[20:21], s[20:21]
	s_cbranch_execz .LBB67_104
; %bb.101:                              ;   in Loop: Header=BB67_97 Depth=2
	v_mov_b32_e32 v10, s2
	ds_cmpst_rtn_b32 v5, v5, v10, v13
	s_mov_b64 s[22:23], -1
	s_waitcnt lgkmcnt(0)
	v_cmp_eq_u32_e32 vcc, s2, v5
	s_and_saveexec_b64 s[24:25], vcc
	s_cbranch_execz .LBB67_103
; %bb.102:                              ;   in Loop: Header=BB67_97 Depth=2
	v_lshl_add_u32 v5, v4, 6, v27
	ds_add_f64 v5, v[8:9]
	ds_add_f64 v5, v[6:7] offset:8
	s_xor_b64 s[22:23], exec, -1
.LBB67_103:                             ;   in Loop: Header=BB67_97 Depth=2
	s_or_b64 exec, exec, s[24:25]
	s_andn2_b64 s[12:13], s[12:13], exec
	s_and_b64 s[22:23], s[22:23], exec
	s_or_b64 s[12:13], s[12:13], s[22:23]
.LBB67_104:                             ;   in Loop: Header=BB67_97 Depth=2
	s_or_b64 exec, exec, s[20:21]
	s_and_b64 s[12:13], s[12:13], exec
.LBB67_105:                             ;   in Loop: Header=BB67_97 Depth=2
	s_andn2_saveexec_b64 s[10:11], s[10:11]
	s_cbranch_execz .LBB67_96
; %bb.106:                              ;   in Loop: Header=BB67_97 Depth=2
	v_lshl_add_u32 v5, v4, 6, v27
	ds_add_f64 v5, v[8:9]
	ds_add_f64 v5, v[6:7] offset:8
	s_andn2_b64 s[12:13], s[12:13], exec
	s_branch .LBB67_96
.LBB67_107:                             ;   in Loop: Header=BB67_71 Depth=1
	s_or_b64 exec, exec, s[8:9]
	v_mul_f64 v[4:5], v[2:3], -v[16:17]
	v_mul_f64 v[2:3], v[18:19], v[2:3]
	v_fmac_f64_e32 v[4:5], v[18:19], v[0:1]
	v_fmac_f64_e32 v[2:3], v[16:17], v[0:1]
	s_mov_b64 s[8:9], 0
	s_branch .LBB67_109
.LBB67_108:                             ;   in Loop: Header=BB67_109 Depth=2
	s_or_b64 exec, exec, s[10:11]
	s_xor_b64 s[10:11], s[12:13], -1
	s_and_b64 s[10:11], exec, s[10:11]
	s_or_b64 s[8:9], s[10:11], s[8:9]
	s_andn2_b64 exec, exec, s[8:9]
	s_cbranch_execz .LBB67_70
.LBB67_109:                             ;   Parent Loop BB67_71 Depth=1
                                        ; =>  This Inner Loop Header: Depth=2
	v_lshl_add_u32 v0, v31, 2, v50
	ds_read_b32 v1, v0
                                        ; implicit-def: $sgpr12_sgpr13
	s_waitcnt lgkmcnt(0)
	v_cmp_ne_u32_e32 vcc, v1, v13
	s_and_saveexec_b64 s[10:11], vcc
	s_xor_b64 s[10:11], exec, s[10:11]
	s_cbranch_execz .LBB67_117
; %bb.110:                              ;   in Loop: Header=BB67_109 Depth=2
	v_cmp_ne_u32_e32 vcc, s2, v1
                                        ; implicit-def: $sgpr12_sgpr13
	s_and_saveexec_b64 s[20:21], vcc
	s_xor_b64 s[20:21], exec, s[20:21]
; %bb.111:                              ;   in Loop: Header=BB67_109 Depth=2
	v_add_u32_e32 v0, 1, v31
	v_and_b32_e32 v31, 31, v0
	s_mov_b64 s[12:13], -1
                                        ; implicit-def: $vgpr0
; %bb.112:                              ;   in Loop: Header=BB67_109 Depth=2
	s_andn2_saveexec_b64 s[20:21], s[20:21]
	s_cbranch_execz .LBB67_116
; %bb.113:                              ;   in Loop: Header=BB67_109 Depth=2
	v_mov_b32_e32 v1, s2
	ds_cmpst_rtn_b32 v0, v0, v1, v13
	s_mov_b64 s[22:23], -1
	s_waitcnt lgkmcnt(0)
	v_cmp_eq_u32_e32 vcc, s2, v0
	s_and_saveexec_b64 s[24:25], vcc
	s_cbranch_execz .LBB67_115
; %bb.114:                              ;   in Loop: Header=BB67_109 Depth=2
	v_lshl_add_u32 v0, v31, 6, v28
	ds_add_f64 v0, v[4:5]
	ds_add_f64 v0, v[2:3] offset:8
	s_xor_b64 s[22:23], exec, -1
.LBB67_115:                             ;   in Loop: Header=BB67_109 Depth=2
	s_or_b64 exec, exec, s[24:25]
	s_andn2_b64 s[12:13], s[12:13], exec
	s_and_b64 s[22:23], s[22:23], exec
	s_or_b64 s[12:13], s[12:13], s[22:23]
.LBB67_116:                             ;   in Loop: Header=BB67_109 Depth=2
	s_or_b64 exec, exec, s[20:21]
	s_and_b64 s[12:13], s[12:13], exec
.LBB67_117:                             ;   in Loop: Header=BB67_109 Depth=2
	s_andn2_saveexec_b64 s[10:11], s[10:11]
	s_cbranch_execz .LBB67_108
; %bb.118:                              ;   in Loop: Header=BB67_109 Depth=2
	v_lshl_add_u32 v0, v31, 6, v28
	ds_add_f64 v0, v[4:5]
	ds_add_f64 v0, v[2:3] offset:8
	s_andn2_b64 s[12:13], s[12:13], exec
	s_branch .LBB67_108
.LBB67_119:
	s_or_b64 exec, exec, s[4:5]
.LBB67_120:
	v_mov_b32_e32 v1, s19
	v_add_co_u32_e32 v0, vcc, s18, v20
	v_addc_co_u32_e32 v1, vcc, v1, v21, vcc
	s_waitcnt lgkmcnt(0)
	global_load_dword v2, v[0:1], off
	s_cmp_eq_u32 s0, 0
	v_lshl_add_u32 v1, v52, 2, v24
	v_lshl_add_u32 v0, v52, 6, v53
	s_cselect_b32 s3, 16, 32
	s_cselect_b32 s6, 32, 16
	v_or_b32_e32 v1, 0x8000, v1
	s_mov_b64 s[0:1], 0
	s_waitcnt vmcnt(0)
	v_subrev_u32_e32 v2, s30, v2
	s_branch .LBB67_122
.LBB67_121:                             ;   in Loop: Header=BB67_122 Depth=1
	s_or_b64 exec, exec, s[4:5]
	v_add_co_u32_e32 v51, vcc, 16, v51
	s_xor_b64 s[4:5], vcc, -1
	s_and_b64 s[4:5], exec, s[4:5]
	v_add_u32_e32 v0, 0x400, v0
	s_or_b64 s[0:1], s[4:5], s[0:1]
	v_add_u32_e32 v1, 64, v1
	s_andn2_b64 exec, exec, s[0:1]
	s_cbranch_execz .LBB67_124
.LBB67_122:                             ; =>This Inner Loop Header: Depth=1
	ds_read_b32 v3, v1
	s_waitcnt lgkmcnt(0)
	v_cmp_gt_i32_e32 vcc, s2, v3
	s_and_saveexec_b64 s[4:5], vcc
	s_cbranch_execz .LBB67_121
; %bb.123:                              ;   in Loop: Header=BB67_122 Depth=1
	ds_read_b128 v[4:7], v50
	ds_read_b128 v[8:11], v50 offset:16
	ds_read_b128 v[12:15], v50 offset:32
	;; [unrolled: 1-line block ×3, first 2 shown]
	s_waitcnt lgkmcnt(3)
	v_cmp_gt_i32_e32 vcc, v3, v4
	v_cndmask_b32_e64 v4, 0, 1, vcc
	v_cmp_gt_i32_e32 vcc, v3, v5
	v_addc_co_u32_e32 v4, vcc, v2, v4, vcc
	v_cmp_gt_i32_e32 vcc, v3, v6
	v_cndmask_b32_e64 v5, 0, 1, vcc
	v_cmp_gt_i32_e32 vcc, v3, v7
	v_addc_co_u32_e32 v4, vcc, v4, v5, vcc
	s_waitcnt lgkmcnt(2)
	v_cmp_gt_i32_e32 vcc, v3, v8
	v_cndmask_b32_e64 v5, 0, 1, vcc
	v_cmp_gt_i32_e32 vcc, v3, v9
	v_addc_co_u32_e32 v4, vcc, v4, v5, vcc
	v_cmp_gt_i32_e32 vcc, v3, v10
	v_cndmask_b32_e64 v5, 0, 1, vcc
	v_cmp_gt_i32_e32 vcc, v3, v11
	v_addc_co_u32_e32 v4, vcc, v4, v5, vcc
	;; [unrolled: 9-line block ×3, first 2 shown]
	s_waitcnt lgkmcnt(0)
	v_cmp_gt_i32_e32 vcc, v3, v16
	v_cndmask_b32_e64 v5, 0, 1, vcc
	v_cmp_gt_i32_e32 vcc, v3, v17
	v_addc_co_u32_e32 v8, vcc, v4, v5, vcc
	ds_read_b128 v[4:7], v50 offset:64
	v_cmp_gt_i32_e32 vcc, v3, v18
	v_cndmask_b32_e64 v9, 0, 1, vcc
	v_cmp_gt_i32_e32 vcc, v3, v19
	v_addc_co_u32_e32 v12, vcc, v8, v9, vcc
	ds_read_b128 v[8:11], v50 offset:80
	s_waitcnt lgkmcnt(1)
	v_cmp_gt_i32_e32 vcc, v3, v4
	v_cndmask_b32_e64 v4, 0, 1, vcc
	v_cmp_gt_i32_e32 vcc, v3, v5
	v_addc_co_u32_e32 v4, vcc, v12, v4, vcc
	v_cmp_gt_i32_e32 vcc, v3, v6
	v_cndmask_b32_e64 v5, 0, 1, vcc
	v_cmp_gt_i32_e32 vcc, v3, v7
	v_addc_co_u32_e32 v4, vcc, v4, v5, vcc
	s_waitcnt lgkmcnt(0)
	v_cmp_gt_i32_e32 vcc, v3, v8
	v_cndmask_b32_e64 v5, 0, 1, vcc
	v_cmp_gt_i32_e32 vcc, v3, v9
	v_addc_co_u32_e32 v8, vcc, v4, v5, vcc
	ds_read_b128 v[4:7], v50 offset:96
	v_cmp_gt_i32_e32 vcc, v3, v10
	v_cndmask_b32_e64 v9, 0, 1, vcc
	v_cmp_gt_i32_e32 vcc, v3, v11
	v_addc_co_u32_e32 v12, vcc, v8, v9, vcc
	ds_read_b128 v[8:11], v50 offset:112
	s_waitcnt lgkmcnt(1)
	v_cmp_gt_i32_e32 vcc, v3, v4
	v_cndmask_b32_e64 v4, 0, 1, vcc
	v_cmp_gt_i32_e32 vcc, v3, v5
	v_addc_co_u32_e32 v4, vcc, v12, v4, vcc
	v_cmp_gt_i32_e32 vcc, v3, v6
	v_cndmask_b32_e64 v5, 0, 1, vcc
	v_cmp_gt_i32_e32 vcc, v3, v7
	v_addc_co_u32_e32 v4, vcc, v4, v5, vcc
	s_waitcnt lgkmcnt(0)
	v_cmp_gt_i32_e32 vcc, v3, v8
	v_cndmask_b32_e64 v5, 0, 1, vcc
	v_cmp_gt_i32_e32 vcc, v3, v9
	v_addc_co_u32_e32 v4, vcc, v4, v5, vcc
	v_cmp_gt_i32_e32 vcc, v3, v10
	v_cndmask_b32_e64 v5, 0, 1, vcc
	v_cmp_gt_i32_e32 vcc, v3, v11
	v_addc_co_u32_e32 v4, vcc, v4, v5, vcc
	v_ashrrev_i32_e32 v5, 31, v4
	v_lshlrev_b64 v[6:7], 2, v[4:5]
	v_mov_b32_e32 v5, s37
	v_add_co_u32_e32 v6, vcc, s36, v6
	v_lshlrev_b32_e32 v4, 2, v4
	v_add_u32_e32 v3, s30, v3
	v_addc_co_u32_e32 v7, vcc, v5, v7, vcc
	v_ashrrev_i32_e32 v5, 31, v4
	global_store_dword v[6:7], v3, off
	v_lshlrev_b64 v[20:21], 4, v[4:5]
	v_add_u32_e32 v4, s3, v0
	v_add_u32_e32 v8, s6, v0
	ds_read2_b64 v[4:7], v4 offset1:1
	ds_read2_b64 v[8:11], v8 offset1:1
	;; [unrolled: 1-line block ×3, first 2 shown]
	ds_read2_b64 v[16:19], v0 offset0:6 offset1:7
	v_mov_b32_e32 v3, s39
	v_add_co_u32_e32 v20, vcc, s38, v20
	v_addc_co_u32_e32 v21, vcc, v3, v21, vcc
	s_waitcnt lgkmcnt(1)
	global_store_dwordx4 v[20:21], v[12:15], off
	global_store_dwordx4 v[20:21], v[4:7], off offset:16
	global_store_dwordx4 v[20:21], v[8:11], off offset:32
	s_waitcnt lgkmcnt(0)
	global_store_dwordx4 v[20:21], v[16:19], off offset:48
	s_branch .LBB67_121
.LBB67_124:
	s_endpgm
	.section	.rodata,"a",@progbits
	.p2align	6, 0x0
	.amdhsa_kernel _ZN9rocsparseL27bsrgemm_fill_wf_per_row_2x2ILj256ELj16ELj32ELj137Eii21rocsparse_complex_numIdEEEv20rocsparse_direction_T4_S4_PKS4_S6_NS_24const_host_device_scalarIT5_EEPKT3_S6_PKS8_SC_S6_SE_S9_SC_S6_SE_SC_PS4_PS8_21rocsparse_index_base_SH_SH_SH_bbb
		.amdhsa_group_segment_fixed_size 38912
		.amdhsa_private_segment_fixed_size 0
		.amdhsa_kernarg_size 180
		.amdhsa_user_sgpr_count 8
		.amdhsa_user_sgpr_private_segment_buffer 1
		.amdhsa_user_sgpr_dispatch_ptr 1
		.amdhsa_user_sgpr_queue_ptr 0
		.amdhsa_user_sgpr_kernarg_segment_ptr 1
		.amdhsa_user_sgpr_dispatch_id 0
		.amdhsa_user_sgpr_flat_scratch_init 0
		.amdhsa_user_sgpr_kernarg_preload_length 0
		.amdhsa_user_sgpr_kernarg_preload_offset 0
		.amdhsa_user_sgpr_private_segment_size 0
		.amdhsa_uses_dynamic_stack 0
		.amdhsa_system_sgpr_private_segment_wavefront_offset 0
		.amdhsa_system_sgpr_workgroup_id_x 1
		.amdhsa_system_sgpr_workgroup_id_y 0
		.amdhsa_system_sgpr_workgroup_id_z 0
		.amdhsa_system_sgpr_workgroup_info 0
		.amdhsa_system_vgpr_workitem_id 2
		.amdhsa_next_free_vgpr 65
		.amdhsa_next_free_sgpr 56
		.amdhsa_accum_offset 68
		.amdhsa_reserve_vcc 1
		.amdhsa_reserve_flat_scratch 0
		.amdhsa_float_round_mode_32 0
		.amdhsa_float_round_mode_16_64 0
		.amdhsa_float_denorm_mode_32 3
		.amdhsa_float_denorm_mode_16_64 3
		.amdhsa_dx10_clamp 1
		.amdhsa_ieee_mode 1
		.amdhsa_fp16_overflow 0
		.amdhsa_tg_split 0
		.amdhsa_exception_fp_ieee_invalid_op 0
		.amdhsa_exception_fp_denorm_src 0
		.amdhsa_exception_fp_ieee_div_zero 0
		.amdhsa_exception_fp_ieee_overflow 0
		.amdhsa_exception_fp_ieee_underflow 0
		.amdhsa_exception_fp_ieee_inexact 0
		.amdhsa_exception_int_div_zero 0
	.end_amdhsa_kernel
	.section	.text._ZN9rocsparseL27bsrgemm_fill_wf_per_row_2x2ILj256ELj16ELj32ELj137Eii21rocsparse_complex_numIdEEEv20rocsparse_direction_T4_S4_PKS4_S6_NS_24const_host_device_scalarIT5_EEPKT3_S6_PKS8_SC_S6_SE_S9_SC_S6_SE_SC_PS4_PS8_21rocsparse_index_base_SH_SH_SH_bbb,"axG",@progbits,_ZN9rocsparseL27bsrgemm_fill_wf_per_row_2x2ILj256ELj16ELj32ELj137Eii21rocsparse_complex_numIdEEEv20rocsparse_direction_T4_S4_PKS4_S6_NS_24const_host_device_scalarIT5_EEPKT3_S6_PKS8_SC_S6_SE_S9_SC_S6_SE_SC_PS4_PS8_21rocsparse_index_base_SH_SH_SH_bbb,comdat
.Lfunc_end67:
	.size	_ZN9rocsparseL27bsrgemm_fill_wf_per_row_2x2ILj256ELj16ELj32ELj137Eii21rocsparse_complex_numIdEEEv20rocsparse_direction_T4_S4_PKS4_S6_NS_24const_host_device_scalarIT5_EEPKT3_S6_PKS8_SC_S6_SE_S9_SC_S6_SE_SC_PS4_PS8_21rocsparse_index_base_SH_SH_SH_bbb, .Lfunc_end67-_ZN9rocsparseL27bsrgemm_fill_wf_per_row_2x2ILj256ELj16ELj32ELj137Eii21rocsparse_complex_numIdEEEv20rocsparse_direction_T4_S4_PKS4_S6_NS_24const_host_device_scalarIT5_EEPKT3_S6_PKS8_SC_S6_SE_S9_SC_S6_SE_SC_PS4_PS8_21rocsparse_index_base_SH_SH_SH_bbb
                                        ; -- End function
	.section	.AMDGPU.csdata,"",@progbits
; Kernel info:
; codeLenInByte = 4408
; NumSgprs: 60
; NumVgprs: 65
; NumAgprs: 0
; TotalNumVgprs: 65
; ScratchSize: 0
; MemoryBound: 0
; FloatMode: 240
; IeeeMode: 1
; LDSByteSize: 38912 bytes/workgroup (compile time only)
; SGPRBlocks: 7
; VGPRBlocks: 8
; NumSGPRsForWavesPerEU: 60
; NumVGPRsForWavesPerEU: 65
; AccumOffset: 68
; Occupancy: 1
; WaveLimiterHint : 1
; COMPUTE_PGM_RSRC2:SCRATCH_EN: 0
; COMPUTE_PGM_RSRC2:USER_SGPR: 8
; COMPUTE_PGM_RSRC2:TRAP_HANDLER: 0
; COMPUTE_PGM_RSRC2:TGID_X_EN: 1
; COMPUTE_PGM_RSRC2:TGID_Y_EN: 0
; COMPUTE_PGM_RSRC2:TGID_Z_EN: 0
; COMPUTE_PGM_RSRC2:TIDIG_COMP_CNT: 2
; COMPUTE_PGM_RSRC3_GFX90A:ACCUM_OFFSET: 16
; COMPUTE_PGM_RSRC3_GFX90A:TG_SPLIT: 0
	.section	.text._ZN9rocsparseL30bsrgemm_fill_block_per_row_2x2ILj256ELj16ELj64ELj137Eii21rocsparse_complex_numIdEEEv20rocsparse_direction_T4_S4_PKS4_S6_NS_24const_host_device_scalarIT5_EEPKT3_S6_PKS8_SC_S6_SE_S9_SC_S6_SE_SC_PS4_PS8_21rocsparse_index_base_SH_SH_SH_bbb,"axG",@progbits,_ZN9rocsparseL30bsrgemm_fill_block_per_row_2x2ILj256ELj16ELj64ELj137Eii21rocsparse_complex_numIdEEEv20rocsparse_direction_T4_S4_PKS4_S6_NS_24const_host_device_scalarIT5_EEPKT3_S6_PKS8_SC_S6_SE_S9_SC_S6_SE_SC_PS4_PS8_21rocsparse_index_base_SH_SH_SH_bbb,comdat
	.globl	_ZN9rocsparseL30bsrgemm_fill_block_per_row_2x2ILj256ELj16ELj64ELj137Eii21rocsparse_complex_numIdEEEv20rocsparse_direction_T4_S4_PKS4_S6_NS_24const_host_device_scalarIT5_EEPKT3_S6_PKS8_SC_S6_SE_S9_SC_S6_SE_SC_PS4_PS8_21rocsparse_index_base_SH_SH_SH_bbb ; -- Begin function _ZN9rocsparseL30bsrgemm_fill_block_per_row_2x2ILj256ELj16ELj64ELj137Eii21rocsparse_complex_numIdEEEv20rocsparse_direction_T4_S4_PKS4_S6_NS_24const_host_device_scalarIT5_EEPKT3_S6_PKS8_SC_S6_SE_S9_SC_S6_SE_SC_PS4_PS8_21rocsparse_index_base_SH_SH_SH_bbb
	.p2align	8
	.type	_ZN9rocsparseL30bsrgemm_fill_block_per_row_2x2ILj256ELj16ELj64ELj137Eii21rocsparse_complex_numIdEEEv20rocsparse_direction_T4_S4_PKS4_S6_NS_24const_host_device_scalarIT5_EEPKT3_S6_PKS8_SC_S6_SE_S9_SC_S6_SE_SC_PS4_PS8_21rocsparse_index_base_SH_SH_SH_bbb,@function
_ZN9rocsparseL30bsrgemm_fill_block_per_row_2x2ILj256ELj16ELj64ELj137Eii21rocsparse_complex_numIdEEEv20rocsparse_direction_T4_S4_PKS4_S6_NS_24const_host_device_scalarIT5_EEPKT3_S6_PKS8_SC_S6_SE_S9_SC_S6_SE_SC_PS4_PS8_21rocsparse_index_base_SH_SH_SH_bbb: ; @_ZN9rocsparseL30bsrgemm_fill_block_per_row_2x2ILj256ELj16ELj64ELj137Eii21rocsparse_complex_numIdEEEv20rocsparse_direction_T4_S4_PKS4_S6_NS_24const_host_device_scalarIT5_EEPKT3_S6_PKS8_SC_S6_SE_S9_SC_S6_SE_SC_PS4_PS8_21rocsparse_index_base_SH_SH_SH_bbb
; %bb.0:
	s_add_u32 flat_scratch_lo, s6, s9
	s_addc_u32 flat_scratch_hi, s7, 0
	s_add_u32 s0, s0, s9
	s_load_dword s9, s[4:5], 0xb0
	s_load_dwordx4 s[16:19], s[4:5], 0x20
	s_load_dwordx4 s[12:15], s[4:5], 0x60
	s_addc_u32 s1, s1, 0
	v_pk_mov_b32 v[18:19], 0, 0
	s_waitcnt lgkmcnt(0)
	s_bitcmp1_b32 s9, 0
	v_mov_b32_e32 v1, s17
	s_cselect_b64 s[26:27], -1, 0
	s_bitcmp1_b32 s9, 16
	buffer_store_dword v1, off, s[0:3], 0 offset:4
	v_mov_b32_e32 v1, s16
	s_cselect_b64 s[6:7], -1, 0
	buffer_store_dword v1, off, s[0:3], 0
	v_mov_b32_e32 v1, s13
	buffer_store_dword v1, off, s[0:3], 0 offset:12
	v_mov_b32_e32 v1, s12
	s_xor_b64 s[10:11], s[6:7], -1
	buffer_store_dword v1, off, s[0:3], 0 offset:8
	v_cndmask_b32_e64 v1, 0, 1, s[10:11]
	s_bitcmp0_b32 s9, 0
	v_cmp_ne_u32_e64 s[10:11], 1, v1
	v_pk_mov_b32 v[22:23], v[18:19], v[18:19] op_sel:[0,1]
	v_pk_mov_b32 v[24:25], v[18:19], v[18:19] op_sel:[0,1]
	s_cbranch_scc1 .LBB68_3
; %bb.1:
	s_mov_b64 s[20:21], src_private_base
	s_and_b64 s[22:23], s[6:7], exec
	s_cselect_b32 s20, s21, s17
	v_mov_b32_e32 v1, 0
	v_mov_b32_e32 v2, s16
	v_cndmask_b32_e64 v2, v2, v1, s[6:7]
	v_mov_b32_e32 v3, s20
	flat_load_dwordx2 v[22:23], v[2:3]
	s_and_b64 vcc, exec, s[10:11]
	v_pk_mov_b32 v[24:25], s[18:19], s[18:19] op_sel:[0,1]
	s_cbranch_vccnz .LBB68_3
; %bb.2:
	v_pk_mov_b32 v[2:3], s[16:17], s[16:17] op_sel:[0,1]
	flat_load_dwordx2 v[24:25], v[2:3] offset:8
.LBB68_3:
	s_bitcmp1_b32 s9, 8
	s_cselect_b64 s[24:25], -1, 0
	s_bfe_u32 s9, s9, 0x10008
	s_cmp_eq_u32 s9, 0
	v_pk_mov_b32 v[20:21], v[18:19], v[18:19] op_sel:[0,1]
	s_cbranch_scc1 .LBB68_6
; %bb.4:
	s_mov_b64 s[16:17], src_private_base
	s_and_b64 s[18:19], s[6:7], exec
	s_cselect_b32 s9, s17, s13
	v_mov_b32_e32 v1, 8
	v_mov_b32_e32 v2, s12
	v_cndmask_b32_e64 v2, v2, v1, s[6:7]
	v_mov_b32_e32 v3, s9
	flat_load_dwordx2 v[20:21], v[2:3]
	s_and_b64 vcc, exec, s[10:11]
	v_pk_mov_b32 v[18:19], s[14:15], s[14:15] op_sel:[0,1]
	s_cbranch_vccnz .LBB68_6
; %bb.5:
	v_pk_mov_b32 v[2:3], s[12:13], s[12:13] op_sel:[0,1]
	flat_load_dwordx2 v[18:19], v[2:3] offset:8
.LBB68_6:
	s_load_dword s33, s[4:5], 0x8
	v_cmp_gt_u32_e64 s[6:7], 64, v0
	v_lshl_add_u32 v1, v0, 2, 0
	s_and_saveexec_b64 s[10:11], s[6:7]
	s_cbranch_execz .LBB68_8
; %bb.7:
	s_waitcnt lgkmcnt(0)
	v_mov_b32_e32 v2, s33
	ds_write_b32 v1, v2
.LBB68_8:
	s_or_b64 exec, exec, s[10:11]
	s_load_dwordx4 s[20:23], s[4:5], 0xa0
	s_load_dwordx2 s[10:11], s[4:5], 0x18
	s_movk_i32 s9, 0x100
	v_cmp_gt_u32_e32 vcc, s9, v0
	s_and_saveexec_b64 s[12:13], vcc
	s_cbranch_execz .LBB68_10
; %bb.9:
	s_mov_b32 s14, 0
	s_mov_b32 s15, s14
	;; [unrolled: 1-line block ×4, first 2 shown]
	v_lshl_add_u32 v6, v0, 4, 0
	v_pk_mov_b32 v[2:3], s[14:15], s[14:15] op_sel:[0,1]
	v_pk_mov_b32 v[4:5], s[16:17], s[16:17] op_sel:[0,1]
	ds_write2_b64 v6, v[2:3], v[4:5] offset0:32 offset1:33
.LBB68_10:
	s_or_b64 exec, exec, s[12:13]
	s_waitcnt lgkmcnt(0)
	s_cmp_eq_u64 s[10:11], 0
	s_barrier
	s_cbranch_scc1 .LBB68_12
; %bb.11:
	s_load_dwordx2 s[12:13], s[4:5], 0x10
	s_waitcnt lgkmcnt(0)
	s_load_dword s9, s[12:13], 0x0
	s_waitcnt lgkmcnt(0)
	s_add_i32 s8, s9, s8
	s_mov_b32 s9, 0
	s_lshl_b64 s[8:9], s[8:9], 2
	s_add_u32 s8, s10, s8
	s_addc_u32 s9, s11, s9
	s_load_dword s8, s[8:9], 0x0
.LBB68_12:
	s_nop 0
	s_load_dword s48, s[4:5], 0x0
	s_andn2_b64 vcc, exec, s[26:27]
	s_waitcnt lgkmcnt(0)
	s_ashr_i32 s9, s8, 31
	s_cbranch_vccnz .LBB68_68
; %bb.13:
	s_load_dwordx2 s[10:11], s[4:5], 0x30
	s_lshl_b64 s[12:13], s[8:9], 2
	v_lshrrev_b32_e32 v2, 4, v0
	v_subrev_u32_e32 v2, s20, v2
	s_waitcnt lgkmcnt(0)
	s_add_u32 s10, s10, s12
	s_addc_u32 s11, s11, s13
	s_load_dwordx2 s[10:11], s[10:11], 0x0
	s_waitcnt lgkmcnt(0)
	s_sub_i32 s49, s11, s20
	v_add_u32_e32 v26, s10, v2
	v_cmp_gt_i32_e32 vcc, s49, v26
	s_and_saveexec_b64 s[10:11], vcc
	s_cbranch_execz .LBB68_67
; %bb.14:
	s_load_dwordx2 s[26:27], s[4:5], 0x58
	s_load_dwordx8 s[12:19], s[4:5], 0x38
	v_and_b32_e32 v2, 15, v0
	s_cmp_eq_u32 s48, 0
	v_subrev_u32_e32 v51, s21, v2
	s_cselect_b32 s50, 1, 2
	s_cselect_b32 s51, 2, 1
	s_mov_b64 s[28:29], 0
	s_waitcnt lgkmcnt(0)
	v_mov_b32_e32 v52, s13
	v_mov_b32_e32 v53, s17
	s_branch .LBB68_16
.LBB68_15:                              ;   in Loop: Header=BB68_16 Depth=1
	s_or_b64 exec, exec, s[30:31]
	v_add_u32_e32 v26, 16, v26
	v_cmp_le_i32_e32 vcc, s49, v26
	s_or_b64 s[28:29], vcc, s[28:29]
	s_andn2_b64 exec, exec, s[28:29]
	s_cbranch_execz .LBB68_67
.LBB68_16:                              ; =>This Loop Header: Depth=1
                                        ;     Child Loop BB68_19 Depth 2
                                        ;       Child Loop BB68_21 Depth 3
                                        ;       Child Loop BB68_33 Depth 3
	;; [unrolled: 1-line block ×4, first 2 shown]
	v_ashrrev_i32_e32 v27, 31, v26
	v_lshlrev_b64 v[2:3], 2, v[26:27]
	v_add_co_u32_e32 v2, vcc, s12, v2
	v_addc_co_u32_e32 v3, vcc, v52, v3, vcc
	global_load_dword v2, v[2:3], off
	s_waitcnt vmcnt(0)
	v_subrev_u32_e32 v2, s20, v2
	v_ashrrev_i32_e32 v3, 31, v2
	v_lshlrev_b64 v[2:3], 2, v[2:3]
	v_add_co_u32_e32 v2, vcc, s16, v2
	v_addc_co_u32_e32 v3, vcc, v53, v3, vcc
	global_load_dwordx2 v[2:3], v[2:3], off
	s_waitcnt vmcnt(0)
	v_subrev_u32_e32 v27, s21, v3
	v_add_u32_e32 v28, v2, v51
	v_cmp_lt_i32_e32 vcc, v28, v27
	s_and_saveexec_b64 s[30:31], vcc
	s_cbranch_execz .LBB68_15
; %bb.17:                               ;   in Loop: Header=BB68_16 Depth=1
	v_lshlrev_b32_e32 v14, 2, v26
	v_ashrrev_i32_e32 v15, 31, v14
	v_lshlrev_b64 v[2:3], 4, v[14:15]
	v_mov_b32_e32 v16, s15
	v_add_co_u32_e32 v10, vcc, s14, v2
	v_addc_co_u32_e32 v11, vcc, v16, v3, vcc
	global_load_dwordx4 v[2:5], v[10:11], off
	global_load_dwordx4 v[6:9], v[10:11], off offset:48
	v_or_b32_e32 v10, s50, v14
	v_ashrrev_i32_e32 v11, 31, v10
	v_lshlrev_b64 v[10:11], 4, v[10:11]
	v_or_b32_e32 v14, s51, v14
	v_add_co_u32_e32 v10, vcc, s14, v10
	v_ashrrev_i32_e32 v15, 31, v14
	v_addc_co_u32_e32 v11, vcc, v16, v11, vcc
	v_lshlrev_b64 v[14:15], 4, v[14:15]
	v_add_co_u32_e32 v14, vcc, s14, v14
	v_addc_co_u32_e32 v15, vcc, v16, v15, vcc
	global_load_dwordx4 v[10:13], v[10:11], off
	s_mov_b64 s[34:35], 0
	global_load_dwordx4 v[14:17], v[14:15], off
	s_waitcnt vmcnt(3)
	v_mul_f64 v[30:31], v[4:5], -v[24:25]
	v_mul_f64 v[32:33], v[22:23], v[4:5]
	s_waitcnt vmcnt(2)
	v_mul_f64 v[34:35], v[8:9], -v[24:25]
	v_mul_f64 v[36:37], v[22:23], v[8:9]
	v_fmac_f64_e32 v[30:31], v[22:23], v[2:3]
	v_fmac_f64_e32 v[32:33], v[24:25], v[2:3]
	;; [unrolled: 1-line block ×4, first 2 shown]
	s_waitcnt vmcnt(1)
	v_mul_f64 v[38:39], v[12:13], -v[24:25]
	v_mul_f64 v[40:41], v[22:23], v[12:13]
	s_waitcnt vmcnt(0)
	v_mul_f64 v[42:43], v[16:17], -v[24:25]
	v_mul_f64 v[44:45], v[22:23], v[16:17]
	v_fmac_f64_e32 v[38:39], v[22:23], v[10:11]
	v_fmac_f64_e32 v[40:41], v[24:25], v[10:11]
	;; [unrolled: 1-line block ×4, first 2 shown]
	s_branch .LBB68_19
.LBB68_18:                              ;   in Loop: Header=BB68_19 Depth=2
	s_or_b64 exec, exec, s[36:37]
	v_add_u32_e32 v28, 16, v28
	v_cmp_ge_i32_e32 vcc, v28, v27
	s_or_b64 s[34:35], vcc, s[34:35]
	s_andn2_b64 exec, exec, s[34:35]
	s_cbranch_execz .LBB68_15
.LBB68_19:                              ;   Parent Loop BB68_16 Depth=1
                                        ; =>  This Loop Header: Depth=2
                                        ;       Child Loop BB68_21 Depth 3
                                        ;       Child Loop BB68_33 Depth 3
	;; [unrolled: 1-line block ×4, first 2 shown]
	v_ashrrev_i32_e32 v29, 31, v28
	v_lshlrev_b64 v[2:3], 2, v[28:29]
	v_mov_b32_e32 v4, s19
	v_add_co_u32_e32 v2, vcc, s18, v2
	v_addc_co_u32_e32 v3, vcc, v4, v3, vcc
	global_load_dword v29, v[2:3], off
	v_lshlrev_b32_e32 v2, 2, v28
	v_or_b32_e32 v6, s51, v2
	v_ashrrev_i32_e32 v7, 31, v6
	v_lshlrev_b64 v[6:7], 4, v[6:7]
	v_ashrrev_i32_e32 v3, 31, v2
	v_mov_b32_e32 v8, s27
	v_add_co_u32_e32 v6, vcc, s26, v6
	v_or_b32_e32 v4, s50, v2
	v_lshlrev_b64 v[2:3], 4, v[2:3]
	v_addc_co_u32_e32 v7, vcc, v8, v7, vcc
	global_load_dwordx4 v[14:17], v[6:7], off
	v_add_co_u32_e32 v46, vcc, s26, v2
	v_ashrrev_i32_e32 v5, 31, v4
	v_addc_co_u32_e32 v47, vcc, v8, v3, vcc
	global_load_dwordx4 v[10:13], v[46:47], off
	v_lshlrev_b64 v[2:3], 4, v[4:5]
	v_add_co_u32_e32 v48, vcc, s26, v2
	v_addc_co_u32_e32 v49, vcc, v8, v3, vcc
	global_load_dwordx4 v[2:5], v[48:49], off
	global_load_dwordx4 v[6:9], v[46:47], off offset:48
	s_mov_b64 s[36:37], 0
	s_waitcnt vmcnt(4)
	v_subrev_u32_e32 v29, s21, v29
	v_lshl_add_u32 v50, v29, 3, v29
	v_and_b32_e32 v54, 63, v50
	v_mov_b32_e32 v55, v54
	s_waitcnt vmcnt(3)
	v_mul_f64 v[48:49], v[16:17], -v[40:41]
	v_mul_f64 v[46:47], v[38:39], v[16:17]
	v_fmac_f64_e32 v[48:49], v[38:39], v[14:15]
	v_fmac_f64_e32 v[46:47], v[40:41], v[14:15]
	s_waitcnt vmcnt(2)
	v_fmac_f64_e32 v[48:49], v[30:31], v[10:11]
	v_fmac_f64_e32 v[46:47], v[32:33], v[10:11]
	v_fma_f64 v[48:49], -v[32:33], v[12:13], v[48:49]
	v_fmac_f64_e32 v[46:47], v[30:31], v[12:13]
	s_branch .LBB68_21
.LBB68_20:                              ;   in Loop: Header=BB68_21 Depth=3
	s_or_b64 exec, exec, s[38:39]
	s_xor_b64 s[38:39], s[40:41], -1
	s_and_b64 s[38:39], exec, s[38:39]
	s_or_b64 s[36:37], s[38:39], s[36:37]
	s_andn2_b64 exec, exec, s[36:37]
	s_cbranch_execz .LBB68_31
.LBB68_21:                              ;   Parent Loop BB68_16 Depth=1
                                        ;     Parent Loop BB68_19 Depth=2
                                        ; =>    This Inner Loop Header: Depth=3
	v_lshl_add_u32 v50, v55, 2, 0
	ds_read_b32 v56, v50
                                        ; implicit-def: $sgpr40_sgpr41
	s_waitcnt lgkmcnt(0)
	v_cmp_ne_u32_e32 vcc, v56, v29
	s_and_saveexec_b64 s[38:39], vcc
	s_xor_b64 s[38:39], exec, s[38:39]
	s_cbranch_execz .LBB68_29
; %bb.22:                               ;   in Loop: Header=BB68_21 Depth=3
	v_cmp_ne_u32_e32 vcc, s33, v56
                                        ; implicit-def: $sgpr40_sgpr41
	s_and_saveexec_b64 s[42:43], vcc
	s_xor_b64 s[42:43], exec, s[42:43]
; %bb.23:                               ;   in Loop: Header=BB68_21 Depth=3
	v_add_u32_e32 v50, 1, v55
	v_and_b32_e32 v55, 63, v50
	s_mov_b64 s[40:41], -1
                                        ; implicit-def: $vgpr50
; %bb.24:                               ;   in Loop: Header=BB68_21 Depth=3
	s_andn2_saveexec_b64 s[42:43], s[42:43]
	s_cbranch_execz .LBB68_28
; %bb.25:                               ;   in Loop: Header=BB68_21 Depth=3
	v_mov_b32_e32 v56, s33
	ds_cmpst_rtn_b32 v56, v50, v56, v29
	s_mov_b64 s[46:47], -1
	s_waitcnt lgkmcnt(0)
	v_cmp_eq_u32_e32 vcc, s33, v56
	s_and_saveexec_b64 s[44:45], vcc
	s_cbranch_execz .LBB68_27
; %bb.26:                               ;   in Loop: Header=BB68_21 Depth=3
	v_mad_u64_u32 v[56:57], s[46:47], v55, 60, v[50:51]
	ds_add_f64 v56, v[48:49] offset:256
	ds_add_f64 v56, v[46:47] offset:264
	s_xor_b64 s[46:47], exec, -1
.LBB68_27:                              ;   in Loop: Header=BB68_21 Depth=3
	s_or_b64 exec, exec, s[44:45]
	s_andn2_b64 s[40:41], s[40:41], exec
	s_and_b64 s[44:45], s[46:47], exec
	s_or_b64 s[40:41], s[40:41], s[44:45]
.LBB68_28:                              ;   in Loop: Header=BB68_21 Depth=3
	s_or_b64 exec, exec, s[42:43]
	s_and_b64 s[40:41], s[40:41], exec
                                        ; implicit-def: $vgpr50
.LBB68_29:                              ;   in Loop: Header=BB68_21 Depth=3
	s_andn2_saveexec_b64 s[38:39], s[38:39]
	s_cbranch_execz .LBB68_20
; %bb.30:                               ;   in Loop: Header=BB68_21 Depth=3
	v_mad_u64_u32 v[56:57], s[42:43], v55, 60, v[50:51]
	ds_add_f64 v56, v[48:49] offset:256
	ds_add_f64 v56, v[46:47] offset:264
	s_andn2_b64 s[40:41], s[40:41], exec
	s_branch .LBB68_20
.LBB68_31:                              ;   in Loop: Header=BB68_19 Depth=2
	s_or_b64 exec, exec, s[36:37]
	s_waitcnt vmcnt(0)
	v_mul_f64 v[48:49], v[8:9], -v[40:41]
	v_mul_f64 v[46:47], v[38:39], v[8:9]
	v_fmac_f64_e32 v[48:49], v[38:39], v[6:7]
	v_fmac_f64_e32 v[46:47], v[40:41], v[6:7]
	;; [unrolled: 1-line block ×4, first 2 shown]
	v_fma_f64 v[48:49], -v[32:33], v[4:5], v[48:49]
	v_fmac_f64_e32 v[46:47], v[30:31], v[4:5]
	s_mov_b64 s[36:37], 0
	v_mov_b32_e32 v55, v54
	s_branch .LBB68_33
.LBB68_32:                              ;   in Loop: Header=BB68_33 Depth=3
	s_or_b64 exec, exec, s[38:39]
	s_xor_b64 s[38:39], s[40:41], -1
	s_and_b64 s[38:39], exec, s[38:39]
	s_or_b64 s[36:37], s[38:39], s[36:37]
	s_andn2_b64 exec, exec, s[36:37]
	s_cbranch_execz .LBB68_43
.LBB68_33:                              ;   Parent Loop BB68_16 Depth=1
                                        ;     Parent Loop BB68_19 Depth=2
                                        ; =>    This Inner Loop Header: Depth=3
	v_lshl_add_u32 v50, v55, 2, 0
	ds_read_b32 v56, v50
                                        ; implicit-def: $sgpr40_sgpr41
	s_waitcnt lgkmcnt(0)
	v_cmp_ne_u32_e32 vcc, v56, v29
	s_and_saveexec_b64 s[38:39], vcc
	s_xor_b64 s[38:39], exec, s[38:39]
	s_cbranch_execz .LBB68_41
; %bb.34:                               ;   in Loop: Header=BB68_33 Depth=3
	v_cmp_ne_u32_e32 vcc, s33, v56
                                        ; implicit-def: $sgpr40_sgpr41
	s_and_saveexec_b64 s[42:43], vcc
	s_xor_b64 s[42:43], exec, s[42:43]
; %bb.35:                               ;   in Loop: Header=BB68_33 Depth=3
	v_add_u32_e32 v50, 1, v55
	v_and_b32_e32 v55, 63, v50
	s_mov_b64 s[40:41], -1
                                        ; implicit-def: $vgpr50
; %bb.36:                               ;   in Loop: Header=BB68_33 Depth=3
	s_andn2_saveexec_b64 s[42:43], s[42:43]
	s_cbranch_execz .LBB68_40
; %bb.37:                               ;   in Loop: Header=BB68_33 Depth=3
	v_mov_b32_e32 v56, s33
	ds_cmpst_rtn_b32 v56, v50, v56, v29
	s_mov_b64 s[46:47], -1
	s_waitcnt lgkmcnt(0)
	v_cmp_eq_u32_e32 vcc, s33, v56
	s_and_saveexec_b64 s[44:45], vcc
	s_cbranch_execz .LBB68_39
; %bb.38:                               ;   in Loop: Header=BB68_33 Depth=3
	v_mad_u64_u32 v[56:57], s[46:47], v55, 60, v[50:51]
	ds_add_f64 v56, v[48:49] offset:272
	ds_add_f64 v56, v[46:47] offset:280
	s_xor_b64 s[46:47], exec, -1
.LBB68_39:                              ;   in Loop: Header=BB68_33 Depth=3
	s_or_b64 exec, exec, s[44:45]
	s_andn2_b64 s[40:41], s[40:41], exec
	s_and_b64 s[44:45], s[46:47], exec
	s_or_b64 s[40:41], s[40:41], s[44:45]
.LBB68_40:                              ;   in Loop: Header=BB68_33 Depth=3
	s_or_b64 exec, exec, s[42:43]
	s_and_b64 s[40:41], s[40:41], exec
                                        ; implicit-def: $vgpr50
.LBB68_41:                              ;   in Loop: Header=BB68_33 Depth=3
	s_andn2_saveexec_b64 s[38:39], s[38:39]
	s_cbranch_execz .LBB68_32
; %bb.42:                               ;   in Loop: Header=BB68_33 Depth=3
	v_mad_u64_u32 v[56:57], s[42:43], v55, 60, v[50:51]
	ds_add_f64 v56, v[48:49] offset:272
	ds_add_f64 v56, v[46:47] offset:280
	s_andn2_b64 s[40:41], s[40:41], exec
	s_branch .LBB68_32
.LBB68_43:                              ;   in Loop: Header=BB68_19 Depth=2
	s_or_b64 exec, exec, s[36:37]
	v_mul_f64 v[46:47], v[16:17], -v[36:37]
	v_mul_f64 v[16:17], v[34:35], v[16:17]
	v_fmac_f64_e32 v[46:47], v[34:35], v[14:15]
	v_fmac_f64_e32 v[16:17], v[36:37], v[14:15]
	;; [unrolled: 1-line block ×4, first 2 shown]
	v_fma_f64 v[14:15], -v[44:45], v[12:13], v[46:47]
	v_fmac_f64_e32 v[16:17], v[42:43], v[12:13]
	s_mov_b64 s[36:37], 0
	v_mov_b32_e32 v11, v54
	s_branch .LBB68_45
.LBB68_44:                              ;   in Loop: Header=BB68_45 Depth=3
	s_or_b64 exec, exec, s[38:39]
	s_xor_b64 s[38:39], s[40:41], -1
	s_and_b64 s[38:39], exec, s[38:39]
	s_or_b64 s[36:37], s[38:39], s[36:37]
	s_andn2_b64 exec, exec, s[36:37]
	s_cbranch_execz .LBB68_55
.LBB68_45:                              ;   Parent Loop BB68_16 Depth=1
                                        ;     Parent Loop BB68_19 Depth=2
                                        ; =>    This Inner Loop Header: Depth=3
	v_lshl_add_u32 v10, v11, 2, 0
	ds_read_b32 v12, v10
                                        ; implicit-def: $sgpr40_sgpr41
	s_waitcnt lgkmcnt(0)
	v_cmp_ne_u32_e32 vcc, v12, v29
	s_and_saveexec_b64 s[38:39], vcc
	s_xor_b64 s[38:39], exec, s[38:39]
	s_cbranch_execz .LBB68_53
; %bb.46:                               ;   in Loop: Header=BB68_45 Depth=3
	v_cmp_ne_u32_e32 vcc, s33, v12
                                        ; implicit-def: $sgpr40_sgpr41
	s_and_saveexec_b64 s[42:43], vcc
	s_xor_b64 s[42:43], exec, s[42:43]
; %bb.47:                               ;   in Loop: Header=BB68_45 Depth=3
	v_add_u32_e32 v10, 1, v11
	v_and_b32_e32 v11, 63, v10
	s_mov_b64 s[40:41], -1
                                        ; implicit-def: $vgpr10
; %bb.48:                               ;   in Loop: Header=BB68_45 Depth=3
	s_andn2_saveexec_b64 s[42:43], s[42:43]
	s_cbranch_execz .LBB68_52
; %bb.49:                               ;   in Loop: Header=BB68_45 Depth=3
	v_mov_b32_e32 v12, s33
	ds_cmpst_rtn_b32 v12, v10, v12, v29
	s_mov_b64 s[46:47], -1
	s_waitcnt lgkmcnt(0)
	v_cmp_eq_u32_e32 vcc, s33, v12
	s_and_saveexec_b64 s[44:45], vcc
	s_cbranch_execz .LBB68_51
; %bb.50:                               ;   in Loop: Header=BB68_45 Depth=3
	v_mad_u64_u32 v[12:13], s[46:47], v11, 60, v[10:11]
	ds_add_f64 v12, v[14:15] offset:288
	ds_add_f64 v12, v[16:17] offset:296
	s_xor_b64 s[46:47], exec, -1
.LBB68_51:                              ;   in Loop: Header=BB68_45 Depth=3
	s_or_b64 exec, exec, s[44:45]
	s_andn2_b64 s[40:41], s[40:41], exec
	s_and_b64 s[44:45], s[46:47], exec
	s_or_b64 s[40:41], s[40:41], s[44:45]
.LBB68_52:                              ;   in Loop: Header=BB68_45 Depth=3
	s_or_b64 exec, exec, s[42:43]
	s_and_b64 s[40:41], s[40:41], exec
                                        ; implicit-def: $vgpr10
.LBB68_53:                              ;   in Loop: Header=BB68_45 Depth=3
	s_andn2_saveexec_b64 s[38:39], s[38:39]
	s_cbranch_execz .LBB68_44
; %bb.54:                               ;   in Loop: Header=BB68_45 Depth=3
	v_mad_u64_u32 v[12:13], s[42:43], v11, 60, v[10:11]
	ds_add_f64 v12, v[14:15] offset:288
	ds_add_f64 v12, v[16:17] offset:296
	s_andn2_b64 s[40:41], s[40:41], exec
	s_branch .LBB68_44
.LBB68_55:                              ;   in Loop: Header=BB68_19 Depth=2
	s_or_b64 exec, exec, s[36:37]
	v_mul_f64 v[10:11], v[8:9], -v[36:37]
	v_mul_f64 v[8:9], v[34:35], v[8:9]
	v_fmac_f64_e32 v[10:11], v[34:35], v[6:7]
	v_fmac_f64_e32 v[8:9], v[36:37], v[6:7]
	;; [unrolled: 1-line block ×4, first 2 shown]
	v_fma_f64 v[6:7], -v[44:45], v[4:5], v[10:11]
	v_fmac_f64_e32 v[8:9], v[42:43], v[4:5]
	s_mov_b64 s[36:37], 0
	s_branch .LBB68_57
.LBB68_56:                              ;   in Loop: Header=BB68_57 Depth=3
	s_or_b64 exec, exec, s[38:39]
	s_xor_b64 s[38:39], s[40:41], -1
	s_and_b64 s[38:39], exec, s[38:39]
	s_or_b64 s[36:37], s[38:39], s[36:37]
	s_andn2_b64 exec, exec, s[36:37]
	s_cbranch_execz .LBB68_18
.LBB68_57:                              ;   Parent Loop BB68_16 Depth=1
                                        ;     Parent Loop BB68_19 Depth=2
                                        ; =>    This Inner Loop Header: Depth=3
	v_lshl_add_u32 v2, v54, 2, 0
	ds_read_b32 v3, v2
                                        ; implicit-def: $sgpr40_sgpr41
	s_waitcnt lgkmcnt(0)
	v_cmp_ne_u32_e32 vcc, v3, v29
	s_and_saveexec_b64 s[38:39], vcc
	s_xor_b64 s[38:39], exec, s[38:39]
	s_cbranch_execz .LBB68_65
; %bb.58:                               ;   in Loop: Header=BB68_57 Depth=3
	v_cmp_ne_u32_e32 vcc, s33, v3
                                        ; implicit-def: $sgpr40_sgpr41
	s_and_saveexec_b64 s[42:43], vcc
	s_xor_b64 s[42:43], exec, s[42:43]
; %bb.59:                               ;   in Loop: Header=BB68_57 Depth=3
	v_add_u32_e32 v2, 1, v54
	v_and_b32_e32 v54, 63, v2
	s_mov_b64 s[40:41], -1
                                        ; implicit-def: $vgpr2
; %bb.60:                               ;   in Loop: Header=BB68_57 Depth=3
	s_andn2_saveexec_b64 s[42:43], s[42:43]
	s_cbranch_execz .LBB68_64
; %bb.61:                               ;   in Loop: Header=BB68_57 Depth=3
	v_mov_b32_e32 v3, s33
	ds_cmpst_rtn_b32 v3, v2, v3, v29
	s_mov_b64 s[46:47], -1
	s_waitcnt lgkmcnt(0)
	v_cmp_eq_u32_e32 vcc, s33, v3
	s_and_saveexec_b64 s[44:45], vcc
	s_cbranch_execz .LBB68_63
; %bb.62:                               ;   in Loop: Header=BB68_57 Depth=3
	v_mad_u64_u32 v[2:3], s[46:47], v54, 60, v[2:3]
	ds_add_f64 v2, v[6:7] offset:304
	ds_add_f64 v2, v[8:9] offset:312
	s_xor_b64 s[46:47], exec, -1
.LBB68_63:                              ;   in Loop: Header=BB68_57 Depth=3
	s_or_b64 exec, exec, s[44:45]
	s_andn2_b64 s[40:41], s[40:41], exec
	s_and_b64 s[44:45], s[46:47], exec
	s_or_b64 s[40:41], s[40:41], s[44:45]
.LBB68_64:                              ;   in Loop: Header=BB68_57 Depth=3
	s_or_b64 exec, exec, s[42:43]
	s_and_b64 s[40:41], s[40:41], exec
                                        ; implicit-def: $vgpr2
.LBB68_65:                              ;   in Loop: Header=BB68_57 Depth=3
	s_andn2_saveexec_b64 s[38:39], s[38:39]
	s_cbranch_execz .LBB68_56
; %bb.66:                               ;   in Loop: Header=BB68_57 Depth=3
	v_mad_u64_u32 v[2:3], s[42:43], v54, 60, v[2:3]
	ds_add_f64 v2, v[6:7] offset:304
	ds_add_f64 v2, v[8:9] offset:312
	s_andn2_b64 s[40:41], s[40:41], exec
	s_branch .LBB68_56
.LBB68_67:
	s_or_b64 exec, exec, s[10:11]
.LBB68_68:
	s_andn2_b64 vcc, exec, s[24:25]
	s_waitcnt lgkmcnt(0)
	s_barrier
	s_cbranch_vccnz .LBB68_121
; %bb.69:
	s_load_dwordx2 s[10:11], s[4:5], 0x70
	s_lshl_b64 s[12:13], s[8:9], 2
	v_subrev_u32_e32 v2, s23, v0
	s_waitcnt lgkmcnt(0)
	s_add_u32 s10, s10, s12
	s_addc_u32 s11, s11, s13
	s_load_dwordx2 s[10:11], s[10:11], 0x0
	s_waitcnt lgkmcnt(0)
	s_sub_i32 s34, s11, s23
	v_add_u32_e32 v14, s10, v2
	v_cmp_gt_i32_e32 vcc, s34, v14
	s_and_saveexec_b64 s[10:11], vcc
	s_cbranch_execz .LBB68_120
; %bb.70:
	s_load_dwordx4 s[12:15], s[4:5], 0x78
	s_cmp_eq_u32 s48, 0
	s_mov_b64 s[16:17], 0
	s_cselect_b32 s35, 1, 2
	s_cselect_b32 s36, 2, 1
	s_waitcnt vmcnt(0) lgkmcnt(0)
	v_mov_b32_e32 v25, s15
	v_mov_b32_e32 v26, s13
	s_branch .LBB68_72
.LBB68_71:                              ;   in Loop: Header=BB68_72 Depth=1
	s_or_b64 exec, exec, s[18:19]
	v_add_u32_e32 v14, 0x100, v14
	v_cmp_le_i32_e32 vcc, s34, v14
	s_or_b64 s[16:17], vcc, s[16:17]
	s_andn2_b64 exec, exec, s[16:17]
	s_cbranch_execz .LBB68_120
.LBB68_72:                              ; =>This Loop Header: Depth=1
                                        ;     Child Loop BB68_74 Depth 2
                                        ;     Child Loop BB68_86 Depth 2
	;; [unrolled: 1-line block ×4, first 2 shown]
	v_lshlrev_b32_e32 v6, 2, v14
	v_ashrrev_i32_e32 v7, 31, v6
	v_lshlrev_b64 v[2:3], 4, v[6:7]
	v_add_co_u32_e32 v8, vcc, s14, v2
	v_addc_co_u32_e32 v9, vcc, v25, v3, vcc
	global_load_dwordx4 v[28:31], v[8:9], off
	global_load_dwordx4 v[2:5], v[8:9], off offset:48
	v_or_b32_e32 v8, s35, v6
	v_ashrrev_i32_e32 v9, 31, v8
	v_lshlrev_b64 v[8:9], 4, v[8:9]
	v_ashrrev_i32_e32 v15, 31, v14
	v_add_co_u32_e32 v16, vcc, s14, v8
	v_addc_co_u32_e32 v17, vcc, v25, v9, vcc
	v_lshlrev_b64 v[8:9], 2, v[14:15]
	v_add_co_u32_e32 v8, vcc, s12, v8
	v_addc_co_u32_e32 v9, vcc, v26, v9, vcc
	global_load_dword v15, v[8:9], off
	v_or_b32_e32 v6, s36, v6
	v_ashrrev_i32_e32 v7, 31, v6
	v_lshlrev_b64 v[6:7], 4, v[6:7]
	v_add_co_u32_e32 v22, vcc, s14, v6
	v_addc_co_u32_e32 v23, vcc, v25, v7, vcc
	global_load_dwordx4 v[10:13], v[16:17], off
	global_load_dwordx4 v[6:9], v[22:23], off
	s_mov_b64 s[18:19], 0
	s_waitcnt vmcnt(4)
	v_mul_f64 v[16:17], v[30:31], -v[18:19]
	v_mul_f64 v[22:23], v[20:21], v[30:31]
	v_fmac_f64_e32 v[16:17], v[20:21], v[28:29]
	v_fmac_f64_e32 v[22:23], v[18:19], v[28:29]
	s_waitcnt vmcnt(2)
	v_subrev_u32_e32 v15, s23, v15
	v_lshl_add_u32 v24, v15, 3, v15
	v_and_b32_e32 v27, 63, v24
	v_mov_b32_e32 v28, v27
	s_branch .LBB68_74
.LBB68_73:                              ;   in Loop: Header=BB68_74 Depth=2
	s_or_b64 exec, exec, s[20:21]
	s_xor_b64 s[20:21], s[24:25], -1
	s_and_b64 s[20:21], exec, s[20:21]
	s_or_b64 s[18:19], s[20:21], s[18:19]
	s_andn2_b64 exec, exec, s[18:19]
	s_cbranch_execz .LBB68_84
.LBB68_74:                              ;   Parent Loop BB68_72 Depth=1
                                        ; =>  This Inner Loop Header: Depth=2
	v_lshl_add_u32 v24, v28, 2, 0
	ds_read_b32 v29, v24
                                        ; implicit-def: $sgpr24_sgpr25
	s_waitcnt lgkmcnt(0)
	v_cmp_ne_u32_e32 vcc, v29, v15
	s_and_saveexec_b64 s[20:21], vcc
	s_xor_b64 s[20:21], exec, s[20:21]
	s_cbranch_execz .LBB68_82
; %bb.75:                               ;   in Loop: Header=BB68_74 Depth=2
	v_cmp_ne_u32_e32 vcc, s33, v29
                                        ; implicit-def: $sgpr24_sgpr25
	s_and_saveexec_b64 s[26:27], vcc
	s_xor_b64 s[26:27], exec, s[26:27]
; %bb.76:                               ;   in Loop: Header=BB68_74 Depth=2
	v_add_u32_e32 v24, 1, v28
	v_and_b32_e32 v28, 63, v24
	s_mov_b64 s[24:25], -1
                                        ; implicit-def: $vgpr24
; %bb.77:                               ;   in Loop: Header=BB68_74 Depth=2
	s_andn2_saveexec_b64 s[26:27], s[26:27]
	s_cbranch_execz .LBB68_81
; %bb.78:                               ;   in Loop: Header=BB68_74 Depth=2
	v_mov_b32_e32 v29, s33
	ds_cmpst_rtn_b32 v29, v24, v29, v15
	s_mov_b64 s[30:31], -1
	s_waitcnt lgkmcnt(0)
	v_cmp_eq_u32_e32 vcc, s33, v29
	s_and_saveexec_b64 s[28:29], vcc
	s_cbranch_execz .LBB68_80
; %bb.79:                               ;   in Loop: Header=BB68_74 Depth=2
	v_mad_u64_u32 v[30:31], s[30:31], v28, 60, v[24:25]
	ds_add_f64 v30, v[16:17] offset:256
	ds_add_f64 v30, v[22:23] offset:264
	s_xor_b64 s[30:31], exec, -1
.LBB68_80:                              ;   in Loop: Header=BB68_74 Depth=2
	s_or_b64 exec, exec, s[28:29]
	s_andn2_b64 s[24:25], s[24:25], exec
	s_and_b64 s[28:29], s[30:31], exec
	s_or_b64 s[24:25], s[24:25], s[28:29]
.LBB68_81:                              ;   in Loop: Header=BB68_74 Depth=2
	s_or_b64 exec, exec, s[26:27]
	s_and_b64 s[24:25], s[24:25], exec
                                        ; implicit-def: $vgpr24
.LBB68_82:                              ;   in Loop: Header=BB68_74 Depth=2
	s_andn2_saveexec_b64 s[20:21], s[20:21]
	s_cbranch_execz .LBB68_73
; %bb.83:                               ;   in Loop: Header=BB68_74 Depth=2
	v_mad_u64_u32 v[30:31], s[26:27], v28, 60, v[24:25]
	ds_add_f64 v30, v[16:17] offset:256
	ds_add_f64 v30, v[22:23] offset:264
	s_andn2_b64 s[24:25], s[24:25], exec
	s_branch .LBB68_73
.LBB68_84:                              ;   in Loop: Header=BB68_72 Depth=1
	s_or_b64 exec, exec, s[18:19]
	s_waitcnt vmcnt(1)
	v_mul_f64 v[16:17], v[12:13], -v[18:19]
	v_mul_f64 v[12:13], v[20:21], v[12:13]
	v_fmac_f64_e32 v[16:17], v[20:21], v[10:11]
	v_fmac_f64_e32 v[12:13], v[18:19], v[10:11]
	s_mov_b64 s[18:19], 0
	v_mov_b32_e32 v11, v27
	s_branch .LBB68_86
.LBB68_85:                              ;   in Loop: Header=BB68_86 Depth=2
	s_or_b64 exec, exec, s[20:21]
	s_xor_b64 s[20:21], s[24:25], -1
	s_and_b64 s[20:21], exec, s[20:21]
	s_or_b64 s[18:19], s[20:21], s[18:19]
	s_andn2_b64 exec, exec, s[18:19]
	s_cbranch_execz .LBB68_96
.LBB68_86:                              ;   Parent Loop BB68_72 Depth=1
                                        ; =>  This Inner Loop Header: Depth=2
	v_lshl_add_u32 v10, v11, 2, 0
	ds_read_b32 v22, v10
                                        ; implicit-def: $sgpr24_sgpr25
	s_waitcnt lgkmcnt(0)
	v_cmp_ne_u32_e32 vcc, v22, v15
	s_and_saveexec_b64 s[20:21], vcc
	s_xor_b64 s[20:21], exec, s[20:21]
	s_cbranch_execz .LBB68_94
; %bb.87:                               ;   in Loop: Header=BB68_86 Depth=2
	v_cmp_ne_u32_e32 vcc, s33, v22
                                        ; implicit-def: $sgpr24_sgpr25
	s_and_saveexec_b64 s[26:27], vcc
	s_xor_b64 s[26:27], exec, s[26:27]
; %bb.88:                               ;   in Loop: Header=BB68_86 Depth=2
	v_add_u32_e32 v10, 1, v11
	v_and_b32_e32 v11, 63, v10
	s_mov_b64 s[24:25], -1
                                        ; implicit-def: $vgpr10
; %bb.89:                               ;   in Loop: Header=BB68_86 Depth=2
	s_andn2_saveexec_b64 s[26:27], s[26:27]
	s_cbranch_execz .LBB68_93
; %bb.90:                               ;   in Loop: Header=BB68_86 Depth=2
	v_mov_b32_e32 v22, s33
	ds_cmpst_rtn_b32 v22, v10, v22, v15
	s_mov_b64 s[30:31], -1
	s_waitcnt lgkmcnt(0)
	v_cmp_eq_u32_e32 vcc, s33, v22
	s_and_saveexec_b64 s[28:29], vcc
	s_cbranch_execz .LBB68_92
; %bb.91:                               ;   in Loop: Header=BB68_86 Depth=2
	v_mad_u64_u32 v[22:23], s[30:31], v11, 60, v[10:11]
	ds_add_f64 v22, v[16:17] offset:272
	ds_add_f64 v22, v[12:13] offset:280
	s_xor_b64 s[30:31], exec, -1
.LBB68_92:                              ;   in Loop: Header=BB68_86 Depth=2
	s_or_b64 exec, exec, s[28:29]
	s_andn2_b64 s[24:25], s[24:25], exec
	s_and_b64 s[28:29], s[30:31], exec
	s_or_b64 s[24:25], s[24:25], s[28:29]
.LBB68_93:                              ;   in Loop: Header=BB68_86 Depth=2
	s_or_b64 exec, exec, s[26:27]
	s_and_b64 s[24:25], s[24:25], exec
                                        ; implicit-def: $vgpr10
.LBB68_94:                              ;   in Loop: Header=BB68_86 Depth=2
	s_andn2_saveexec_b64 s[20:21], s[20:21]
	s_cbranch_execz .LBB68_85
; %bb.95:                               ;   in Loop: Header=BB68_86 Depth=2
	v_mad_u64_u32 v[22:23], s[26:27], v11, 60, v[10:11]
	ds_add_f64 v22, v[16:17] offset:272
	ds_add_f64 v22, v[12:13] offset:280
	s_andn2_b64 s[24:25], s[24:25], exec
	s_branch .LBB68_85
.LBB68_96:                              ;   in Loop: Header=BB68_72 Depth=1
	s_or_b64 exec, exec, s[18:19]
	s_waitcnt vmcnt(0)
	v_mul_f64 v[10:11], v[8:9], -v[18:19]
	v_mul_f64 v[8:9], v[20:21], v[8:9]
	v_fmac_f64_e32 v[10:11], v[20:21], v[6:7]
	v_fmac_f64_e32 v[8:9], v[18:19], v[6:7]
	s_mov_b64 s[18:19], 0
	v_mov_b32_e32 v7, v27
	s_branch .LBB68_98
.LBB68_97:                              ;   in Loop: Header=BB68_98 Depth=2
	s_or_b64 exec, exec, s[20:21]
	s_xor_b64 s[20:21], s[24:25], -1
	s_and_b64 s[20:21], exec, s[20:21]
	s_or_b64 s[18:19], s[20:21], s[18:19]
	s_andn2_b64 exec, exec, s[18:19]
	s_cbranch_execz .LBB68_108
.LBB68_98:                              ;   Parent Loop BB68_72 Depth=1
                                        ; =>  This Inner Loop Header: Depth=2
	v_lshl_add_u32 v6, v7, 2, 0
	ds_read_b32 v12, v6
                                        ; implicit-def: $sgpr24_sgpr25
	s_waitcnt lgkmcnt(0)
	v_cmp_ne_u32_e32 vcc, v12, v15
	s_and_saveexec_b64 s[20:21], vcc
	s_xor_b64 s[20:21], exec, s[20:21]
	s_cbranch_execz .LBB68_106
; %bb.99:                               ;   in Loop: Header=BB68_98 Depth=2
	v_cmp_ne_u32_e32 vcc, s33, v12
                                        ; implicit-def: $sgpr24_sgpr25
	s_and_saveexec_b64 s[26:27], vcc
	s_xor_b64 s[26:27], exec, s[26:27]
; %bb.100:                              ;   in Loop: Header=BB68_98 Depth=2
	v_add_u32_e32 v6, 1, v7
	v_and_b32_e32 v7, 63, v6
	s_mov_b64 s[24:25], -1
                                        ; implicit-def: $vgpr6
; %bb.101:                              ;   in Loop: Header=BB68_98 Depth=2
	s_andn2_saveexec_b64 s[26:27], s[26:27]
	s_cbranch_execz .LBB68_105
; %bb.102:                              ;   in Loop: Header=BB68_98 Depth=2
	v_mov_b32_e32 v12, s33
	ds_cmpst_rtn_b32 v12, v6, v12, v15
	s_mov_b64 s[30:31], -1
	s_waitcnt lgkmcnt(0)
	v_cmp_eq_u32_e32 vcc, s33, v12
	s_and_saveexec_b64 s[28:29], vcc
	s_cbranch_execz .LBB68_104
; %bb.103:                              ;   in Loop: Header=BB68_98 Depth=2
	v_mad_u64_u32 v[12:13], s[30:31], v7, 60, v[6:7]
	ds_add_f64 v12, v[10:11] offset:288
	ds_add_f64 v12, v[8:9] offset:296
	s_xor_b64 s[30:31], exec, -1
.LBB68_104:                             ;   in Loop: Header=BB68_98 Depth=2
	s_or_b64 exec, exec, s[28:29]
	s_andn2_b64 s[24:25], s[24:25], exec
	s_and_b64 s[28:29], s[30:31], exec
	s_or_b64 s[24:25], s[24:25], s[28:29]
.LBB68_105:                             ;   in Loop: Header=BB68_98 Depth=2
	s_or_b64 exec, exec, s[26:27]
	s_and_b64 s[24:25], s[24:25], exec
                                        ; implicit-def: $vgpr6
.LBB68_106:                             ;   in Loop: Header=BB68_98 Depth=2
	s_andn2_saveexec_b64 s[20:21], s[20:21]
	s_cbranch_execz .LBB68_97
; %bb.107:                              ;   in Loop: Header=BB68_98 Depth=2
	v_mad_u64_u32 v[12:13], s[26:27], v7, 60, v[6:7]
	ds_add_f64 v12, v[10:11] offset:288
	ds_add_f64 v12, v[8:9] offset:296
	s_andn2_b64 s[24:25], s[24:25], exec
	s_branch .LBB68_97
.LBB68_108:                             ;   in Loop: Header=BB68_72 Depth=1
	s_or_b64 exec, exec, s[18:19]
	v_mul_f64 v[6:7], v[4:5], -v[18:19]
	v_mul_f64 v[4:5], v[20:21], v[4:5]
	v_fmac_f64_e32 v[6:7], v[20:21], v[2:3]
	v_fmac_f64_e32 v[4:5], v[18:19], v[2:3]
	s_mov_b64 s[18:19], 0
	s_branch .LBB68_110
.LBB68_109:                             ;   in Loop: Header=BB68_110 Depth=2
	s_or_b64 exec, exec, s[20:21]
	s_xor_b64 s[20:21], s[24:25], -1
	s_and_b64 s[20:21], exec, s[20:21]
	s_or_b64 s[18:19], s[20:21], s[18:19]
	s_andn2_b64 exec, exec, s[18:19]
	s_cbranch_execz .LBB68_71
.LBB68_110:                             ;   Parent Loop BB68_72 Depth=1
                                        ; =>  This Inner Loop Header: Depth=2
	v_lshl_add_u32 v2, v27, 2, 0
	ds_read_b32 v3, v2
                                        ; implicit-def: $sgpr24_sgpr25
	s_waitcnt lgkmcnt(0)
	v_cmp_ne_u32_e32 vcc, v3, v15
	s_and_saveexec_b64 s[20:21], vcc
	s_xor_b64 s[20:21], exec, s[20:21]
	s_cbranch_execz .LBB68_118
; %bb.111:                              ;   in Loop: Header=BB68_110 Depth=2
	v_cmp_ne_u32_e32 vcc, s33, v3
                                        ; implicit-def: $sgpr24_sgpr25
	s_and_saveexec_b64 s[26:27], vcc
	s_xor_b64 s[26:27], exec, s[26:27]
; %bb.112:                              ;   in Loop: Header=BB68_110 Depth=2
	v_add_u32_e32 v2, 1, v27
	v_and_b32_e32 v27, 63, v2
	s_mov_b64 s[24:25], -1
                                        ; implicit-def: $vgpr2
; %bb.113:                              ;   in Loop: Header=BB68_110 Depth=2
	s_andn2_saveexec_b64 s[26:27], s[26:27]
	s_cbranch_execz .LBB68_117
; %bb.114:                              ;   in Loop: Header=BB68_110 Depth=2
	v_mov_b32_e32 v3, s33
	ds_cmpst_rtn_b32 v3, v2, v3, v15
	s_mov_b64 s[30:31], -1
	s_waitcnt lgkmcnt(0)
	v_cmp_eq_u32_e32 vcc, s33, v3
	s_and_saveexec_b64 s[28:29], vcc
	s_cbranch_execz .LBB68_116
; %bb.115:                              ;   in Loop: Header=BB68_110 Depth=2
	v_mad_u64_u32 v[2:3], s[30:31], v27, 60, v[2:3]
	ds_add_f64 v2, v[6:7] offset:304
	ds_add_f64 v2, v[4:5] offset:312
	s_xor_b64 s[30:31], exec, -1
.LBB68_116:                             ;   in Loop: Header=BB68_110 Depth=2
	s_or_b64 exec, exec, s[28:29]
	s_andn2_b64 s[24:25], s[24:25], exec
	s_and_b64 s[28:29], s[30:31], exec
	s_or_b64 s[24:25], s[24:25], s[28:29]
.LBB68_117:                             ;   in Loop: Header=BB68_110 Depth=2
	s_or_b64 exec, exec, s[26:27]
	s_and_b64 s[24:25], s[24:25], exec
                                        ; implicit-def: $vgpr2
.LBB68_118:                             ;   in Loop: Header=BB68_110 Depth=2
	s_andn2_saveexec_b64 s[20:21], s[20:21]
	s_cbranch_execz .LBB68_109
; %bb.119:                              ;   in Loop: Header=BB68_110 Depth=2
	v_mad_u64_u32 v[2:3], s[26:27], v27, 60, v[2:3]
	ds_add_f64 v2, v[6:7] offset:304
	ds_add_f64 v2, v[4:5] offset:312
	s_andn2_b64 s[24:25], s[24:25], exec
	s_branch .LBB68_109
.LBB68_120:
	s_or_b64 exec, exec, s[10:11]
.LBB68_121:
	s_waitcnt lgkmcnt(0)
	s_barrier
	s_and_saveexec_b64 s[10:11], s[6:7]
	s_cbranch_execz .LBB68_124
; %bb.122:
	ds_read_b32 v1, v1
	s_waitcnt lgkmcnt(0)
	v_cmp_gt_i32_e32 vcc, s33, v1
	s_and_b64 exec, exec, vcc
	s_cbranch_execz .LBB68_124
; %bb.123:
	s_load_dwordx4 s[12:15], s[4:5], 0x88
	s_load_dwordx2 s[6:7], s[4:5], 0x98
	s_lshl_b64 s[4:5], s[8:9], 2
	v_mov_b32_e32 v10, 0
	s_waitcnt lgkmcnt(0)
	s_add_u32 s4, s12, s4
	s_addc_u32 s5, s13, s5
	s_load_dword s5, s[4:5], 0x0
	ds_read2_b32 v[2:3], v10 offset1:1
	ds_read2_b32 v[4:5], v10 offset0:2 offset1:3
	ds_read2_b32 v[6:7], v10 offset0:4 offset1:5
	;; [unrolled: 1-line block ×3, first 2 shown]
	s_add_i32 s4, 0, 0x100
	s_waitcnt lgkmcnt(0)
	v_cmp_gt_i32_e32 vcc, v1, v2
	v_cndmask_b32_e64 v2, 0, 1, vcc
	s_sub_i32 s5, s5, s22
	v_mov_b32_e32 v11, s5
	v_cmp_gt_i32_e32 vcc, v1, v3
	v_addc_co_u32_e32 v2, vcc, v11, v2, vcc
	v_cmp_gt_i32_e32 vcc, v1, v4
	v_cndmask_b32_e64 v3, 0, 1, vcc
	v_cmp_gt_i32_e32 vcc, v1, v5
	v_addc_co_u32_e32 v2, vcc, v2, v3, vcc
	v_cmp_gt_i32_e32 vcc, v1, v6
	v_cndmask_b32_e64 v3, 0, 1, vcc
	v_cmp_gt_i32_e32 vcc, v1, v7
	v_addc_co_u32_e32 v4, vcc, v2, v3, vcc
	ds_read2_b32 v[2:3], v10 offset0:8 offset1:9
	v_cmp_gt_i32_e32 vcc, v1, v8
	v_cndmask_b32_e64 v5, 0, 1, vcc
	v_cmp_gt_i32_e32 vcc, v1, v9
	v_addc_co_u32_e32 v11, vcc, v4, v5, vcc
	ds_read2_b32 v[4:5], v10 offset0:10 offset1:11
	ds_read2_b32 v[6:7], v10 offset0:12 offset1:13
	ds_read2_b32 v[8:9], v10 offset0:14 offset1:15
	s_waitcnt lgkmcnt(0)
	v_cmp_gt_i32_e32 vcc, v1, v2
	v_cndmask_b32_e64 v2, 0, 1, vcc
	v_cmp_gt_i32_e32 vcc, v1, v3
	v_addc_co_u32_e32 v2, vcc, v11, v2, vcc
	v_cmp_gt_i32_e32 vcc, v1, v4
	v_cndmask_b32_e64 v3, 0, 1, vcc
	v_cmp_gt_i32_e32 vcc, v1, v5
	v_addc_co_u32_e32 v2, vcc, v2, v3, vcc
	v_cmp_gt_i32_e32 vcc, v1, v6
	v_cndmask_b32_e64 v3, 0, 1, vcc
	v_cmp_gt_i32_e32 vcc, v1, v7
	v_addc_co_u32_e32 v4, vcc, v2, v3, vcc
	ds_read2_b32 v[2:3], v10 offset0:16 offset1:17
	v_cmp_gt_i32_e32 vcc, v1, v8
	v_cndmask_b32_e64 v5, 0, 1, vcc
	v_cmp_gt_i32_e32 vcc, v1, v9
	v_addc_co_u32_e32 v11, vcc, v4, v5, vcc
	ds_read2_b32 v[4:5], v10 offset0:18 offset1:19
	ds_read2_b32 v[6:7], v10 offset0:20 offset1:21
	ds_read2_b32 v[8:9], v10 offset0:22 offset1:23
	s_waitcnt lgkmcnt(0)
	v_cmp_gt_i32_e32 vcc, v1, v2
	v_cndmask_b32_e64 v2, 0, 1, vcc
	;; [unrolled: 21-line block ×7, first 2 shown]
	v_cmp_gt_i32_e32 vcc, v1, v3
	v_addc_co_u32_e32 v2, vcc, v11, v2, vcc
	v_cmp_gt_i32_e32 vcc, v1, v4
	v_cndmask_b32_e64 v3, 0, 1, vcc
	v_cmp_gt_i32_e32 vcc, v1, v5
	v_addc_co_u32_e32 v2, vcc, v2, v3, vcc
	v_cmp_gt_i32_e32 vcc, v1, v6
	v_cndmask_b32_e64 v3, 0, 1, vcc
	;; [unrolled: 4-line block ×3, first 2 shown]
	v_cmp_gt_i32_e32 vcc, v1, v9
	v_addc_co_u32_e32 v2, vcc, v2, v3, vcc
	v_ashrrev_i32_e32 v3, 31, v2
	v_lshlrev_b64 v[4:5], 2, v[2:3]
	v_mov_b32_e32 v3, s15
	v_add_co_u32_e32 v4, vcc, s14, v4
	v_add_u32_e32 v1, s22, v1
	v_addc_co_u32_e32 v5, vcc, v3, v5, vcc
	s_cmp_eq_u32 s48, 0
	global_store_dword v[4:5], v1, off
	v_lshlrev_b32_e32 v3, 2, v0
	v_lshlrev_b32_e32 v4, 6, v0
	;; [unrolled: 1-line block ×3, first 2 shown]
	v_ashrrev_i32_e32 v1, 31, v0
	v_add_u32_e32 v12, s4, v4
	s_cselect_b32 s4, 1, 2
	s_cselect_b32 s5, 2, 1
	v_lshlrev_b64 v[16:17], 4, v[0:1]
	v_or_b32_e32 v0, s4, v3
	v_or_b32_e32 v1, s5, v3
	v_add_u32_e32 v8, 0, v4
	v_lshl_add_u32 v0, v0, 4, 0
	v_lshl_add_u32 v4, v1, 4, 0
	ds_read2_b64 v[0:3], v0 offset0:32 offset1:33
	ds_read2_b64 v[4:7], v4 offset0:32 offset1:33
	;; [unrolled: 1-line block ×4, first 2 shown]
	s_waitcnt vmcnt(0)
	v_mov_b32_e32 v18, s7
	v_add_co_u32_e32 v16, vcc, s6, v16
	v_addc_co_u32_e32 v17, vcc, v18, v17, vcc
	s_waitcnt lgkmcnt(1)
	global_store_dwordx4 v[16:17], v[8:11], off
	global_store_dwordx4 v[16:17], v[0:3], off offset:16
	global_store_dwordx4 v[16:17], v[4:7], off offset:32
	s_waitcnt lgkmcnt(0)
	global_store_dwordx4 v[16:17], v[12:15], off offset:48
.LBB68_124:
	s_endpgm
	.section	.rodata,"a",@progbits
	.p2align	6, 0x0
	.amdhsa_kernel _ZN9rocsparseL30bsrgemm_fill_block_per_row_2x2ILj256ELj16ELj64ELj137Eii21rocsparse_complex_numIdEEEv20rocsparse_direction_T4_S4_PKS4_S6_NS_24const_host_device_scalarIT5_EEPKT3_S6_PKS8_SC_S6_SE_S9_SC_S6_SE_SC_PS4_PS8_21rocsparse_index_base_SH_SH_SH_bbb
		.amdhsa_group_segment_fixed_size 0
		.amdhsa_private_segment_fixed_size 24
		.amdhsa_kernarg_size 180
		.amdhsa_user_sgpr_count 8
		.amdhsa_user_sgpr_private_segment_buffer 1
		.amdhsa_user_sgpr_dispatch_ptr 0
		.amdhsa_user_sgpr_queue_ptr 0
		.amdhsa_user_sgpr_kernarg_segment_ptr 1
		.amdhsa_user_sgpr_dispatch_id 0
		.amdhsa_user_sgpr_flat_scratch_init 1
		.amdhsa_user_sgpr_kernarg_preload_length 0
		.amdhsa_user_sgpr_kernarg_preload_offset 0
		.amdhsa_user_sgpr_private_segment_size 0
		.amdhsa_uses_dynamic_stack 0
		.amdhsa_system_sgpr_private_segment_wavefront_offset 1
		.amdhsa_system_sgpr_workgroup_id_x 1
		.amdhsa_system_sgpr_workgroup_id_y 0
		.amdhsa_system_sgpr_workgroup_id_z 0
		.amdhsa_system_sgpr_workgroup_info 0
		.amdhsa_system_vgpr_workitem_id 0
		.amdhsa_next_free_vgpr 58
		.amdhsa_next_free_sgpr 52
		.amdhsa_accum_offset 60
		.amdhsa_reserve_vcc 1
		.amdhsa_reserve_flat_scratch 1
		.amdhsa_float_round_mode_32 0
		.amdhsa_float_round_mode_16_64 0
		.amdhsa_float_denorm_mode_32 3
		.amdhsa_float_denorm_mode_16_64 3
		.amdhsa_dx10_clamp 1
		.amdhsa_ieee_mode 1
		.amdhsa_fp16_overflow 0
		.amdhsa_tg_split 0
		.amdhsa_exception_fp_ieee_invalid_op 0
		.amdhsa_exception_fp_denorm_src 0
		.amdhsa_exception_fp_ieee_div_zero 0
		.amdhsa_exception_fp_ieee_overflow 0
		.amdhsa_exception_fp_ieee_underflow 0
		.amdhsa_exception_fp_ieee_inexact 0
		.amdhsa_exception_int_div_zero 0
	.end_amdhsa_kernel
	.section	.text._ZN9rocsparseL30bsrgemm_fill_block_per_row_2x2ILj256ELj16ELj64ELj137Eii21rocsparse_complex_numIdEEEv20rocsparse_direction_T4_S4_PKS4_S6_NS_24const_host_device_scalarIT5_EEPKT3_S6_PKS8_SC_S6_SE_S9_SC_S6_SE_SC_PS4_PS8_21rocsparse_index_base_SH_SH_SH_bbb,"axG",@progbits,_ZN9rocsparseL30bsrgemm_fill_block_per_row_2x2ILj256ELj16ELj64ELj137Eii21rocsparse_complex_numIdEEEv20rocsparse_direction_T4_S4_PKS4_S6_NS_24const_host_device_scalarIT5_EEPKT3_S6_PKS8_SC_S6_SE_S9_SC_S6_SE_SC_PS4_PS8_21rocsparse_index_base_SH_SH_SH_bbb,comdat
.Lfunc_end68:
	.size	_ZN9rocsparseL30bsrgemm_fill_block_per_row_2x2ILj256ELj16ELj64ELj137Eii21rocsparse_complex_numIdEEEv20rocsparse_direction_T4_S4_PKS4_S6_NS_24const_host_device_scalarIT5_EEPKT3_S6_PKS8_SC_S6_SE_S9_SC_S6_SE_SC_PS4_PS8_21rocsparse_index_base_SH_SH_SH_bbb, .Lfunc_end68-_ZN9rocsparseL30bsrgemm_fill_block_per_row_2x2ILj256ELj16ELj64ELj137Eii21rocsparse_complex_numIdEEEv20rocsparse_direction_T4_S4_PKS4_S6_NS_24const_host_device_scalarIT5_EEPKT3_S6_PKS8_SC_S6_SE_S9_SC_S6_SE_SC_PS4_PS8_21rocsparse_index_base_SH_SH_SH_bbb
                                        ; -- End function
	.section	.AMDGPU.csdata,"",@progbits
; Kernel info:
; codeLenInByte = 4876
; NumSgprs: 58
; NumVgprs: 58
; NumAgprs: 0
; TotalNumVgprs: 58
; ScratchSize: 24
; MemoryBound: 0
; FloatMode: 240
; IeeeMode: 1
; LDSByteSize: 0 bytes/workgroup (compile time only)
; SGPRBlocks: 7
; VGPRBlocks: 7
; NumSGPRsForWavesPerEU: 58
; NumVGPRsForWavesPerEU: 58
; AccumOffset: 60
; Occupancy: 8
; WaveLimiterHint : 1
; COMPUTE_PGM_RSRC2:SCRATCH_EN: 1
; COMPUTE_PGM_RSRC2:USER_SGPR: 8
; COMPUTE_PGM_RSRC2:TRAP_HANDLER: 0
; COMPUTE_PGM_RSRC2:TGID_X_EN: 1
; COMPUTE_PGM_RSRC2:TGID_Y_EN: 0
; COMPUTE_PGM_RSRC2:TGID_Z_EN: 0
; COMPUTE_PGM_RSRC2:TIDIG_COMP_CNT: 0
; COMPUTE_PGM_RSRC3_GFX90A:ACCUM_OFFSET: 14
; COMPUTE_PGM_RSRC3_GFX90A:TG_SPLIT: 0
	.section	.text._ZN9rocsparseL30bsrgemm_fill_block_per_row_2x2ILj256ELj16ELj128ELj137Eii21rocsparse_complex_numIdEEEv20rocsparse_direction_T4_S4_PKS4_S6_NS_24const_host_device_scalarIT5_EEPKT3_S6_PKS8_SC_S6_SE_S9_SC_S6_SE_SC_PS4_PS8_21rocsparse_index_base_SH_SH_SH_bbb,"axG",@progbits,_ZN9rocsparseL30bsrgemm_fill_block_per_row_2x2ILj256ELj16ELj128ELj137Eii21rocsparse_complex_numIdEEEv20rocsparse_direction_T4_S4_PKS4_S6_NS_24const_host_device_scalarIT5_EEPKT3_S6_PKS8_SC_S6_SE_S9_SC_S6_SE_SC_PS4_PS8_21rocsparse_index_base_SH_SH_SH_bbb,comdat
	.globl	_ZN9rocsparseL30bsrgemm_fill_block_per_row_2x2ILj256ELj16ELj128ELj137Eii21rocsparse_complex_numIdEEEv20rocsparse_direction_T4_S4_PKS4_S6_NS_24const_host_device_scalarIT5_EEPKT3_S6_PKS8_SC_S6_SE_S9_SC_S6_SE_SC_PS4_PS8_21rocsparse_index_base_SH_SH_SH_bbb ; -- Begin function _ZN9rocsparseL30bsrgemm_fill_block_per_row_2x2ILj256ELj16ELj128ELj137Eii21rocsparse_complex_numIdEEEv20rocsparse_direction_T4_S4_PKS4_S6_NS_24const_host_device_scalarIT5_EEPKT3_S6_PKS8_SC_S6_SE_S9_SC_S6_SE_SC_PS4_PS8_21rocsparse_index_base_SH_SH_SH_bbb
	.p2align	8
	.type	_ZN9rocsparseL30bsrgemm_fill_block_per_row_2x2ILj256ELj16ELj128ELj137Eii21rocsparse_complex_numIdEEEv20rocsparse_direction_T4_S4_PKS4_S6_NS_24const_host_device_scalarIT5_EEPKT3_S6_PKS8_SC_S6_SE_S9_SC_S6_SE_SC_PS4_PS8_21rocsparse_index_base_SH_SH_SH_bbb,@function
_ZN9rocsparseL30bsrgemm_fill_block_per_row_2x2ILj256ELj16ELj128ELj137Eii21rocsparse_complex_numIdEEEv20rocsparse_direction_T4_S4_PKS4_S6_NS_24const_host_device_scalarIT5_EEPKT3_S6_PKS8_SC_S6_SE_S9_SC_S6_SE_SC_PS4_PS8_21rocsparse_index_base_SH_SH_SH_bbb: ; @_ZN9rocsparseL30bsrgemm_fill_block_per_row_2x2ILj256ELj16ELj128ELj137Eii21rocsparse_complex_numIdEEEv20rocsparse_direction_T4_S4_PKS4_S6_NS_24const_host_device_scalarIT5_EEPKT3_S6_PKS8_SC_S6_SE_S9_SC_S6_SE_SC_PS4_PS8_21rocsparse_index_base_SH_SH_SH_bbb
; %bb.0:
	s_add_u32 flat_scratch_lo, s6, s9
	s_addc_u32 flat_scratch_hi, s7, 0
	s_add_u32 s0, s0, s9
	s_load_dword s9, s[4:5], 0xb0
	s_load_dwordx4 s[16:19], s[4:5], 0x20
	s_load_dwordx4 s[12:15], s[4:5], 0x60
	s_addc_u32 s1, s1, 0
	v_pk_mov_b32 v[18:19], 0, 0
	s_waitcnt lgkmcnt(0)
	s_bitcmp1_b32 s9, 0
	v_mov_b32_e32 v1, s17
	s_cselect_b64 s[48:49], -1, 0
	s_bitcmp1_b32 s9, 16
	buffer_store_dword v1, off, s[0:3], 0 offset:4
	v_mov_b32_e32 v1, s16
	s_cselect_b64 s[6:7], -1, 0
	buffer_store_dword v1, off, s[0:3], 0
	v_mov_b32_e32 v1, s13
	buffer_store_dword v1, off, s[0:3], 0 offset:12
	v_mov_b32_e32 v1, s12
	s_xor_b64 s[10:11], s[6:7], -1
	buffer_store_dword v1, off, s[0:3], 0 offset:8
	v_cndmask_b32_e64 v1, 0, 1, s[10:11]
	s_bitcmp0_b32 s9, 0
	v_cmp_ne_u32_e64 s[10:11], 1, v1
	v_pk_mov_b32 v[22:23], v[18:19], v[18:19] op_sel:[0,1]
	v_pk_mov_b32 v[24:25], v[18:19], v[18:19] op_sel:[0,1]
	s_cbranch_scc1 .LBB69_3
; %bb.1:
	s_mov_b64 s[20:21], src_private_base
	s_and_b64 s[22:23], s[6:7], exec
	s_cselect_b32 s20, s21, s17
	v_mov_b32_e32 v1, 0
	v_mov_b32_e32 v2, s16
	v_cndmask_b32_e64 v2, v2, v1, s[6:7]
	v_mov_b32_e32 v3, s20
	flat_load_dwordx2 v[22:23], v[2:3]
	s_and_b64 vcc, exec, s[10:11]
	v_pk_mov_b32 v[24:25], s[18:19], s[18:19] op_sel:[0,1]
	s_cbranch_vccnz .LBB69_3
; %bb.2:
	v_pk_mov_b32 v[2:3], s[16:17], s[16:17] op_sel:[0,1]
	flat_load_dwordx2 v[24:25], v[2:3] offset:8
.LBB69_3:
	s_bitcmp1_b32 s9, 8
	s_cselect_b64 s[34:35], -1, 0
	s_bfe_u32 s9, s9, 0x10008
	s_cmp_eq_u32 s9, 0
	v_pk_mov_b32 v[20:21], v[18:19], v[18:19] op_sel:[0,1]
	s_cbranch_scc1 .LBB69_6
; %bb.4:
	s_mov_b64 s[16:17], src_private_base
	s_and_b64 s[18:19], s[6:7], exec
	s_cselect_b32 s9, s17, s13
	v_mov_b32_e32 v1, 8
	v_mov_b32_e32 v2, s12
	v_cndmask_b32_e64 v2, v2, v1, s[6:7]
	v_mov_b32_e32 v3, s9
	flat_load_dwordx2 v[20:21], v[2:3]
	s_and_b64 vcc, exec, s[10:11]
	v_pk_mov_b32 v[18:19], s[14:15], s[14:15] op_sel:[0,1]
	s_cbranch_vccnz .LBB69_6
; %bb.5:
	v_pk_mov_b32 v[2:3], s[12:13], s[12:13] op_sel:[0,1]
	flat_load_dwordx2 v[18:19], v[2:3] offset:8
.LBB69_6:
	s_load_dwordx4 s[36:39], s[4:5], 0xa0
	s_load_dword s33, s[4:5], 0x8
	s_movk_i32 s6, 0x80
	v_cmp_gt_u32_e64 s[6:7], s6, v0
	v_lshl_add_u32 v1, v0, 2, 0
	s_and_saveexec_b64 s[10:11], s[6:7]
	s_cbranch_execz .LBB69_8
; %bb.7:
	s_waitcnt lgkmcnt(0)
	v_mov_b32_e32 v2, s33
	ds_write_b32 v1, v2
.LBB69_8:
	s_or_b64 exec, exec, s[10:11]
	s_load_dwordx4 s[28:31], s[4:5], 0x90
	s_load_dwordx8 s[12:19], s[4:5], 0x70
	s_load_dwordx4 s[40:43], s[4:5], 0x50
	s_load_dwordx4 s[44:47], s[4:5], 0x10
	s_load_dwordx8 s[20:27], s[4:5], 0x30
	s_movk_i32 s9, 0x200
	v_cmp_gt_u32_e32 vcc, s9, v0
	s_and_saveexec_b64 s[10:11], vcc
	s_cbranch_execz .LBB69_11
; %bb.9:
	s_mov_b32 s52, 0
	v_lshl_add_u32 v2, v0, 4, 0
	s_mov_b32 s53, s52
	s_mov_b32 s54, s52
	s_mov_b32 s55, s52
	v_add_u32_e32 v6, 0x200, v2
	v_or_b32_e32 v7, 0xffffff00, v0
	s_mov_b64 s[50:51], 0
	v_pk_mov_b32 v[2:3], s[52:53], s[52:53] op_sel:[0,1]
	v_pk_mov_b32 v[4:5], s[54:55], s[54:55] op_sel:[0,1]
.LBB69_10:                              ; =>This Inner Loop Header: Depth=1
	v_add_co_u32_e32 v7, vcc, 0x100, v7
	s_xor_b64 s[52:53], vcc, -1
	s_and_b64 s[52:53], exec, s[52:53]
	ds_write2_b64 v6, v[2:3], v[4:5] offset1:1
	s_or_b64 s[50:51], s[52:53], s[50:51]
	v_add_u32_e32 v6, 0x1000, v6
	s_andn2_b64 exec, exec, s[50:51]
	s_cbranch_execnz .LBB69_10
.LBB69_11:
	s_or_b64 exec, exec, s[10:11]
	s_waitcnt lgkmcnt(0)
	s_cmp_lg_u64 s[46:47], 0
	s_barrier
	s_cbranch_scc0 .LBB69_13
; %bb.12:
	s_load_dword s9, s[44:45], 0x0
	s_waitcnt lgkmcnt(0)
	s_add_i32 s8, s9, s8
	s_mov_b32 s9, 0
	s_lshl_b64 s[8:9], s[8:9], 2
	s_add_u32 s8, s46, s8
	s_addc_u32 s9, s47, s9
	s_load_dword s8, s[8:9], 0x0
.LBB69_13:
	s_nop 0
	s_load_dword s58, s[4:5], 0x0
	s_andn2_b64 vcc, exec, s[48:49]
	s_waitcnt lgkmcnt(0)
	s_ashr_i32 s9, s8, 31
	s_cbranch_vccnz .LBB69_69
; %bb.14:
	s_lshl_b64 s[4:5], s[8:9], 2
	s_add_u32 s4, s20, s4
	s_addc_u32 s5, s21, s5
	s_load_dwordx2 s[4:5], s[4:5], 0x0
	v_lshrrev_b32_e32 v2, 4, v0
	v_subrev_u32_e32 v2, s36, v2
	s_waitcnt lgkmcnt(0)
	s_sub_i32 s59, s5, s36
	v_add_u32_e32 v26, s4, v2
	v_cmp_gt_i32_e32 vcc, s59, v26
	s_and_saveexec_b64 s[4:5], vcc
	s_cbranch_execz .LBB69_68
; %bb.15:
	v_and_b32_e32 v2, 15, v0
	s_cmp_eq_u32 s58, 0
	v_subrev_u32_e32 v51, s37, v2
	s_cselect_b32 s60, 1, 2
	s_cselect_b32 s61, 2, 1
	s_mov_b64 s[10:11], 0
	v_mov_b32_e32 v52, s23
	v_mov_b32_e32 v53, s27
	s_branch .LBB69_17
.LBB69_16:                              ;   in Loop: Header=BB69_17 Depth=1
	s_or_b64 exec, exec, s[20:21]
	v_add_u32_e32 v26, 16, v26
	v_cmp_le_i32_e32 vcc, s59, v26
	s_or_b64 s[10:11], vcc, s[10:11]
	s_andn2_b64 exec, exec, s[10:11]
	s_cbranch_execz .LBB69_68
.LBB69_17:                              ; =>This Loop Header: Depth=1
                                        ;     Child Loop BB69_20 Depth 2
                                        ;       Child Loop BB69_22 Depth 3
                                        ;       Child Loop BB69_34 Depth 3
	;; [unrolled: 1-line block ×4, first 2 shown]
	v_ashrrev_i32_e32 v27, 31, v26
	v_lshlrev_b64 v[2:3], 2, v[26:27]
	v_add_co_u32_e32 v2, vcc, s22, v2
	v_addc_co_u32_e32 v3, vcc, v52, v3, vcc
	global_load_dword v2, v[2:3], off
	s_waitcnt vmcnt(0)
	v_subrev_u32_e32 v2, s36, v2
	v_ashrrev_i32_e32 v3, 31, v2
	v_lshlrev_b64 v[2:3], 2, v[2:3]
	v_add_co_u32_e32 v2, vcc, s26, v2
	v_addc_co_u32_e32 v3, vcc, v53, v3, vcc
	global_load_dwordx2 v[2:3], v[2:3], off
	s_waitcnt vmcnt(0)
	v_subrev_u32_e32 v27, s37, v3
	v_add_u32_e32 v28, v2, v51
	v_cmp_lt_i32_e32 vcc, v28, v27
	s_and_saveexec_b64 s[20:21], vcc
	s_cbranch_execz .LBB69_16
; %bb.18:                               ;   in Loop: Header=BB69_17 Depth=1
	v_lshlrev_b32_e32 v14, 2, v26
	v_ashrrev_i32_e32 v15, 31, v14
	v_lshlrev_b64 v[2:3], 4, v[14:15]
	v_mov_b32_e32 v16, s25
	v_add_co_u32_e32 v10, vcc, s24, v2
	v_addc_co_u32_e32 v11, vcc, v16, v3, vcc
	global_load_dwordx4 v[2:5], v[10:11], off
	global_load_dwordx4 v[6:9], v[10:11], off offset:48
	v_or_b32_e32 v10, s60, v14
	v_ashrrev_i32_e32 v11, 31, v10
	v_lshlrev_b64 v[10:11], 4, v[10:11]
	v_or_b32_e32 v14, s61, v14
	v_add_co_u32_e32 v10, vcc, s24, v10
	v_ashrrev_i32_e32 v15, 31, v14
	v_addc_co_u32_e32 v11, vcc, v16, v11, vcc
	v_lshlrev_b64 v[14:15], 4, v[14:15]
	v_add_co_u32_e32 v14, vcc, s24, v14
	v_addc_co_u32_e32 v15, vcc, v16, v15, vcc
	global_load_dwordx4 v[10:13], v[10:11], off
	s_mov_b64 s[44:45], 0
	global_load_dwordx4 v[14:17], v[14:15], off
	s_waitcnt vmcnt(3)
	v_mul_f64 v[30:31], v[4:5], -v[24:25]
	v_mul_f64 v[32:33], v[22:23], v[4:5]
	s_waitcnt vmcnt(2)
	v_mul_f64 v[34:35], v[8:9], -v[24:25]
	v_mul_f64 v[36:37], v[22:23], v[8:9]
	v_fmac_f64_e32 v[30:31], v[22:23], v[2:3]
	v_fmac_f64_e32 v[32:33], v[24:25], v[2:3]
	;; [unrolled: 1-line block ×4, first 2 shown]
	s_waitcnt vmcnt(1)
	v_mul_f64 v[38:39], v[12:13], -v[24:25]
	v_mul_f64 v[40:41], v[22:23], v[12:13]
	s_waitcnt vmcnt(0)
	v_mul_f64 v[42:43], v[16:17], -v[24:25]
	v_mul_f64 v[44:45], v[22:23], v[16:17]
	v_fmac_f64_e32 v[38:39], v[22:23], v[10:11]
	v_fmac_f64_e32 v[40:41], v[24:25], v[10:11]
	v_fmac_f64_e32 v[42:43], v[22:23], v[14:15]
	v_fmac_f64_e32 v[44:45], v[24:25], v[14:15]
	s_branch .LBB69_20
.LBB69_19:                              ;   in Loop: Header=BB69_20 Depth=2
	s_or_b64 exec, exec, s[46:47]
	v_add_u32_e32 v28, 16, v28
	v_cmp_ge_i32_e32 vcc, v28, v27
	s_or_b64 s[44:45], vcc, s[44:45]
	s_andn2_b64 exec, exec, s[44:45]
	s_cbranch_execz .LBB69_16
.LBB69_20:                              ;   Parent Loop BB69_17 Depth=1
                                        ; =>  This Loop Header: Depth=2
                                        ;       Child Loop BB69_22 Depth 3
                                        ;       Child Loop BB69_34 Depth 3
	;; [unrolled: 1-line block ×4, first 2 shown]
	v_ashrrev_i32_e32 v29, 31, v28
	v_lshlrev_b64 v[2:3], 2, v[28:29]
	v_mov_b32_e32 v4, s41
	v_add_co_u32_e32 v2, vcc, s40, v2
	v_addc_co_u32_e32 v3, vcc, v4, v3, vcc
	global_load_dword v29, v[2:3], off
	v_lshlrev_b32_e32 v2, 2, v28
	v_or_b32_e32 v6, s61, v2
	v_ashrrev_i32_e32 v7, 31, v6
	v_lshlrev_b64 v[6:7], 4, v[6:7]
	v_ashrrev_i32_e32 v3, 31, v2
	v_mov_b32_e32 v8, s43
	v_add_co_u32_e32 v6, vcc, s42, v6
	v_or_b32_e32 v4, s60, v2
	v_lshlrev_b64 v[2:3], 4, v[2:3]
	v_addc_co_u32_e32 v7, vcc, v8, v7, vcc
	global_load_dwordx4 v[14:17], v[6:7], off
	v_add_co_u32_e32 v46, vcc, s42, v2
	v_ashrrev_i32_e32 v5, 31, v4
	v_addc_co_u32_e32 v47, vcc, v8, v3, vcc
	global_load_dwordx4 v[10:13], v[46:47], off
	v_lshlrev_b64 v[2:3], 4, v[4:5]
	v_add_co_u32_e32 v48, vcc, s42, v2
	v_addc_co_u32_e32 v49, vcc, v8, v3, vcc
	global_load_dwordx4 v[2:5], v[48:49], off
	global_load_dwordx4 v[6:9], v[46:47], off offset:48
	s_mov_b64 s[46:47], 0
	s_waitcnt vmcnt(4)
	v_subrev_u32_e32 v29, s37, v29
	v_lshl_add_u32 v50, v29, 3, v29
	v_and_b32_e32 v54, 0x7f, v50
	v_mov_b32_e32 v55, v54
	s_waitcnt vmcnt(3)
	v_mul_f64 v[48:49], v[16:17], -v[40:41]
	v_mul_f64 v[46:47], v[38:39], v[16:17]
	v_fmac_f64_e32 v[48:49], v[38:39], v[14:15]
	v_fmac_f64_e32 v[46:47], v[40:41], v[14:15]
	s_waitcnt vmcnt(2)
	v_fmac_f64_e32 v[48:49], v[30:31], v[10:11]
	v_fmac_f64_e32 v[46:47], v[32:33], v[10:11]
	v_fma_f64 v[48:49], -v[32:33], v[12:13], v[48:49]
	v_fmac_f64_e32 v[46:47], v[30:31], v[12:13]
	s_branch .LBB69_22
.LBB69_21:                              ;   in Loop: Header=BB69_22 Depth=3
	s_or_b64 exec, exec, s[48:49]
	s_xor_b64 s[48:49], s[50:51], -1
	s_and_b64 s[48:49], exec, s[48:49]
	s_or_b64 s[46:47], s[48:49], s[46:47]
	s_andn2_b64 exec, exec, s[46:47]
	s_cbranch_execz .LBB69_32
.LBB69_22:                              ;   Parent Loop BB69_17 Depth=1
                                        ;     Parent Loop BB69_20 Depth=2
                                        ; =>    This Inner Loop Header: Depth=3
	v_lshl_add_u32 v50, v55, 2, 0
	ds_read_b32 v56, v50
                                        ; implicit-def: $sgpr50_sgpr51
	s_waitcnt lgkmcnt(0)
	v_cmp_ne_u32_e32 vcc, v56, v29
	s_and_saveexec_b64 s[48:49], vcc
	s_xor_b64 s[48:49], exec, s[48:49]
	s_cbranch_execz .LBB69_30
; %bb.23:                               ;   in Loop: Header=BB69_22 Depth=3
	v_cmp_ne_u32_e32 vcc, s33, v56
                                        ; implicit-def: $sgpr50_sgpr51
	s_and_saveexec_b64 s[52:53], vcc
	s_xor_b64 s[52:53], exec, s[52:53]
; %bb.24:                               ;   in Loop: Header=BB69_22 Depth=3
	v_add_u32_e32 v50, 1, v55
	v_and_b32_e32 v55, 0x7f, v50
	s_mov_b64 s[50:51], -1
                                        ; implicit-def: $vgpr50
; %bb.25:                               ;   in Loop: Header=BB69_22 Depth=3
	s_andn2_saveexec_b64 s[52:53], s[52:53]
	s_cbranch_execz .LBB69_29
; %bb.26:                               ;   in Loop: Header=BB69_22 Depth=3
	v_mov_b32_e32 v56, s33
	ds_cmpst_rtn_b32 v56, v50, v56, v29
	s_mov_b64 s[56:57], -1
	s_waitcnt lgkmcnt(0)
	v_cmp_eq_u32_e32 vcc, s33, v56
	s_and_saveexec_b64 s[54:55], vcc
	s_cbranch_execz .LBB69_28
; %bb.27:                               ;   in Loop: Header=BB69_22 Depth=3
	v_mad_u64_u32 v[56:57], s[56:57], v55, 60, v[50:51]
	ds_add_f64 v56, v[48:49] offset:512
	ds_add_f64 v56, v[46:47] offset:520
	s_xor_b64 s[56:57], exec, -1
.LBB69_28:                              ;   in Loop: Header=BB69_22 Depth=3
	s_or_b64 exec, exec, s[54:55]
	s_andn2_b64 s[50:51], s[50:51], exec
	s_and_b64 s[54:55], s[56:57], exec
	s_or_b64 s[50:51], s[50:51], s[54:55]
.LBB69_29:                              ;   in Loop: Header=BB69_22 Depth=3
	s_or_b64 exec, exec, s[52:53]
	s_and_b64 s[50:51], s[50:51], exec
                                        ; implicit-def: $vgpr50
.LBB69_30:                              ;   in Loop: Header=BB69_22 Depth=3
	s_andn2_saveexec_b64 s[48:49], s[48:49]
	s_cbranch_execz .LBB69_21
; %bb.31:                               ;   in Loop: Header=BB69_22 Depth=3
	v_mad_u64_u32 v[56:57], s[52:53], v55, 60, v[50:51]
	ds_add_f64 v56, v[48:49] offset:512
	ds_add_f64 v56, v[46:47] offset:520
	s_andn2_b64 s[50:51], s[50:51], exec
	s_branch .LBB69_21
.LBB69_32:                              ;   in Loop: Header=BB69_20 Depth=2
	s_or_b64 exec, exec, s[46:47]
	s_waitcnt vmcnt(0)
	v_mul_f64 v[48:49], v[8:9], -v[40:41]
	v_mul_f64 v[46:47], v[38:39], v[8:9]
	v_fmac_f64_e32 v[48:49], v[38:39], v[6:7]
	v_fmac_f64_e32 v[46:47], v[40:41], v[6:7]
	;; [unrolled: 1-line block ×4, first 2 shown]
	v_fma_f64 v[48:49], -v[32:33], v[4:5], v[48:49]
	v_fmac_f64_e32 v[46:47], v[30:31], v[4:5]
	s_mov_b64 s[46:47], 0
	v_mov_b32_e32 v55, v54
	s_branch .LBB69_34
.LBB69_33:                              ;   in Loop: Header=BB69_34 Depth=3
	s_or_b64 exec, exec, s[48:49]
	s_xor_b64 s[48:49], s[50:51], -1
	s_and_b64 s[48:49], exec, s[48:49]
	s_or_b64 s[46:47], s[48:49], s[46:47]
	s_andn2_b64 exec, exec, s[46:47]
	s_cbranch_execz .LBB69_44
.LBB69_34:                              ;   Parent Loop BB69_17 Depth=1
                                        ;     Parent Loop BB69_20 Depth=2
                                        ; =>    This Inner Loop Header: Depth=3
	v_lshl_add_u32 v50, v55, 2, 0
	ds_read_b32 v56, v50
                                        ; implicit-def: $sgpr50_sgpr51
	s_waitcnt lgkmcnt(0)
	v_cmp_ne_u32_e32 vcc, v56, v29
	s_and_saveexec_b64 s[48:49], vcc
	s_xor_b64 s[48:49], exec, s[48:49]
	s_cbranch_execz .LBB69_42
; %bb.35:                               ;   in Loop: Header=BB69_34 Depth=3
	v_cmp_ne_u32_e32 vcc, s33, v56
                                        ; implicit-def: $sgpr50_sgpr51
	s_and_saveexec_b64 s[52:53], vcc
	s_xor_b64 s[52:53], exec, s[52:53]
; %bb.36:                               ;   in Loop: Header=BB69_34 Depth=3
	v_add_u32_e32 v50, 1, v55
	v_and_b32_e32 v55, 0x7f, v50
	s_mov_b64 s[50:51], -1
                                        ; implicit-def: $vgpr50
; %bb.37:                               ;   in Loop: Header=BB69_34 Depth=3
	s_andn2_saveexec_b64 s[52:53], s[52:53]
	s_cbranch_execz .LBB69_41
; %bb.38:                               ;   in Loop: Header=BB69_34 Depth=3
	v_mov_b32_e32 v56, s33
	ds_cmpst_rtn_b32 v56, v50, v56, v29
	s_mov_b64 s[56:57], -1
	s_waitcnt lgkmcnt(0)
	v_cmp_eq_u32_e32 vcc, s33, v56
	s_and_saveexec_b64 s[54:55], vcc
	s_cbranch_execz .LBB69_40
; %bb.39:                               ;   in Loop: Header=BB69_34 Depth=3
	v_mad_u64_u32 v[56:57], s[56:57], v55, 60, v[50:51]
	ds_add_f64 v56, v[48:49] offset:528
	ds_add_f64 v56, v[46:47] offset:536
	s_xor_b64 s[56:57], exec, -1
.LBB69_40:                              ;   in Loop: Header=BB69_34 Depth=3
	s_or_b64 exec, exec, s[54:55]
	s_andn2_b64 s[50:51], s[50:51], exec
	s_and_b64 s[54:55], s[56:57], exec
	s_or_b64 s[50:51], s[50:51], s[54:55]
.LBB69_41:                              ;   in Loop: Header=BB69_34 Depth=3
	s_or_b64 exec, exec, s[52:53]
	s_and_b64 s[50:51], s[50:51], exec
                                        ; implicit-def: $vgpr50
.LBB69_42:                              ;   in Loop: Header=BB69_34 Depth=3
	s_andn2_saveexec_b64 s[48:49], s[48:49]
	s_cbranch_execz .LBB69_33
; %bb.43:                               ;   in Loop: Header=BB69_34 Depth=3
	v_mad_u64_u32 v[56:57], s[52:53], v55, 60, v[50:51]
	ds_add_f64 v56, v[48:49] offset:528
	ds_add_f64 v56, v[46:47] offset:536
	s_andn2_b64 s[50:51], s[50:51], exec
	s_branch .LBB69_33
.LBB69_44:                              ;   in Loop: Header=BB69_20 Depth=2
	s_or_b64 exec, exec, s[46:47]
	v_mul_f64 v[46:47], v[16:17], -v[36:37]
	v_mul_f64 v[16:17], v[34:35], v[16:17]
	v_fmac_f64_e32 v[46:47], v[34:35], v[14:15]
	v_fmac_f64_e32 v[16:17], v[36:37], v[14:15]
	;; [unrolled: 1-line block ×4, first 2 shown]
	v_fma_f64 v[14:15], -v[44:45], v[12:13], v[46:47]
	v_fmac_f64_e32 v[16:17], v[42:43], v[12:13]
	s_mov_b64 s[46:47], 0
	v_mov_b32_e32 v11, v54
	s_branch .LBB69_46
.LBB69_45:                              ;   in Loop: Header=BB69_46 Depth=3
	s_or_b64 exec, exec, s[48:49]
	s_xor_b64 s[48:49], s[50:51], -1
	s_and_b64 s[48:49], exec, s[48:49]
	s_or_b64 s[46:47], s[48:49], s[46:47]
	s_andn2_b64 exec, exec, s[46:47]
	s_cbranch_execz .LBB69_56
.LBB69_46:                              ;   Parent Loop BB69_17 Depth=1
                                        ;     Parent Loop BB69_20 Depth=2
                                        ; =>    This Inner Loop Header: Depth=3
	v_lshl_add_u32 v10, v11, 2, 0
	ds_read_b32 v12, v10
                                        ; implicit-def: $sgpr50_sgpr51
	s_waitcnt lgkmcnt(0)
	v_cmp_ne_u32_e32 vcc, v12, v29
	s_and_saveexec_b64 s[48:49], vcc
	s_xor_b64 s[48:49], exec, s[48:49]
	s_cbranch_execz .LBB69_54
; %bb.47:                               ;   in Loop: Header=BB69_46 Depth=3
	v_cmp_ne_u32_e32 vcc, s33, v12
                                        ; implicit-def: $sgpr50_sgpr51
	s_and_saveexec_b64 s[52:53], vcc
	s_xor_b64 s[52:53], exec, s[52:53]
; %bb.48:                               ;   in Loop: Header=BB69_46 Depth=3
	v_add_u32_e32 v10, 1, v11
	v_and_b32_e32 v11, 0x7f, v10
	s_mov_b64 s[50:51], -1
                                        ; implicit-def: $vgpr10
; %bb.49:                               ;   in Loop: Header=BB69_46 Depth=3
	s_andn2_saveexec_b64 s[52:53], s[52:53]
	s_cbranch_execz .LBB69_53
; %bb.50:                               ;   in Loop: Header=BB69_46 Depth=3
	v_mov_b32_e32 v12, s33
	ds_cmpst_rtn_b32 v12, v10, v12, v29
	s_mov_b64 s[56:57], -1
	s_waitcnt lgkmcnt(0)
	v_cmp_eq_u32_e32 vcc, s33, v12
	s_and_saveexec_b64 s[54:55], vcc
	s_cbranch_execz .LBB69_52
; %bb.51:                               ;   in Loop: Header=BB69_46 Depth=3
	v_mad_u64_u32 v[12:13], s[56:57], v11, 60, v[10:11]
	ds_add_f64 v12, v[14:15] offset:544
	ds_add_f64 v12, v[16:17] offset:552
	s_xor_b64 s[56:57], exec, -1
.LBB69_52:                              ;   in Loop: Header=BB69_46 Depth=3
	s_or_b64 exec, exec, s[54:55]
	s_andn2_b64 s[50:51], s[50:51], exec
	s_and_b64 s[54:55], s[56:57], exec
	s_or_b64 s[50:51], s[50:51], s[54:55]
.LBB69_53:                              ;   in Loop: Header=BB69_46 Depth=3
	s_or_b64 exec, exec, s[52:53]
	s_and_b64 s[50:51], s[50:51], exec
                                        ; implicit-def: $vgpr10
.LBB69_54:                              ;   in Loop: Header=BB69_46 Depth=3
	s_andn2_saveexec_b64 s[48:49], s[48:49]
	s_cbranch_execz .LBB69_45
; %bb.55:                               ;   in Loop: Header=BB69_46 Depth=3
	v_mad_u64_u32 v[12:13], s[52:53], v11, 60, v[10:11]
	ds_add_f64 v12, v[14:15] offset:544
	ds_add_f64 v12, v[16:17] offset:552
	s_andn2_b64 s[50:51], s[50:51], exec
	s_branch .LBB69_45
.LBB69_56:                              ;   in Loop: Header=BB69_20 Depth=2
	s_or_b64 exec, exec, s[46:47]
	v_mul_f64 v[10:11], v[8:9], -v[36:37]
	v_mul_f64 v[8:9], v[34:35], v[8:9]
	v_fmac_f64_e32 v[10:11], v[34:35], v[6:7]
	v_fmac_f64_e32 v[8:9], v[36:37], v[6:7]
	;; [unrolled: 1-line block ×4, first 2 shown]
	v_fma_f64 v[6:7], -v[44:45], v[4:5], v[10:11]
	v_fmac_f64_e32 v[8:9], v[42:43], v[4:5]
	s_mov_b64 s[46:47], 0
	s_branch .LBB69_58
.LBB69_57:                              ;   in Loop: Header=BB69_58 Depth=3
	s_or_b64 exec, exec, s[48:49]
	s_xor_b64 s[48:49], s[50:51], -1
	s_and_b64 s[48:49], exec, s[48:49]
	s_or_b64 s[46:47], s[48:49], s[46:47]
	s_andn2_b64 exec, exec, s[46:47]
	s_cbranch_execz .LBB69_19
.LBB69_58:                              ;   Parent Loop BB69_17 Depth=1
                                        ;     Parent Loop BB69_20 Depth=2
                                        ; =>    This Inner Loop Header: Depth=3
	v_lshl_add_u32 v2, v54, 2, 0
	ds_read_b32 v3, v2
                                        ; implicit-def: $sgpr50_sgpr51
	s_waitcnt lgkmcnt(0)
	v_cmp_ne_u32_e32 vcc, v3, v29
	s_and_saveexec_b64 s[48:49], vcc
	s_xor_b64 s[48:49], exec, s[48:49]
	s_cbranch_execz .LBB69_66
; %bb.59:                               ;   in Loop: Header=BB69_58 Depth=3
	v_cmp_ne_u32_e32 vcc, s33, v3
                                        ; implicit-def: $sgpr50_sgpr51
	s_and_saveexec_b64 s[52:53], vcc
	s_xor_b64 s[52:53], exec, s[52:53]
; %bb.60:                               ;   in Loop: Header=BB69_58 Depth=3
	v_add_u32_e32 v2, 1, v54
	v_and_b32_e32 v54, 0x7f, v2
	s_mov_b64 s[50:51], -1
                                        ; implicit-def: $vgpr2
; %bb.61:                               ;   in Loop: Header=BB69_58 Depth=3
	s_andn2_saveexec_b64 s[52:53], s[52:53]
	s_cbranch_execz .LBB69_65
; %bb.62:                               ;   in Loop: Header=BB69_58 Depth=3
	v_mov_b32_e32 v3, s33
	ds_cmpst_rtn_b32 v3, v2, v3, v29
	s_mov_b64 s[56:57], -1
	s_waitcnt lgkmcnt(0)
	v_cmp_eq_u32_e32 vcc, s33, v3
	s_and_saveexec_b64 s[54:55], vcc
	s_cbranch_execz .LBB69_64
; %bb.63:                               ;   in Loop: Header=BB69_58 Depth=3
	v_mad_u64_u32 v[2:3], s[56:57], v54, 60, v[2:3]
	ds_add_f64 v2, v[6:7] offset:560
	ds_add_f64 v2, v[8:9] offset:568
	s_xor_b64 s[56:57], exec, -1
.LBB69_64:                              ;   in Loop: Header=BB69_58 Depth=3
	s_or_b64 exec, exec, s[54:55]
	s_andn2_b64 s[50:51], s[50:51], exec
	s_and_b64 s[54:55], s[56:57], exec
	s_or_b64 s[50:51], s[50:51], s[54:55]
.LBB69_65:                              ;   in Loop: Header=BB69_58 Depth=3
	s_or_b64 exec, exec, s[52:53]
	s_and_b64 s[50:51], s[50:51], exec
                                        ; implicit-def: $vgpr2
.LBB69_66:                              ;   in Loop: Header=BB69_58 Depth=3
	s_andn2_saveexec_b64 s[48:49], s[48:49]
	s_cbranch_execz .LBB69_57
; %bb.67:                               ;   in Loop: Header=BB69_58 Depth=3
	v_mad_u64_u32 v[2:3], s[52:53], v54, 60, v[2:3]
	ds_add_f64 v2, v[6:7] offset:560
	ds_add_f64 v2, v[8:9] offset:568
	s_andn2_b64 s[50:51], s[50:51], exec
	s_branch .LBB69_57
.LBB69_68:
	s_or_b64 exec, exec, s[4:5]
.LBB69_69:
	s_andn2_b64 vcc, exec, s[34:35]
	s_waitcnt lgkmcnt(0)
	s_barrier
	s_cbranch_vccnz .LBB69_122
; %bb.70:
	s_lshl_b64 s[4:5], s[8:9], 2
	s_add_u32 s4, s12, s4
	s_addc_u32 s5, s13, s5
	s_load_dwordx2 s[4:5], s[4:5], 0x0
	v_subrev_u32_e32 v2, s39, v0
	s_waitcnt lgkmcnt(0)
	s_sub_i32 s36, s5, s39
	v_add_u32_e32 v14, s4, v2
	v_cmp_gt_i32_e32 vcc, s36, v14
	s_and_saveexec_b64 s[4:5], vcc
	s_cbranch_execz .LBB69_121
; %bb.71:
	s_cmp_eq_u32 s58, 0
	s_cselect_b32 s37, 1, 2
	s_cselect_b32 s40, 2, 1
	s_mov_b64 s[10:11], 0
	s_waitcnt vmcnt(0)
	v_mov_b32_e32 v25, s17
	v_mov_b32_e32 v26, s15
	s_branch .LBB69_73
.LBB69_72:                              ;   in Loop: Header=BB69_73 Depth=1
	s_or_b64 exec, exec, s[12:13]
	v_add_u32_e32 v14, 0x100, v14
	v_cmp_le_i32_e32 vcc, s36, v14
	s_or_b64 s[10:11], vcc, s[10:11]
	s_andn2_b64 exec, exec, s[10:11]
	s_cbranch_execz .LBB69_121
.LBB69_73:                              ; =>This Loop Header: Depth=1
                                        ;     Child Loop BB69_75 Depth 2
                                        ;     Child Loop BB69_87 Depth 2
                                        ;     Child Loop BB69_99 Depth 2
                                        ;     Child Loop BB69_111 Depth 2
	v_lshlrev_b32_e32 v6, 2, v14
	v_ashrrev_i32_e32 v7, 31, v6
	v_lshlrev_b64 v[2:3], 4, v[6:7]
	v_add_co_u32_e32 v8, vcc, s16, v2
	v_addc_co_u32_e32 v9, vcc, v25, v3, vcc
	global_load_dwordx4 v[28:31], v[8:9], off
	global_load_dwordx4 v[2:5], v[8:9], off offset:48
	v_or_b32_e32 v8, s37, v6
	v_ashrrev_i32_e32 v9, 31, v8
	v_lshlrev_b64 v[8:9], 4, v[8:9]
	v_ashrrev_i32_e32 v15, 31, v14
	v_add_co_u32_e32 v16, vcc, s16, v8
	v_addc_co_u32_e32 v17, vcc, v25, v9, vcc
	v_lshlrev_b64 v[8:9], 2, v[14:15]
	v_add_co_u32_e32 v8, vcc, s14, v8
	v_addc_co_u32_e32 v9, vcc, v26, v9, vcc
	global_load_dword v15, v[8:9], off
	v_or_b32_e32 v6, s40, v6
	v_ashrrev_i32_e32 v7, 31, v6
	v_lshlrev_b64 v[6:7], 4, v[6:7]
	v_add_co_u32_e32 v22, vcc, s16, v6
	v_addc_co_u32_e32 v23, vcc, v25, v7, vcc
	global_load_dwordx4 v[10:13], v[16:17], off
	global_load_dwordx4 v[6:9], v[22:23], off
	s_mov_b64 s[12:13], 0
	s_waitcnt vmcnt(4)
	v_mul_f64 v[16:17], v[30:31], -v[18:19]
	v_mul_f64 v[22:23], v[20:21], v[30:31]
	v_fmac_f64_e32 v[16:17], v[20:21], v[28:29]
	v_fmac_f64_e32 v[22:23], v[18:19], v[28:29]
	s_waitcnt vmcnt(2)
	v_subrev_u32_e32 v15, s39, v15
	v_lshl_add_u32 v24, v15, 3, v15
	v_and_b32_e32 v27, 0x7f, v24
	v_mov_b32_e32 v28, v27
	s_branch .LBB69_75
.LBB69_74:                              ;   in Loop: Header=BB69_75 Depth=2
	s_or_b64 exec, exec, s[20:21]
	s_xor_b64 s[20:21], s[22:23], -1
	s_and_b64 s[20:21], exec, s[20:21]
	s_or_b64 s[12:13], s[20:21], s[12:13]
	s_andn2_b64 exec, exec, s[12:13]
	s_cbranch_execz .LBB69_85
.LBB69_75:                              ;   Parent Loop BB69_73 Depth=1
                                        ; =>  This Inner Loop Header: Depth=2
	v_lshl_add_u32 v24, v28, 2, 0
	ds_read_b32 v29, v24
                                        ; implicit-def: $sgpr22_sgpr23
	s_waitcnt lgkmcnt(0)
	v_cmp_ne_u32_e32 vcc, v29, v15
	s_and_saveexec_b64 s[20:21], vcc
	s_xor_b64 s[20:21], exec, s[20:21]
	s_cbranch_execz .LBB69_83
; %bb.76:                               ;   in Loop: Header=BB69_75 Depth=2
	v_cmp_ne_u32_e32 vcc, s33, v29
                                        ; implicit-def: $sgpr22_sgpr23
	s_and_saveexec_b64 s[24:25], vcc
	s_xor_b64 s[24:25], exec, s[24:25]
; %bb.77:                               ;   in Loop: Header=BB69_75 Depth=2
	v_add_u32_e32 v24, 1, v28
	v_and_b32_e32 v28, 0x7f, v24
	s_mov_b64 s[22:23], -1
                                        ; implicit-def: $vgpr24
; %bb.78:                               ;   in Loop: Header=BB69_75 Depth=2
	s_andn2_saveexec_b64 s[24:25], s[24:25]
	s_cbranch_execz .LBB69_82
; %bb.79:                               ;   in Loop: Header=BB69_75 Depth=2
	v_mov_b32_e32 v29, s33
	ds_cmpst_rtn_b32 v29, v24, v29, v15
	s_mov_b64 s[34:35], -1
	s_waitcnt lgkmcnt(0)
	v_cmp_eq_u32_e32 vcc, s33, v29
	s_and_saveexec_b64 s[26:27], vcc
	s_cbranch_execz .LBB69_81
; %bb.80:                               ;   in Loop: Header=BB69_75 Depth=2
	v_mad_u64_u32 v[30:31], s[34:35], v28, 60, v[24:25]
	ds_add_f64 v30, v[16:17] offset:512
	ds_add_f64 v30, v[22:23] offset:520
	s_xor_b64 s[34:35], exec, -1
.LBB69_81:                              ;   in Loop: Header=BB69_75 Depth=2
	s_or_b64 exec, exec, s[26:27]
	s_andn2_b64 s[22:23], s[22:23], exec
	s_and_b64 s[26:27], s[34:35], exec
	s_or_b64 s[22:23], s[22:23], s[26:27]
.LBB69_82:                              ;   in Loop: Header=BB69_75 Depth=2
	s_or_b64 exec, exec, s[24:25]
	s_and_b64 s[22:23], s[22:23], exec
                                        ; implicit-def: $vgpr24
.LBB69_83:                              ;   in Loop: Header=BB69_75 Depth=2
	s_andn2_saveexec_b64 s[20:21], s[20:21]
	s_cbranch_execz .LBB69_74
; %bb.84:                               ;   in Loop: Header=BB69_75 Depth=2
	v_mad_u64_u32 v[30:31], s[24:25], v28, 60, v[24:25]
	ds_add_f64 v30, v[16:17] offset:512
	ds_add_f64 v30, v[22:23] offset:520
	s_andn2_b64 s[22:23], s[22:23], exec
	s_branch .LBB69_74
.LBB69_85:                              ;   in Loop: Header=BB69_73 Depth=1
	s_or_b64 exec, exec, s[12:13]
	s_waitcnt vmcnt(1)
	v_mul_f64 v[16:17], v[12:13], -v[18:19]
	v_mul_f64 v[12:13], v[20:21], v[12:13]
	v_fmac_f64_e32 v[16:17], v[20:21], v[10:11]
	v_fmac_f64_e32 v[12:13], v[18:19], v[10:11]
	s_mov_b64 s[12:13], 0
	v_mov_b32_e32 v11, v27
	s_branch .LBB69_87
.LBB69_86:                              ;   in Loop: Header=BB69_87 Depth=2
	s_or_b64 exec, exec, s[20:21]
	s_xor_b64 s[20:21], s[22:23], -1
	s_and_b64 s[20:21], exec, s[20:21]
	s_or_b64 s[12:13], s[20:21], s[12:13]
	s_andn2_b64 exec, exec, s[12:13]
	s_cbranch_execz .LBB69_97
.LBB69_87:                              ;   Parent Loop BB69_73 Depth=1
                                        ; =>  This Inner Loop Header: Depth=2
	v_lshl_add_u32 v10, v11, 2, 0
	ds_read_b32 v22, v10
                                        ; implicit-def: $sgpr22_sgpr23
	s_waitcnt lgkmcnt(0)
	v_cmp_ne_u32_e32 vcc, v22, v15
	s_and_saveexec_b64 s[20:21], vcc
	s_xor_b64 s[20:21], exec, s[20:21]
	s_cbranch_execz .LBB69_95
; %bb.88:                               ;   in Loop: Header=BB69_87 Depth=2
	v_cmp_ne_u32_e32 vcc, s33, v22
                                        ; implicit-def: $sgpr22_sgpr23
	s_and_saveexec_b64 s[24:25], vcc
	s_xor_b64 s[24:25], exec, s[24:25]
; %bb.89:                               ;   in Loop: Header=BB69_87 Depth=2
	v_add_u32_e32 v10, 1, v11
	v_and_b32_e32 v11, 0x7f, v10
	s_mov_b64 s[22:23], -1
                                        ; implicit-def: $vgpr10
; %bb.90:                               ;   in Loop: Header=BB69_87 Depth=2
	s_andn2_saveexec_b64 s[24:25], s[24:25]
	s_cbranch_execz .LBB69_94
; %bb.91:                               ;   in Loop: Header=BB69_87 Depth=2
	v_mov_b32_e32 v22, s33
	ds_cmpst_rtn_b32 v22, v10, v22, v15
	s_mov_b64 s[34:35], -1
	s_waitcnt lgkmcnt(0)
	v_cmp_eq_u32_e32 vcc, s33, v22
	s_and_saveexec_b64 s[26:27], vcc
	s_cbranch_execz .LBB69_93
; %bb.92:                               ;   in Loop: Header=BB69_87 Depth=2
	v_mad_u64_u32 v[22:23], s[34:35], v11, 60, v[10:11]
	ds_add_f64 v22, v[16:17] offset:528
	ds_add_f64 v22, v[12:13] offset:536
	s_xor_b64 s[34:35], exec, -1
.LBB69_93:                              ;   in Loop: Header=BB69_87 Depth=2
	s_or_b64 exec, exec, s[26:27]
	s_andn2_b64 s[22:23], s[22:23], exec
	s_and_b64 s[26:27], s[34:35], exec
	s_or_b64 s[22:23], s[22:23], s[26:27]
.LBB69_94:                              ;   in Loop: Header=BB69_87 Depth=2
	s_or_b64 exec, exec, s[24:25]
	s_and_b64 s[22:23], s[22:23], exec
                                        ; implicit-def: $vgpr10
.LBB69_95:                              ;   in Loop: Header=BB69_87 Depth=2
	s_andn2_saveexec_b64 s[20:21], s[20:21]
	s_cbranch_execz .LBB69_86
; %bb.96:                               ;   in Loop: Header=BB69_87 Depth=2
	v_mad_u64_u32 v[22:23], s[24:25], v11, 60, v[10:11]
	ds_add_f64 v22, v[16:17] offset:528
	ds_add_f64 v22, v[12:13] offset:536
	s_andn2_b64 s[22:23], s[22:23], exec
	s_branch .LBB69_86
.LBB69_97:                              ;   in Loop: Header=BB69_73 Depth=1
	s_or_b64 exec, exec, s[12:13]
	s_waitcnt vmcnt(0)
	v_mul_f64 v[10:11], v[8:9], -v[18:19]
	v_mul_f64 v[8:9], v[20:21], v[8:9]
	v_fmac_f64_e32 v[10:11], v[20:21], v[6:7]
	v_fmac_f64_e32 v[8:9], v[18:19], v[6:7]
	s_mov_b64 s[12:13], 0
	v_mov_b32_e32 v7, v27
	s_branch .LBB69_99
.LBB69_98:                              ;   in Loop: Header=BB69_99 Depth=2
	s_or_b64 exec, exec, s[20:21]
	s_xor_b64 s[20:21], s[22:23], -1
	s_and_b64 s[20:21], exec, s[20:21]
	s_or_b64 s[12:13], s[20:21], s[12:13]
	s_andn2_b64 exec, exec, s[12:13]
	s_cbranch_execz .LBB69_109
.LBB69_99:                              ;   Parent Loop BB69_73 Depth=1
                                        ; =>  This Inner Loop Header: Depth=2
	v_lshl_add_u32 v6, v7, 2, 0
	ds_read_b32 v12, v6
                                        ; implicit-def: $sgpr22_sgpr23
	s_waitcnt lgkmcnt(0)
	v_cmp_ne_u32_e32 vcc, v12, v15
	s_and_saveexec_b64 s[20:21], vcc
	s_xor_b64 s[20:21], exec, s[20:21]
	s_cbranch_execz .LBB69_107
; %bb.100:                              ;   in Loop: Header=BB69_99 Depth=2
	v_cmp_ne_u32_e32 vcc, s33, v12
                                        ; implicit-def: $sgpr22_sgpr23
	s_and_saveexec_b64 s[24:25], vcc
	s_xor_b64 s[24:25], exec, s[24:25]
; %bb.101:                              ;   in Loop: Header=BB69_99 Depth=2
	v_add_u32_e32 v6, 1, v7
	v_and_b32_e32 v7, 0x7f, v6
	s_mov_b64 s[22:23], -1
                                        ; implicit-def: $vgpr6
; %bb.102:                              ;   in Loop: Header=BB69_99 Depth=2
	s_andn2_saveexec_b64 s[24:25], s[24:25]
	s_cbranch_execz .LBB69_106
; %bb.103:                              ;   in Loop: Header=BB69_99 Depth=2
	v_mov_b32_e32 v12, s33
	ds_cmpst_rtn_b32 v12, v6, v12, v15
	s_mov_b64 s[34:35], -1
	s_waitcnt lgkmcnt(0)
	v_cmp_eq_u32_e32 vcc, s33, v12
	s_and_saveexec_b64 s[26:27], vcc
	s_cbranch_execz .LBB69_105
; %bb.104:                              ;   in Loop: Header=BB69_99 Depth=2
	v_mad_u64_u32 v[12:13], s[34:35], v7, 60, v[6:7]
	ds_add_f64 v12, v[10:11] offset:544
	ds_add_f64 v12, v[8:9] offset:552
	s_xor_b64 s[34:35], exec, -1
.LBB69_105:                             ;   in Loop: Header=BB69_99 Depth=2
	s_or_b64 exec, exec, s[26:27]
	s_andn2_b64 s[22:23], s[22:23], exec
	s_and_b64 s[26:27], s[34:35], exec
	s_or_b64 s[22:23], s[22:23], s[26:27]
.LBB69_106:                             ;   in Loop: Header=BB69_99 Depth=2
	s_or_b64 exec, exec, s[24:25]
	s_and_b64 s[22:23], s[22:23], exec
                                        ; implicit-def: $vgpr6
.LBB69_107:                             ;   in Loop: Header=BB69_99 Depth=2
	s_andn2_saveexec_b64 s[20:21], s[20:21]
	s_cbranch_execz .LBB69_98
; %bb.108:                              ;   in Loop: Header=BB69_99 Depth=2
	v_mad_u64_u32 v[12:13], s[24:25], v7, 60, v[6:7]
	ds_add_f64 v12, v[10:11] offset:544
	ds_add_f64 v12, v[8:9] offset:552
	s_andn2_b64 s[22:23], s[22:23], exec
	s_branch .LBB69_98
.LBB69_109:                             ;   in Loop: Header=BB69_73 Depth=1
	s_or_b64 exec, exec, s[12:13]
	v_mul_f64 v[6:7], v[4:5], -v[18:19]
	v_mul_f64 v[4:5], v[20:21], v[4:5]
	v_fmac_f64_e32 v[6:7], v[20:21], v[2:3]
	v_fmac_f64_e32 v[4:5], v[18:19], v[2:3]
	s_mov_b64 s[12:13], 0
	s_branch .LBB69_111
.LBB69_110:                             ;   in Loop: Header=BB69_111 Depth=2
	s_or_b64 exec, exec, s[20:21]
	s_xor_b64 s[20:21], s[22:23], -1
	s_and_b64 s[20:21], exec, s[20:21]
	s_or_b64 s[12:13], s[20:21], s[12:13]
	s_andn2_b64 exec, exec, s[12:13]
	s_cbranch_execz .LBB69_72
.LBB69_111:                             ;   Parent Loop BB69_73 Depth=1
                                        ; =>  This Inner Loop Header: Depth=2
	v_lshl_add_u32 v2, v27, 2, 0
	ds_read_b32 v3, v2
                                        ; implicit-def: $sgpr22_sgpr23
	s_waitcnt lgkmcnt(0)
	v_cmp_ne_u32_e32 vcc, v3, v15
	s_and_saveexec_b64 s[20:21], vcc
	s_xor_b64 s[20:21], exec, s[20:21]
	s_cbranch_execz .LBB69_119
; %bb.112:                              ;   in Loop: Header=BB69_111 Depth=2
	v_cmp_ne_u32_e32 vcc, s33, v3
                                        ; implicit-def: $sgpr22_sgpr23
	s_and_saveexec_b64 s[24:25], vcc
	s_xor_b64 s[24:25], exec, s[24:25]
; %bb.113:                              ;   in Loop: Header=BB69_111 Depth=2
	v_add_u32_e32 v2, 1, v27
	v_and_b32_e32 v27, 0x7f, v2
	s_mov_b64 s[22:23], -1
                                        ; implicit-def: $vgpr2
; %bb.114:                              ;   in Loop: Header=BB69_111 Depth=2
	s_andn2_saveexec_b64 s[24:25], s[24:25]
	s_cbranch_execz .LBB69_118
; %bb.115:                              ;   in Loop: Header=BB69_111 Depth=2
	v_mov_b32_e32 v3, s33
	ds_cmpst_rtn_b32 v3, v2, v3, v15
	s_mov_b64 s[34:35], -1
	s_waitcnt lgkmcnt(0)
	v_cmp_eq_u32_e32 vcc, s33, v3
	s_and_saveexec_b64 s[26:27], vcc
	s_cbranch_execz .LBB69_117
; %bb.116:                              ;   in Loop: Header=BB69_111 Depth=2
	v_mad_u64_u32 v[2:3], s[34:35], v27, 60, v[2:3]
	ds_add_f64 v2, v[6:7] offset:560
	ds_add_f64 v2, v[4:5] offset:568
	s_xor_b64 s[34:35], exec, -1
.LBB69_117:                             ;   in Loop: Header=BB69_111 Depth=2
	s_or_b64 exec, exec, s[26:27]
	s_andn2_b64 s[22:23], s[22:23], exec
	s_and_b64 s[26:27], s[34:35], exec
	s_or_b64 s[22:23], s[22:23], s[26:27]
.LBB69_118:                             ;   in Loop: Header=BB69_111 Depth=2
	s_or_b64 exec, exec, s[24:25]
	s_and_b64 s[22:23], s[22:23], exec
                                        ; implicit-def: $vgpr2
.LBB69_119:                             ;   in Loop: Header=BB69_111 Depth=2
	s_andn2_saveexec_b64 s[20:21], s[20:21]
	s_cbranch_execz .LBB69_110
; %bb.120:                              ;   in Loop: Header=BB69_111 Depth=2
	v_mad_u64_u32 v[2:3], s[24:25], v27, 60, v[2:3]
	ds_add_f64 v2, v[6:7] offset:560
	ds_add_f64 v2, v[4:5] offset:568
	s_andn2_b64 s[22:23], s[22:23], exec
	s_branch .LBB69_110
.LBB69_121:
	s_or_b64 exec, exec, s[4:5]
.LBB69_122:
	s_waitcnt lgkmcnt(0)
	s_barrier
	s_and_saveexec_b64 s[4:5], s[6:7]
	s_cbranch_execz .LBB69_125
; %bb.123:
	ds_read_b32 v1, v1
	s_waitcnt lgkmcnt(0)
	v_cmp_gt_i32_e32 vcc, s33, v1
	s_and_b64 exec, exec, vcc
	s_cbranch_execz .LBB69_125
; %bb.124:
	s_lshl_b64 s[4:5], s[8:9], 2
	s_add_u32 s4, s18, s4
	s_addc_u32 s5, s19, s5
	v_mov_b32_e32 v2, 0
	s_load_dword s5, s[4:5], 0x0
	ds_read2_b32 v[4:5], v2 offset1:1
	ds_read2_b32 v[6:7], v2 offset0:2 offset1:3
	ds_read2_b32 v[8:9], v2 offset0:4 offset1:5
	;; [unrolled: 1-line block ×3, first 2 shown]
	s_add_i32 s4, 0, 0x200
	s_waitcnt vmcnt(0)
	v_mov_b32_e32 v18, s31
	s_waitcnt lgkmcnt(0)
	s_sub_i32 s5, s5, s38
	v_cmp_gt_i32_e32 vcc, v1, v4
	v_cndmask_b32_e64 v3, 0, 1, vcc
	v_mov_b32_e32 v4, s5
	v_cmp_gt_i32_e32 vcc, v1, v5
	v_addc_co_u32_e32 v3, vcc, v4, v3, vcc
	v_cmp_gt_i32_e32 vcc, v1, v6
	v_cndmask_b32_e64 v4, 0, 1, vcc
	v_cmp_gt_i32_e32 vcc, v1, v7
	v_addc_co_u32_e32 v3, vcc, v3, v4, vcc
	v_cmp_gt_i32_e32 vcc, v1, v8
	v_cndmask_b32_e64 v4, 0, 1, vcc
	v_cmp_gt_i32_e32 vcc, v1, v9
	v_addc_co_u32_e32 v3, vcc, v3, v4, vcc
	ds_read2_b32 v[4:5], v2 offset0:8 offset1:9
	v_cmp_gt_i32_e32 vcc, v1, v10
	v_cndmask_b32_e64 v6, 0, 1, vcc
	v_cmp_gt_i32_e32 vcc, v1, v11
	v_addc_co_u32_e32 v3, vcc, v3, v6, vcc
	ds_read2_b32 v[6:7], v2 offset0:10 offset1:11
	ds_read2_b32 v[8:9], v2 offset0:12 offset1:13
	ds_read2_b32 v[10:11], v2 offset0:14 offset1:15
	s_waitcnt lgkmcnt(3)
	v_cmp_gt_i32_e32 vcc, v1, v4
	v_cndmask_b32_e64 v4, 0, 1, vcc
	v_cmp_gt_i32_e32 vcc, v1, v5
	v_addc_co_u32_e32 v3, vcc, v3, v4, vcc
	s_waitcnt lgkmcnt(2)
	v_cmp_gt_i32_e32 vcc, v1, v6
	v_cndmask_b32_e64 v4, 0, 1, vcc
	v_cmp_gt_i32_e32 vcc, v1, v7
	v_addc_co_u32_e32 v3, vcc, v3, v4, vcc
	s_waitcnt lgkmcnt(1)
	v_cmp_gt_i32_e32 vcc, v1, v8
	v_cndmask_b32_e64 v4, 0, 1, vcc
	v_cmp_gt_i32_e32 vcc, v1, v9
	v_addc_co_u32_e32 v3, vcc, v3, v4, vcc
	ds_read2_b32 v[4:5], v2 offset0:16 offset1:17
	s_waitcnt lgkmcnt(1)
	v_cmp_gt_i32_e32 vcc, v1, v10
	v_cndmask_b32_e64 v6, 0, 1, vcc
	v_cmp_gt_i32_e32 vcc, v1, v11
	v_addc_co_u32_e32 v3, vcc, v3, v6, vcc
	ds_read2_b32 v[6:7], v2 offset0:18 offset1:19
	ds_read2_b32 v[8:9], v2 offset0:20 offset1:21
	ds_read2_b32 v[10:11], v2 offset0:22 offset1:23
	s_waitcnt lgkmcnt(3)
	v_cmp_gt_i32_e32 vcc, v1, v4
	v_cndmask_b32_e64 v4, 0, 1, vcc
	v_cmp_gt_i32_e32 vcc, v1, v5
	v_addc_co_u32_e32 v3, vcc, v3, v4, vcc
	s_waitcnt lgkmcnt(2)
	v_cmp_gt_i32_e32 vcc, v1, v6
	v_cndmask_b32_e64 v4, 0, 1, vcc
	v_cmp_gt_i32_e32 vcc, v1, v7
	v_addc_co_u32_e32 v3, vcc, v3, v4, vcc
	s_waitcnt lgkmcnt(1)
	v_cmp_gt_i32_e32 vcc, v1, v8
	v_cndmask_b32_e64 v4, 0, 1, vcc
	v_cmp_gt_i32_e32 vcc, v1, v9
	v_addc_co_u32_e32 v3, vcc, v3, v4, vcc
	ds_read2_b32 v[4:5], v2 offset0:24 offset1:25
	s_waitcnt lgkmcnt(1)
	;; [unrolled: 24-line block ×14, first 2 shown]
	v_cmp_gt_i32_e32 vcc, v1, v10
	v_cndmask_b32_e64 v6, 0, 1, vcc
	v_cmp_gt_i32_e32 vcc, v1, v11
	v_addc_co_u32_e32 v10, vcc, v3, v6, vcc
	ds_read2_b32 v[6:7], v2 offset0:122 offset1:123
	ds_read2_b32 v[8:9], v2 offset0:124 offset1:125
	;; [unrolled: 1-line block ×3, first 2 shown]
	s_waitcnt lgkmcnt(3)
	v_cmp_gt_i32_e32 vcc, v1, v4
	v_cndmask_b32_e64 v4, 0, 1, vcc
	v_cmp_gt_i32_e32 vcc, v1, v5
	v_addc_co_u32_e32 v4, vcc, v10, v4, vcc
	s_waitcnt lgkmcnt(2)
	v_cmp_gt_i32_e32 vcc, v1, v6
	v_cndmask_b32_e64 v5, 0, 1, vcc
	v_cmp_gt_i32_e32 vcc, v1, v7
	v_addc_co_u32_e32 v4, vcc, v4, v5, vcc
	;; [unrolled: 5-line block ×4, first 2 shown]
	v_ashrrev_i32_e32 v3, 31, v2
	v_lshlrev_b64 v[4:5], 2, v[2:3]
	v_mov_b32_e32 v3, s29
	v_add_co_u32_e32 v4, vcc, s28, v4
	v_add_u32_e32 v1, s38, v1
	v_addc_co_u32_e32 v5, vcc, v3, v5, vcc
	s_cmp_eq_u32 s58, 0
	global_store_dword v[4:5], v1, off
	v_lshlrev_b32_e32 v3, 2, v0
	v_lshlrev_b32_e32 v4, 6, v0
	v_lshlrev_b32_e32 v0, 2, v2
	v_ashrrev_i32_e32 v1, 31, v0
	v_add_u32_e32 v12, s4, v4
	s_cselect_b32 s4, 1, 2
	s_cselect_b32 s5, 2, 1
	v_lshlrev_b64 v[16:17], 4, v[0:1]
	v_or_b32_e32 v0, s4, v3
	v_or_b32_e32 v1, s5, v3
	v_add_u32_e32 v8, 0, v4
	v_lshl_add_u32 v0, v0, 4, 0
	v_lshl_add_u32 v4, v1, 4, 0
	ds_read2_b64 v[0:3], v0 offset0:64 offset1:65
	ds_read2_b64 v[4:7], v4 offset0:64 offset1:65
	;; [unrolled: 1-line block ×4, first 2 shown]
	v_add_co_u32_e32 v16, vcc, s30, v16
	v_addc_co_u32_e32 v17, vcc, v18, v17, vcc
	s_waitcnt lgkmcnt(1)
	global_store_dwordx4 v[16:17], v[8:11], off
	global_store_dwordx4 v[16:17], v[0:3], off offset:16
	global_store_dwordx4 v[16:17], v[4:7], off offset:32
	s_waitcnt lgkmcnt(0)
	global_store_dwordx4 v[16:17], v[12:15], off offset:48
.LBB69_125:
	s_endpgm
	.section	.rodata,"a",@progbits
	.p2align	6, 0x0
	.amdhsa_kernel _ZN9rocsparseL30bsrgemm_fill_block_per_row_2x2ILj256ELj16ELj128ELj137Eii21rocsparse_complex_numIdEEEv20rocsparse_direction_T4_S4_PKS4_S6_NS_24const_host_device_scalarIT5_EEPKT3_S6_PKS8_SC_S6_SE_S9_SC_S6_SE_SC_PS4_PS8_21rocsparse_index_base_SH_SH_SH_bbb
		.amdhsa_group_segment_fixed_size 0
		.amdhsa_private_segment_fixed_size 24
		.amdhsa_kernarg_size 180
		.amdhsa_user_sgpr_count 8
		.amdhsa_user_sgpr_private_segment_buffer 1
		.amdhsa_user_sgpr_dispatch_ptr 0
		.amdhsa_user_sgpr_queue_ptr 0
		.amdhsa_user_sgpr_kernarg_segment_ptr 1
		.amdhsa_user_sgpr_dispatch_id 0
		.amdhsa_user_sgpr_flat_scratch_init 1
		.amdhsa_user_sgpr_kernarg_preload_length 0
		.amdhsa_user_sgpr_kernarg_preload_offset 0
		.amdhsa_user_sgpr_private_segment_size 0
		.amdhsa_uses_dynamic_stack 0
		.amdhsa_system_sgpr_private_segment_wavefront_offset 1
		.amdhsa_system_sgpr_workgroup_id_x 1
		.amdhsa_system_sgpr_workgroup_id_y 0
		.amdhsa_system_sgpr_workgroup_id_z 0
		.amdhsa_system_sgpr_workgroup_info 0
		.amdhsa_system_vgpr_workitem_id 0
		.amdhsa_next_free_vgpr 58
		.amdhsa_next_free_sgpr 62
		.amdhsa_accum_offset 60
		.amdhsa_reserve_vcc 1
		.amdhsa_reserve_flat_scratch 1
		.amdhsa_float_round_mode_32 0
		.amdhsa_float_round_mode_16_64 0
		.amdhsa_float_denorm_mode_32 3
		.amdhsa_float_denorm_mode_16_64 3
		.amdhsa_dx10_clamp 1
		.amdhsa_ieee_mode 1
		.amdhsa_fp16_overflow 0
		.amdhsa_tg_split 0
		.amdhsa_exception_fp_ieee_invalid_op 0
		.amdhsa_exception_fp_denorm_src 0
		.amdhsa_exception_fp_ieee_div_zero 0
		.amdhsa_exception_fp_ieee_overflow 0
		.amdhsa_exception_fp_ieee_underflow 0
		.amdhsa_exception_fp_ieee_inexact 0
		.amdhsa_exception_int_div_zero 0
	.end_amdhsa_kernel
	.section	.text._ZN9rocsparseL30bsrgemm_fill_block_per_row_2x2ILj256ELj16ELj128ELj137Eii21rocsparse_complex_numIdEEEv20rocsparse_direction_T4_S4_PKS4_S6_NS_24const_host_device_scalarIT5_EEPKT3_S6_PKS8_SC_S6_SE_S9_SC_S6_SE_SC_PS4_PS8_21rocsparse_index_base_SH_SH_SH_bbb,"axG",@progbits,_ZN9rocsparseL30bsrgemm_fill_block_per_row_2x2ILj256ELj16ELj128ELj137Eii21rocsparse_complex_numIdEEEv20rocsparse_direction_T4_S4_PKS4_S6_NS_24const_host_device_scalarIT5_EEPKT3_S6_PKS8_SC_S6_SE_S9_SC_S6_SE_SC_PS4_PS8_21rocsparse_index_base_SH_SH_SH_bbb,comdat
.Lfunc_end69:
	.size	_ZN9rocsparseL30bsrgemm_fill_block_per_row_2x2ILj256ELj16ELj128ELj137Eii21rocsparse_complex_numIdEEEv20rocsparse_direction_T4_S4_PKS4_S6_NS_24const_host_device_scalarIT5_EEPKT3_S6_PKS8_SC_S6_SE_S9_SC_S6_SE_SC_PS4_PS8_21rocsparse_index_base_SH_SH_SH_bbb, .Lfunc_end69-_ZN9rocsparseL30bsrgemm_fill_block_per_row_2x2ILj256ELj16ELj128ELj137Eii21rocsparse_complex_numIdEEEv20rocsparse_direction_T4_S4_PKS4_S6_NS_24const_host_device_scalarIT5_EEPKT3_S6_PKS8_SC_S6_SE_S9_SC_S6_SE_SC_PS4_PS8_21rocsparse_index_base_SH_SH_SH_bbb
                                        ; -- End function
	.section	.AMDGPU.csdata,"",@progbits
; Kernel info:
; codeLenInByte = 6032
; NumSgprs: 68
; NumVgprs: 58
; NumAgprs: 0
; TotalNumVgprs: 58
; ScratchSize: 24
; MemoryBound: 0
; FloatMode: 240
; IeeeMode: 1
; LDSByteSize: 0 bytes/workgroup (compile time only)
; SGPRBlocks: 8
; VGPRBlocks: 7
; NumSGPRsForWavesPerEU: 68
; NumVGPRsForWavesPerEU: 58
; AccumOffset: 60
; Occupancy: 8
; WaveLimiterHint : 1
; COMPUTE_PGM_RSRC2:SCRATCH_EN: 1
; COMPUTE_PGM_RSRC2:USER_SGPR: 8
; COMPUTE_PGM_RSRC2:TRAP_HANDLER: 0
; COMPUTE_PGM_RSRC2:TGID_X_EN: 1
; COMPUTE_PGM_RSRC2:TGID_Y_EN: 0
; COMPUTE_PGM_RSRC2:TGID_Z_EN: 0
; COMPUTE_PGM_RSRC2:TIDIG_COMP_CNT: 0
; COMPUTE_PGM_RSRC3_GFX90A:ACCUM_OFFSET: 14
; COMPUTE_PGM_RSRC3_GFX90A:TG_SPLIT: 0
	.section	.text._ZN9rocsparseL30bsrgemm_fill_block_per_row_2x2ILj256ELj16ELj256ELj137Eii21rocsparse_complex_numIdEEEv20rocsparse_direction_T4_S4_PKS4_S6_NS_24const_host_device_scalarIT5_EEPKT3_S6_PKS8_SC_S6_SE_S9_SC_S6_SE_SC_PS4_PS8_21rocsparse_index_base_SH_SH_SH_bbb,"axG",@progbits,_ZN9rocsparseL30bsrgemm_fill_block_per_row_2x2ILj256ELj16ELj256ELj137Eii21rocsparse_complex_numIdEEEv20rocsparse_direction_T4_S4_PKS4_S6_NS_24const_host_device_scalarIT5_EEPKT3_S6_PKS8_SC_S6_SE_S9_SC_S6_SE_SC_PS4_PS8_21rocsparse_index_base_SH_SH_SH_bbb,comdat
	.globl	_ZN9rocsparseL30bsrgemm_fill_block_per_row_2x2ILj256ELj16ELj256ELj137Eii21rocsparse_complex_numIdEEEv20rocsparse_direction_T4_S4_PKS4_S6_NS_24const_host_device_scalarIT5_EEPKT3_S6_PKS8_SC_S6_SE_S9_SC_S6_SE_SC_PS4_PS8_21rocsparse_index_base_SH_SH_SH_bbb ; -- Begin function _ZN9rocsparseL30bsrgemm_fill_block_per_row_2x2ILj256ELj16ELj256ELj137Eii21rocsparse_complex_numIdEEEv20rocsparse_direction_T4_S4_PKS4_S6_NS_24const_host_device_scalarIT5_EEPKT3_S6_PKS8_SC_S6_SE_S9_SC_S6_SE_SC_PS4_PS8_21rocsparse_index_base_SH_SH_SH_bbb
	.p2align	8
	.type	_ZN9rocsparseL30bsrgemm_fill_block_per_row_2x2ILj256ELj16ELj256ELj137Eii21rocsparse_complex_numIdEEEv20rocsparse_direction_T4_S4_PKS4_S6_NS_24const_host_device_scalarIT5_EEPKT3_S6_PKS8_SC_S6_SE_S9_SC_S6_SE_SC_PS4_PS8_21rocsparse_index_base_SH_SH_SH_bbb,@function
_ZN9rocsparseL30bsrgemm_fill_block_per_row_2x2ILj256ELj16ELj256ELj137Eii21rocsparse_complex_numIdEEEv20rocsparse_direction_T4_S4_PKS4_S6_NS_24const_host_device_scalarIT5_EEPKT3_S6_PKS8_SC_S6_SE_S9_SC_S6_SE_SC_PS4_PS8_21rocsparse_index_base_SH_SH_SH_bbb: ; @_ZN9rocsparseL30bsrgemm_fill_block_per_row_2x2ILj256ELj16ELj256ELj137Eii21rocsparse_complex_numIdEEEv20rocsparse_direction_T4_S4_PKS4_S6_NS_24const_host_device_scalarIT5_EEPKT3_S6_PKS8_SC_S6_SE_S9_SC_S6_SE_SC_PS4_PS8_21rocsparse_index_base_SH_SH_SH_bbb
; %bb.0:
	s_add_u32 flat_scratch_lo, s6, s9
	s_addc_u32 flat_scratch_hi, s7, 0
	s_add_u32 s0, s0, s9
	s_load_dword s9, s[4:5], 0xb0
	s_load_dwordx4 s[16:19], s[4:5], 0x20
	s_load_dwordx4 s[12:15], s[4:5], 0x60
	s_addc_u32 s1, s1, 0
	v_pk_mov_b32 v[18:19], 0, 0
	s_waitcnt lgkmcnt(0)
	s_bitcmp1_b32 s9, 0
	v_mov_b32_e32 v1, s17
	s_cselect_b64 s[48:49], -1, 0
	s_bitcmp1_b32 s9, 16
	buffer_store_dword v1, off, s[0:3], 0 offset:4
	v_mov_b32_e32 v1, s16
	s_cselect_b64 s[6:7], -1, 0
	buffer_store_dword v1, off, s[0:3], 0
	v_mov_b32_e32 v1, s13
	buffer_store_dword v1, off, s[0:3], 0 offset:12
	v_mov_b32_e32 v1, s12
	s_xor_b64 s[10:11], s[6:7], -1
	buffer_store_dword v1, off, s[0:3], 0 offset:8
	v_cndmask_b32_e64 v1, 0, 1, s[10:11]
	s_bitcmp0_b32 s9, 0
	v_cmp_ne_u32_e64 s[10:11], 1, v1
	v_pk_mov_b32 v[22:23], v[18:19], v[18:19] op_sel:[0,1]
	v_pk_mov_b32 v[24:25], v[18:19], v[18:19] op_sel:[0,1]
	s_cbranch_scc1 .LBB70_3
; %bb.1:
	s_mov_b64 s[20:21], src_private_base
	s_and_b64 s[22:23], s[6:7], exec
	s_cselect_b32 s20, s21, s17
	v_mov_b32_e32 v1, 0
	v_mov_b32_e32 v2, s16
	v_cndmask_b32_e64 v2, v2, v1, s[6:7]
	v_mov_b32_e32 v3, s20
	flat_load_dwordx2 v[22:23], v[2:3]
	s_and_b64 vcc, exec, s[10:11]
	v_pk_mov_b32 v[24:25], s[18:19], s[18:19] op_sel:[0,1]
	s_cbranch_vccnz .LBB70_3
; %bb.2:
	v_pk_mov_b32 v[2:3], s[16:17], s[16:17] op_sel:[0,1]
	flat_load_dwordx2 v[24:25], v[2:3] offset:8
.LBB70_3:
	s_load_dwordx4 s[28:31], s[4:5], 0xa0
	s_bitcmp1_b32 s9, 8
	s_cselect_b64 s[34:35], -1, 0
	s_bfe_u32 s9, s9, 0x10008
	s_cmp_eq_u32 s9, 0
	v_pk_mov_b32 v[20:21], v[18:19], v[18:19] op_sel:[0,1]
	s_cbranch_scc1 .LBB70_6
; %bb.4:
	s_mov_b64 s[16:17], src_private_base
	s_and_b64 s[18:19], s[6:7], exec
	s_cselect_b32 s9, s17, s13
	v_mov_b32_e32 v1, 8
	v_mov_b32_e32 v2, s12
	v_cndmask_b32_e64 v2, v2, v1, s[6:7]
	v_mov_b32_e32 v3, s9
	flat_load_dwordx2 v[20:21], v[2:3]
	s_and_b64 vcc, exec, s[10:11]
	v_pk_mov_b32 v[18:19], s[14:15], s[14:15] op_sel:[0,1]
	s_cbranch_vccnz .LBB70_6
; %bb.5:
	v_pk_mov_b32 v[2:3], s[12:13], s[12:13] op_sel:[0,1]
	flat_load_dwordx2 v[18:19], v[2:3] offset:8
.LBB70_6:
	s_load_dwordx4 s[36:39], s[4:5], 0x90
	s_load_dwordx8 s[12:19], s[4:5], 0x70
	s_load_dwordx4 s[40:43], s[4:5], 0x50
	s_load_dwordx8 s[20:27], s[4:5], 0x30
	s_load_dwordx4 s[44:47], s[4:5], 0x10
	s_load_dword s58, s[4:5], 0x8
	s_movk_i32 s6, 0x100
	v_cmp_gt_u32_e64 s[6:7], s6, v0
	v_lshl_add_u32 v51, v0, 2, 0
	s_and_saveexec_b64 s[10:11], s[6:7]
	s_cbranch_execz .LBB70_8
; %bb.7:
	s_waitcnt lgkmcnt(0)
	v_mov_b32_e32 v1, s58
	ds_write_b32 v51, v1
.LBB70_8:
	s_or_b64 exec, exec, s[10:11]
	s_mov_b32 s50, 0
	v_lshl_add_u32 v1, v0, 4, 0
	s_mov_b32 s51, s50
	s_mov_b32 s52, s50
	;; [unrolled: 1-line block ×3, first 2 shown]
	v_add_u32_e32 v1, 0x400, v1
	v_or_b32_e32 v6, 0xffffff00, v0
	s_mov_b64 s[10:11], 0
	v_pk_mov_b32 v[2:3], s[50:51], s[50:51] op_sel:[0,1]
	v_pk_mov_b32 v[4:5], s[52:53], s[52:53] op_sel:[0,1]
	s_movk_i32 s9, 0x2ff
.LBB70_9:                               ; =>This Inner Loop Header: Depth=1
	v_add_u32_e32 v6, 0x100, v6
	v_cmp_lt_u32_e32 vcc, s9, v6
	ds_write2_b64 v1, v[2:3], v[4:5] offset1:1
	s_or_b64 s[10:11], vcc, s[10:11]
	v_add_u32_e32 v1, 0x1000, v1
	s_andn2_b64 exec, exec, s[10:11]
	s_cbranch_execnz .LBB70_9
; %bb.10:
	s_or_b64 exec, exec, s[10:11]
	s_waitcnt lgkmcnt(0)
	s_cmp_lg_u64 s[46:47], 0
	s_barrier
	s_cbranch_scc0 .LBB70_12
; %bb.11:
	s_load_dword s9, s[44:45], 0x0
	s_waitcnt lgkmcnt(0)
	s_add_i32 s8, s9, s8
	s_mov_b32 s9, 0
	s_lshl_b64 s[8:9], s[8:9], 2
	s_add_u32 s8, s46, s8
	s_addc_u32 s9, s47, s9
	s_load_dword s8, s[8:9], 0x0
.LBB70_12:
	s_nop 0
	s_load_dword s33, s[4:5], 0x0
	s_andn2_b64 vcc, exec, s[48:49]
	s_waitcnt lgkmcnt(0)
	s_ashr_i32 s9, s8, 31
	s_cbranch_vccnz .LBB70_68
; %bb.13:
	s_lshl_b64 s[4:5], s[8:9], 2
	s_add_u32 s4, s20, s4
	s_addc_u32 s5, s21, s5
	s_load_dwordx2 s[4:5], s[4:5], 0x0
	v_lshrrev_b32_e32 v1, 4, v0
	v_subrev_u32_e32 v1, s28, v1
	s_waitcnt lgkmcnt(0)
	s_sub_i32 s59, s5, s28
	v_add_u32_e32 v26, s4, v1
	v_cmp_gt_i32_e32 vcc, s59, v26
	s_and_saveexec_b64 s[4:5], vcc
	s_cbranch_execz .LBB70_67
; %bb.14:
	v_and_b32_e32 v1, 15, v0
	s_cmp_eq_u32 s33, 0
	v_subrev_u32_e32 v1, s29, v1
	s_cselect_b32 s60, 1, 2
	s_cselect_b32 s61, 2, 1
	s_mov_b64 s[10:11], 0
	v_mov_b32_e32 v52, s23
	v_mov_b32_e32 v53, s27
	s_movk_i32 s23, 0x89
	s_branch .LBB70_16
.LBB70_15:                              ;   in Loop: Header=BB70_16 Depth=1
	s_or_b64 exec, exec, s[20:21]
	v_add_u32_e32 v26, 16, v26
	v_cmp_le_i32_e32 vcc, s59, v26
	s_or_b64 s[10:11], vcc, s[10:11]
	s_andn2_b64 exec, exec, s[10:11]
	s_cbranch_execz .LBB70_67
.LBB70_16:                              ; =>This Loop Header: Depth=1
                                        ;     Child Loop BB70_19 Depth 2
                                        ;       Child Loop BB70_21 Depth 3
                                        ;       Child Loop BB70_33 Depth 3
	;; [unrolled: 1-line block ×4, first 2 shown]
	v_ashrrev_i32_e32 v27, 31, v26
	v_lshlrev_b64 v[2:3], 2, v[26:27]
	v_add_co_u32_e32 v2, vcc, s22, v2
	v_addc_co_u32_e32 v3, vcc, v52, v3, vcc
	global_load_dword v2, v[2:3], off
	s_waitcnt vmcnt(0)
	v_subrev_u32_e32 v2, s28, v2
	v_ashrrev_i32_e32 v3, 31, v2
	v_lshlrev_b64 v[2:3], 2, v[2:3]
	v_add_co_u32_e32 v2, vcc, s26, v2
	v_addc_co_u32_e32 v3, vcc, v53, v3, vcc
	global_load_dwordx2 v[2:3], v[2:3], off
	s_waitcnt vmcnt(0)
	v_subrev_u32_e32 v27, s29, v3
	v_add_u32_e32 v28, v2, v1
	v_cmp_lt_i32_e32 vcc, v28, v27
	s_and_saveexec_b64 s[20:21], vcc
	s_cbranch_execz .LBB70_15
; %bb.17:                               ;   in Loop: Header=BB70_16 Depth=1
	v_lshlrev_b32_e32 v14, 2, v26
	v_ashrrev_i32_e32 v15, 31, v14
	v_lshlrev_b64 v[2:3], 4, v[14:15]
	v_mov_b32_e32 v16, s25
	v_add_co_u32_e32 v10, vcc, s24, v2
	v_addc_co_u32_e32 v11, vcc, v16, v3, vcc
	global_load_dwordx4 v[2:5], v[10:11], off
	global_load_dwordx4 v[6:9], v[10:11], off offset:48
	v_or_b32_e32 v10, s60, v14
	v_ashrrev_i32_e32 v11, 31, v10
	v_lshlrev_b64 v[10:11], 4, v[10:11]
	v_or_b32_e32 v14, s61, v14
	v_add_co_u32_e32 v10, vcc, s24, v10
	v_ashrrev_i32_e32 v15, 31, v14
	v_addc_co_u32_e32 v11, vcc, v16, v11, vcc
	v_lshlrev_b64 v[14:15], 4, v[14:15]
	v_add_co_u32_e32 v14, vcc, s24, v14
	v_addc_co_u32_e32 v15, vcc, v16, v15, vcc
	global_load_dwordx4 v[10:13], v[10:11], off
	s_mov_b64 s[44:45], 0
	global_load_dwordx4 v[14:17], v[14:15], off
	s_waitcnt vmcnt(3)
	v_mul_f64 v[30:31], v[4:5], -v[24:25]
	v_mul_f64 v[32:33], v[22:23], v[4:5]
	s_waitcnt vmcnt(2)
	v_mul_f64 v[34:35], v[8:9], -v[24:25]
	v_mul_f64 v[36:37], v[22:23], v[8:9]
	v_fmac_f64_e32 v[30:31], v[22:23], v[2:3]
	v_fmac_f64_e32 v[32:33], v[24:25], v[2:3]
	;; [unrolled: 1-line block ×4, first 2 shown]
	s_waitcnt vmcnt(1)
	v_mul_f64 v[38:39], v[12:13], -v[24:25]
	v_mul_f64 v[40:41], v[22:23], v[12:13]
	s_waitcnt vmcnt(0)
	v_mul_f64 v[42:43], v[16:17], -v[24:25]
	v_mul_f64 v[44:45], v[22:23], v[16:17]
	v_fmac_f64_e32 v[38:39], v[22:23], v[10:11]
	v_fmac_f64_e32 v[40:41], v[24:25], v[10:11]
	;; [unrolled: 1-line block ×4, first 2 shown]
	s_branch .LBB70_19
.LBB70_18:                              ;   in Loop: Header=BB70_19 Depth=2
	s_or_b64 exec, exec, s[46:47]
	v_add_u32_e32 v28, 16, v28
	v_cmp_ge_i32_e32 vcc, v28, v27
	s_or_b64 s[44:45], vcc, s[44:45]
	s_andn2_b64 exec, exec, s[44:45]
	s_cbranch_execz .LBB70_15
.LBB70_19:                              ;   Parent Loop BB70_16 Depth=1
                                        ; =>  This Loop Header: Depth=2
                                        ;       Child Loop BB70_21 Depth 3
                                        ;       Child Loop BB70_33 Depth 3
	;; [unrolled: 1-line block ×4, first 2 shown]
	v_ashrrev_i32_e32 v29, 31, v28
	v_lshlrev_b64 v[2:3], 2, v[28:29]
	v_mov_b32_e32 v4, s41
	v_add_co_u32_e32 v2, vcc, s40, v2
	v_addc_co_u32_e32 v3, vcc, v4, v3, vcc
	global_load_dword v29, v[2:3], off
	v_lshlrev_b32_e32 v2, 2, v28
	v_or_b32_e32 v6, s61, v2
	v_ashrrev_i32_e32 v7, 31, v6
	v_lshlrev_b64 v[6:7], 4, v[6:7]
	v_ashrrev_i32_e32 v3, 31, v2
	v_mov_b32_e32 v8, s43
	v_add_co_u32_e32 v6, vcc, s42, v6
	v_or_b32_e32 v4, s60, v2
	v_lshlrev_b64 v[2:3], 4, v[2:3]
	v_addc_co_u32_e32 v7, vcc, v8, v7, vcc
	global_load_dwordx4 v[14:17], v[6:7], off
	v_add_co_u32_e32 v6, vcc, s42, v2
	v_ashrrev_i32_e32 v5, 31, v4
	v_addc_co_u32_e32 v7, vcc, v8, v3, vcc
	v_lshlrev_b64 v[2:3], 4, v[4:5]
	global_load_dwordx4 v[10:13], v[6:7], off
	v_add_co_u32_e32 v2, vcc, s42, v2
	v_addc_co_u32_e32 v3, vcc, v8, v3, vcc
	global_load_dwordx4 v[2:5], v[2:3], off
	s_nop 0
	global_load_dwordx4 v[6:9], v[6:7], off offset:48
	s_mov_b64 s[46:47], 0
	s_waitcnt vmcnt(4)
	v_subrev_u32_e32 v29, s29, v29
	v_mul_lo_u32 v50, v29, s23
	v_and_b32_e32 v54, 0xff, v50
	v_mov_b32_e32 v55, v54
	s_waitcnt vmcnt(3)
	v_mul_f64 v[48:49], v[16:17], -v[40:41]
	v_mul_f64 v[46:47], v[38:39], v[16:17]
	v_fmac_f64_e32 v[48:49], v[38:39], v[14:15]
	v_fmac_f64_e32 v[46:47], v[40:41], v[14:15]
	s_waitcnt vmcnt(2)
	v_fmac_f64_e32 v[48:49], v[30:31], v[10:11]
	v_fmac_f64_e32 v[46:47], v[32:33], v[10:11]
	v_fma_f64 v[48:49], -v[32:33], v[12:13], v[48:49]
	v_fmac_f64_e32 v[46:47], v[30:31], v[12:13]
	s_branch .LBB70_21
.LBB70_20:                              ;   in Loop: Header=BB70_21 Depth=3
	s_or_b64 exec, exec, s[48:49]
	s_xor_b64 s[48:49], s[50:51], -1
	s_and_b64 s[48:49], exec, s[48:49]
	s_or_b64 s[46:47], s[48:49], s[46:47]
	s_andn2_b64 exec, exec, s[46:47]
	s_cbranch_execz .LBB70_31
.LBB70_21:                              ;   Parent Loop BB70_16 Depth=1
                                        ;     Parent Loop BB70_19 Depth=2
                                        ; =>    This Inner Loop Header: Depth=3
	v_lshl_add_u32 v50, v55, 2, 0
	ds_read_b32 v56, v50
                                        ; implicit-def: $sgpr50_sgpr51
	s_waitcnt lgkmcnt(0)
	v_cmp_ne_u32_e32 vcc, v56, v29
	s_and_saveexec_b64 s[48:49], vcc
	s_xor_b64 s[48:49], exec, s[48:49]
	s_cbranch_execz .LBB70_29
; %bb.22:                               ;   in Loop: Header=BB70_21 Depth=3
	v_cmp_ne_u32_e32 vcc, s58, v56
                                        ; implicit-def: $sgpr50_sgpr51
	s_and_saveexec_b64 s[52:53], vcc
	s_xor_b64 s[52:53], exec, s[52:53]
; %bb.23:                               ;   in Loop: Header=BB70_21 Depth=3
	v_add_u32_e32 v50, 1, v55
	v_and_b32_e32 v55, 0xff, v50
	s_mov_b64 s[50:51], -1
                                        ; implicit-def: $vgpr50
; %bb.24:                               ;   in Loop: Header=BB70_21 Depth=3
	s_andn2_saveexec_b64 s[52:53], s[52:53]
	s_cbranch_execz .LBB70_28
; %bb.25:                               ;   in Loop: Header=BB70_21 Depth=3
	v_mov_b32_e32 v56, s58
	ds_cmpst_rtn_b32 v56, v50, v56, v29
	s_mov_b64 s[56:57], -1
	s_waitcnt lgkmcnt(0)
	v_cmp_eq_u32_e32 vcc, s58, v56
	s_and_saveexec_b64 s[54:55], vcc
	s_cbranch_execz .LBB70_27
; %bb.26:                               ;   in Loop: Header=BB70_21 Depth=3
	v_mad_u64_u32 v[56:57], s[56:57], v55, 60, v[50:51]
	ds_add_f64 v56, v[48:49] offset:1024
	ds_add_f64 v56, v[46:47] offset:1032
	s_xor_b64 s[56:57], exec, -1
.LBB70_27:                              ;   in Loop: Header=BB70_21 Depth=3
	s_or_b64 exec, exec, s[54:55]
	s_andn2_b64 s[50:51], s[50:51], exec
	s_and_b64 s[54:55], s[56:57], exec
	s_or_b64 s[50:51], s[50:51], s[54:55]
.LBB70_28:                              ;   in Loop: Header=BB70_21 Depth=3
	s_or_b64 exec, exec, s[52:53]
	s_and_b64 s[50:51], s[50:51], exec
                                        ; implicit-def: $vgpr50
.LBB70_29:                              ;   in Loop: Header=BB70_21 Depth=3
	s_andn2_saveexec_b64 s[48:49], s[48:49]
	s_cbranch_execz .LBB70_20
; %bb.30:                               ;   in Loop: Header=BB70_21 Depth=3
	v_mad_u64_u32 v[56:57], s[52:53], v55, 60, v[50:51]
	ds_add_f64 v56, v[48:49] offset:1024
	ds_add_f64 v56, v[46:47] offset:1032
	s_andn2_b64 s[50:51], s[50:51], exec
	s_branch .LBB70_20
.LBB70_31:                              ;   in Loop: Header=BB70_19 Depth=2
	s_or_b64 exec, exec, s[46:47]
	s_waitcnt vmcnt(0)
	v_mul_f64 v[48:49], v[8:9], -v[40:41]
	v_mul_f64 v[46:47], v[38:39], v[8:9]
	v_fmac_f64_e32 v[48:49], v[38:39], v[6:7]
	v_fmac_f64_e32 v[46:47], v[40:41], v[6:7]
	v_fmac_f64_e32 v[48:49], v[30:31], v[2:3]
	v_fmac_f64_e32 v[46:47], v[32:33], v[2:3]
	v_fma_f64 v[48:49], -v[32:33], v[4:5], v[48:49]
	v_fmac_f64_e32 v[46:47], v[30:31], v[4:5]
	s_mov_b64 s[46:47], 0
	v_mov_b32_e32 v55, v54
	s_branch .LBB70_33
.LBB70_32:                              ;   in Loop: Header=BB70_33 Depth=3
	s_or_b64 exec, exec, s[48:49]
	s_xor_b64 s[48:49], s[50:51], -1
	s_and_b64 s[48:49], exec, s[48:49]
	s_or_b64 s[46:47], s[48:49], s[46:47]
	s_andn2_b64 exec, exec, s[46:47]
	s_cbranch_execz .LBB70_43
.LBB70_33:                              ;   Parent Loop BB70_16 Depth=1
                                        ;     Parent Loop BB70_19 Depth=2
                                        ; =>    This Inner Loop Header: Depth=3
	v_lshl_add_u32 v50, v55, 2, 0
	ds_read_b32 v56, v50
                                        ; implicit-def: $sgpr50_sgpr51
	s_waitcnt lgkmcnt(0)
	v_cmp_ne_u32_e32 vcc, v56, v29
	s_and_saveexec_b64 s[48:49], vcc
	s_xor_b64 s[48:49], exec, s[48:49]
	s_cbranch_execz .LBB70_41
; %bb.34:                               ;   in Loop: Header=BB70_33 Depth=3
	v_cmp_ne_u32_e32 vcc, s58, v56
                                        ; implicit-def: $sgpr50_sgpr51
	s_and_saveexec_b64 s[52:53], vcc
	s_xor_b64 s[52:53], exec, s[52:53]
; %bb.35:                               ;   in Loop: Header=BB70_33 Depth=3
	v_add_u32_e32 v50, 1, v55
	v_and_b32_e32 v55, 0xff, v50
	s_mov_b64 s[50:51], -1
                                        ; implicit-def: $vgpr50
; %bb.36:                               ;   in Loop: Header=BB70_33 Depth=3
	s_andn2_saveexec_b64 s[52:53], s[52:53]
	s_cbranch_execz .LBB70_40
; %bb.37:                               ;   in Loop: Header=BB70_33 Depth=3
	v_mov_b32_e32 v56, s58
	ds_cmpst_rtn_b32 v56, v50, v56, v29
	s_mov_b64 s[56:57], -1
	s_waitcnt lgkmcnt(0)
	v_cmp_eq_u32_e32 vcc, s58, v56
	s_and_saveexec_b64 s[54:55], vcc
	s_cbranch_execz .LBB70_39
; %bb.38:                               ;   in Loop: Header=BB70_33 Depth=3
	v_mad_u64_u32 v[56:57], s[56:57], v55, 60, v[50:51]
	ds_add_f64 v56, v[48:49] offset:1040
	ds_add_f64 v56, v[46:47] offset:1048
	s_xor_b64 s[56:57], exec, -1
.LBB70_39:                              ;   in Loop: Header=BB70_33 Depth=3
	s_or_b64 exec, exec, s[54:55]
	s_andn2_b64 s[50:51], s[50:51], exec
	s_and_b64 s[54:55], s[56:57], exec
	s_or_b64 s[50:51], s[50:51], s[54:55]
.LBB70_40:                              ;   in Loop: Header=BB70_33 Depth=3
	s_or_b64 exec, exec, s[52:53]
	s_and_b64 s[50:51], s[50:51], exec
                                        ; implicit-def: $vgpr50
.LBB70_41:                              ;   in Loop: Header=BB70_33 Depth=3
	s_andn2_saveexec_b64 s[48:49], s[48:49]
	s_cbranch_execz .LBB70_32
; %bb.42:                               ;   in Loop: Header=BB70_33 Depth=3
	v_mad_u64_u32 v[56:57], s[52:53], v55, 60, v[50:51]
	ds_add_f64 v56, v[48:49] offset:1040
	ds_add_f64 v56, v[46:47] offset:1048
	s_andn2_b64 s[50:51], s[50:51], exec
	s_branch .LBB70_32
.LBB70_43:                              ;   in Loop: Header=BB70_19 Depth=2
	s_or_b64 exec, exec, s[46:47]
	v_mul_f64 v[46:47], v[16:17], -v[36:37]
	v_mul_f64 v[16:17], v[34:35], v[16:17]
	v_fmac_f64_e32 v[46:47], v[34:35], v[14:15]
	v_fmac_f64_e32 v[16:17], v[36:37], v[14:15]
	;; [unrolled: 1-line block ×4, first 2 shown]
	v_fma_f64 v[14:15], -v[44:45], v[12:13], v[46:47]
	v_fmac_f64_e32 v[16:17], v[42:43], v[12:13]
	s_mov_b64 s[46:47], 0
	v_mov_b32_e32 v11, v54
	s_branch .LBB70_45
.LBB70_44:                              ;   in Loop: Header=BB70_45 Depth=3
	s_or_b64 exec, exec, s[48:49]
	s_xor_b64 s[48:49], s[50:51], -1
	s_and_b64 s[48:49], exec, s[48:49]
	s_or_b64 s[46:47], s[48:49], s[46:47]
	s_andn2_b64 exec, exec, s[46:47]
	s_cbranch_execz .LBB70_55
.LBB70_45:                              ;   Parent Loop BB70_16 Depth=1
                                        ;     Parent Loop BB70_19 Depth=2
                                        ; =>    This Inner Loop Header: Depth=3
	v_lshl_add_u32 v10, v11, 2, 0
	ds_read_b32 v12, v10
                                        ; implicit-def: $sgpr50_sgpr51
	s_waitcnt lgkmcnt(0)
	v_cmp_ne_u32_e32 vcc, v12, v29
	s_and_saveexec_b64 s[48:49], vcc
	s_xor_b64 s[48:49], exec, s[48:49]
	s_cbranch_execz .LBB70_53
; %bb.46:                               ;   in Loop: Header=BB70_45 Depth=3
	v_cmp_ne_u32_e32 vcc, s58, v12
                                        ; implicit-def: $sgpr50_sgpr51
	s_and_saveexec_b64 s[52:53], vcc
	s_xor_b64 s[52:53], exec, s[52:53]
; %bb.47:                               ;   in Loop: Header=BB70_45 Depth=3
	v_add_u32_e32 v10, 1, v11
	v_and_b32_e32 v11, 0xff, v10
	s_mov_b64 s[50:51], -1
                                        ; implicit-def: $vgpr10
; %bb.48:                               ;   in Loop: Header=BB70_45 Depth=3
	s_andn2_saveexec_b64 s[52:53], s[52:53]
	s_cbranch_execz .LBB70_52
; %bb.49:                               ;   in Loop: Header=BB70_45 Depth=3
	v_mov_b32_e32 v12, s58
	ds_cmpst_rtn_b32 v12, v10, v12, v29
	s_mov_b64 s[56:57], -1
	s_waitcnt lgkmcnt(0)
	v_cmp_eq_u32_e32 vcc, s58, v12
	s_and_saveexec_b64 s[54:55], vcc
	s_cbranch_execz .LBB70_51
; %bb.50:                               ;   in Loop: Header=BB70_45 Depth=3
	v_mad_u64_u32 v[12:13], s[56:57], v11, 60, v[10:11]
	ds_add_f64 v12, v[14:15] offset:1056
	ds_add_f64 v12, v[16:17] offset:1064
	s_xor_b64 s[56:57], exec, -1
.LBB70_51:                              ;   in Loop: Header=BB70_45 Depth=3
	s_or_b64 exec, exec, s[54:55]
	s_andn2_b64 s[50:51], s[50:51], exec
	s_and_b64 s[54:55], s[56:57], exec
	s_or_b64 s[50:51], s[50:51], s[54:55]
.LBB70_52:                              ;   in Loop: Header=BB70_45 Depth=3
	s_or_b64 exec, exec, s[52:53]
	s_and_b64 s[50:51], s[50:51], exec
                                        ; implicit-def: $vgpr10
.LBB70_53:                              ;   in Loop: Header=BB70_45 Depth=3
	s_andn2_saveexec_b64 s[48:49], s[48:49]
	s_cbranch_execz .LBB70_44
; %bb.54:                               ;   in Loop: Header=BB70_45 Depth=3
	v_mad_u64_u32 v[12:13], s[52:53], v11, 60, v[10:11]
	ds_add_f64 v12, v[14:15] offset:1056
	ds_add_f64 v12, v[16:17] offset:1064
	s_andn2_b64 s[50:51], s[50:51], exec
	s_branch .LBB70_44
.LBB70_55:                              ;   in Loop: Header=BB70_19 Depth=2
	s_or_b64 exec, exec, s[46:47]
	v_mul_f64 v[10:11], v[8:9], -v[36:37]
	v_mul_f64 v[8:9], v[34:35], v[8:9]
	v_fmac_f64_e32 v[10:11], v[34:35], v[6:7]
	v_fmac_f64_e32 v[8:9], v[36:37], v[6:7]
	;; [unrolled: 1-line block ×4, first 2 shown]
	v_fma_f64 v[6:7], -v[44:45], v[4:5], v[10:11]
	v_fmac_f64_e32 v[8:9], v[42:43], v[4:5]
	s_mov_b64 s[46:47], 0
	s_branch .LBB70_57
.LBB70_56:                              ;   in Loop: Header=BB70_57 Depth=3
	s_or_b64 exec, exec, s[48:49]
	s_xor_b64 s[48:49], s[50:51], -1
	s_and_b64 s[48:49], exec, s[48:49]
	s_or_b64 s[46:47], s[48:49], s[46:47]
	s_andn2_b64 exec, exec, s[46:47]
	s_cbranch_execz .LBB70_18
.LBB70_57:                              ;   Parent Loop BB70_16 Depth=1
                                        ;     Parent Loop BB70_19 Depth=2
                                        ; =>    This Inner Loop Header: Depth=3
	v_lshl_add_u32 v2, v54, 2, 0
	ds_read_b32 v3, v2
                                        ; implicit-def: $sgpr50_sgpr51
	s_waitcnt lgkmcnt(0)
	v_cmp_ne_u32_e32 vcc, v3, v29
	s_and_saveexec_b64 s[48:49], vcc
	s_xor_b64 s[48:49], exec, s[48:49]
	s_cbranch_execz .LBB70_65
; %bb.58:                               ;   in Loop: Header=BB70_57 Depth=3
	v_cmp_ne_u32_e32 vcc, s58, v3
                                        ; implicit-def: $sgpr50_sgpr51
	s_and_saveexec_b64 s[52:53], vcc
	s_xor_b64 s[52:53], exec, s[52:53]
; %bb.59:                               ;   in Loop: Header=BB70_57 Depth=3
	v_add_u32_e32 v2, 1, v54
	v_and_b32_e32 v54, 0xff, v2
	s_mov_b64 s[50:51], -1
                                        ; implicit-def: $vgpr2
; %bb.60:                               ;   in Loop: Header=BB70_57 Depth=3
	s_andn2_saveexec_b64 s[52:53], s[52:53]
	s_cbranch_execz .LBB70_64
; %bb.61:                               ;   in Loop: Header=BB70_57 Depth=3
	v_mov_b32_e32 v3, s58
	ds_cmpst_rtn_b32 v3, v2, v3, v29
	s_mov_b64 s[56:57], -1
	s_waitcnt lgkmcnt(0)
	v_cmp_eq_u32_e32 vcc, s58, v3
	s_and_saveexec_b64 s[54:55], vcc
	s_cbranch_execz .LBB70_63
; %bb.62:                               ;   in Loop: Header=BB70_57 Depth=3
	v_mad_u64_u32 v[2:3], s[56:57], v54, 60, v[2:3]
	ds_add_f64 v2, v[6:7] offset:1072
	ds_add_f64 v2, v[8:9] offset:1080
	s_xor_b64 s[56:57], exec, -1
.LBB70_63:                              ;   in Loop: Header=BB70_57 Depth=3
	s_or_b64 exec, exec, s[54:55]
	s_andn2_b64 s[50:51], s[50:51], exec
	s_and_b64 s[54:55], s[56:57], exec
	s_or_b64 s[50:51], s[50:51], s[54:55]
.LBB70_64:                              ;   in Loop: Header=BB70_57 Depth=3
	s_or_b64 exec, exec, s[52:53]
	s_and_b64 s[50:51], s[50:51], exec
                                        ; implicit-def: $vgpr2
.LBB70_65:                              ;   in Loop: Header=BB70_57 Depth=3
	s_andn2_saveexec_b64 s[48:49], s[48:49]
	s_cbranch_execz .LBB70_56
; %bb.66:                               ;   in Loop: Header=BB70_57 Depth=3
	v_mad_u64_u32 v[2:3], s[52:53], v54, 60, v[2:3]
	ds_add_f64 v2, v[6:7] offset:1072
	ds_add_f64 v2, v[8:9] offset:1080
	s_andn2_b64 s[50:51], s[50:51], exec
	s_branch .LBB70_56
.LBB70_67:
	s_or_b64 exec, exec, s[4:5]
.LBB70_68:
	s_andn2_b64 vcc, exec, s[34:35]
	s_waitcnt lgkmcnt(0)
	s_barrier
	s_cbranch_vccnz .LBB70_121
; %bb.69:
	s_lshl_b64 s[4:5], s[8:9], 2
	s_add_u32 s4, s12, s4
	s_addc_u32 s5, s13, s5
	s_load_dwordx2 s[4:5], s[4:5], 0x0
	v_subrev_u32_e32 v1, s31, v0
	s_waitcnt lgkmcnt(0)
	s_sub_i32 s34, s5, s31
	v_add_u32_e32 v14, s4, v1
	v_cmp_gt_i32_e32 vcc, s34, v14
	s_and_saveexec_b64 s[4:5], vcc
	s_cbranch_execz .LBB70_120
; %bb.70:
	s_cmp_eq_u32 s33, 0
	s_cselect_b32 s35, 1, 2
	s_cselect_b32 s40, 2, 1
	s_mov_b64 s[10:11], 0
	v_mov_b32_e32 v1, s17
	s_waitcnt vmcnt(0)
	v_mov_b32_e32 v25, s15
	s_movk_i32 s15, 0x89
	s_branch .LBB70_72
.LBB70_71:                              ;   in Loop: Header=BB70_72 Depth=1
	s_or_b64 exec, exec, s[12:13]
	v_add_u32_e32 v14, 0x100, v14
	v_cmp_le_i32_e32 vcc, s34, v14
	s_or_b64 s[10:11], vcc, s[10:11]
	s_andn2_b64 exec, exec, s[10:11]
	s_cbranch_execz .LBB70_120
.LBB70_72:                              ; =>This Loop Header: Depth=1
                                        ;     Child Loop BB70_74 Depth 2
                                        ;     Child Loop BB70_86 Depth 2
	;; [unrolled: 1-line block ×4, first 2 shown]
	v_lshlrev_b32_e32 v6, 2, v14
	v_ashrrev_i32_e32 v7, 31, v6
	v_lshlrev_b64 v[2:3], 4, v[6:7]
	v_add_co_u32_e32 v8, vcc, s16, v2
	v_addc_co_u32_e32 v9, vcc, v1, v3, vcc
	global_load_dwordx4 v[26:29], v[8:9], off
	global_load_dwordx4 v[2:5], v[8:9], off offset:48
	v_or_b32_e32 v8, s35, v6
	v_ashrrev_i32_e32 v9, 31, v8
	v_lshlrev_b64 v[8:9], 4, v[8:9]
	v_ashrrev_i32_e32 v15, 31, v14
	v_add_co_u32_e32 v16, vcc, s16, v8
	v_addc_co_u32_e32 v17, vcc, v1, v9, vcc
	v_lshlrev_b64 v[8:9], 2, v[14:15]
	v_add_co_u32_e32 v8, vcc, s14, v8
	v_addc_co_u32_e32 v9, vcc, v25, v9, vcc
	global_load_dword v15, v[8:9], off
	v_or_b32_e32 v6, s40, v6
	v_ashrrev_i32_e32 v7, 31, v6
	v_lshlrev_b64 v[6:7], 4, v[6:7]
	v_add_co_u32_e32 v22, vcc, s16, v6
	v_addc_co_u32_e32 v23, vcc, v1, v7, vcc
	global_load_dwordx4 v[10:13], v[16:17], off
	global_load_dwordx4 v[6:9], v[22:23], off
	s_mov_b64 s[12:13], 0
	s_waitcnt vmcnt(4)
	v_mul_f64 v[16:17], v[28:29], -v[18:19]
	v_mul_f64 v[22:23], v[20:21], v[28:29]
	v_fmac_f64_e32 v[16:17], v[20:21], v[26:27]
	v_fmac_f64_e32 v[22:23], v[18:19], v[26:27]
	s_waitcnt vmcnt(2)
	v_subrev_u32_e32 v15, s31, v15
	v_mul_lo_u32 v24, v15, s15
	v_and_b32_e32 v26, 0xff, v24
	v_mov_b32_e32 v27, v26
	s_branch .LBB70_74
.LBB70_73:                              ;   in Loop: Header=BB70_74 Depth=2
	s_or_b64 exec, exec, s[20:21]
	s_xor_b64 s[20:21], s[22:23], -1
	s_and_b64 s[20:21], exec, s[20:21]
	s_or_b64 s[12:13], s[20:21], s[12:13]
	s_andn2_b64 exec, exec, s[12:13]
	s_cbranch_execz .LBB70_84
.LBB70_74:                              ;   Parent Loop BB70_72 Depth=1
                                        ; =>  This Inner Loop Header: Depth=2
	v_lshl_add_u32 v24, v27, 2, 0
	ds_read_b32 v28, v24
                                        ; implicit-def: $sgpr22_sgpr23
	s_waitcnt lgkmcnt(0)
	v_cmp_ne_u32_e32 vcc, v28, v15
	s_and_saveexec_b64 s[20:21], vcc
	s_xor_b64 s[20:21], exec, s[20:21]
	s_cbranch_execz .LBB70_82
; %bb.75:                               ;   in Loop: Header=BB70_74 Depth=2
	v_cmp_ne_u32_e32 vcc, s58, v28
                                        ; implicit-def: $sgpr22_sgpr23
	s_and_saveexec_b64 s[24:25], vcc
	s_xor_b64 s[24:25], exec, s[24:25]
; %bb.76:                               ;   in Loop: Header=BB70_74 Depth=2
	v_add_u32_e32 v24, 1, v27
	v_and_b32_e32 v27, 0xff, v24
	s_mov_b64 s[22:23], -1
                                        ; implicit-def: $vgpr24
; %bb.77:                               ;   in Loop: Header=BB70_74 Depth=2
	s_andn2_saveexec_b64 s[24:25], s[24:25]
	s_cbranch_execz .LBB70_81
; %bb.78:                               ;   in Loop: Header=BB70_74 Depth=2
	v_mov_b32_e32 v28, s58
	ds_cmpst_rtn_b32 v28, v24, v28, v15
	s_mov_b64 s[28:29], -1
	s_waitcnt lgkmcnt(0)
	v_cmp_eq_u32_e32 vcc, s58, v28
	s_and_saveexec_b64 s[26:27], vcc
	s_cbranch_execz .LBB70_80
; %bb.79:                               ;   in Loop: Header=BB70_74 Depth=2
	v_mad_u64_u32 v[28:29], s[28:29], v27, 60, v[24:25]
	ds_add_f64 v28, v[16:17] offset:1024
	ds_add_f64 v28, v[22:23] offset:1032
	s_xor_b64 s[28:29], exec, -1
.LBB70_80:                              ;   in Loop: Header=BB70_74 Depth=2
	s_or_b64 exec, exec, s[26:27]
	s_andn2_b64 s[22:23], s[22:23], exec
	s_and_b64 s[26:27], s[28:29], exec
	s_or_b64 s[22:23], s[22:23], s[26:27]
.LBB70_81:                              ;   in Loop: Header=BB70_74 Depth=2
	s_or_b64 exec, exec, s[24:25]
	s_and_b64 s[22:23], s[22:23], exec
                                        ; implicit-def: $vgpr24
.LBB70_82:                              ;   in Loop: Header=BB70_74 Depth=2
	s_andn2_saveexec_b64 s[20:21], s[20:21]
	s_cbranch_execz .LBB70_73
; %bb.83:                               ;   in Loop: Header=BB70_74 Depth=2
	v_mad_u64_u32 v[28:29], s[24:25], v27, 60, v[24:25]
	ds_add_f64 v28, v[16:17] offset:1024
	ds_add_f64 v28, v[22:23] offset:1032
	s_andn2_b64 s[22:23], s[22:23], exec
	s_branch .LBB70_73
.LBB70_84:                              ;   in Loop: Header=BB70_72 Depth=1
	s_or_b64 exec, exec, s[12:13]
	s_waitcnt vmcnt(1)
	v_mul_f64 v[16:17], v[12:13], -v[18:19]
	v_mul_f64 v[12:13], v[20:21], v[12:13]
	v_fmac_f64_e32 v[16:17], v[20:21], v[10:11]
	v_fmac_f64_e32 v[12:13], v[18:19], v[10:11]
	s_mov_b64 s[12:13], 0
	v_mov_b32_e32 v11, v26
	s_branch .LBB70_86
.LBB70_85:                              ;   in Loop: Header=BB70_86 Depth=2
	s_or_b64 exec, exec, s[20:21]
	s_xor_b64 s[20:21], s[22:23], -1
	s_and_b64 s[20:21], exec, s[20:21]
	s_or_b64 s[12:13], s[20:21], s[12:13]
	s_andn2_b64 exec, exec, s[12:13]
	s_cbranch_execz .LBB70_96
.LBB70_86:                              ;   Parent Loop BB70_72 Depth=1
                                        ; =>  This Inner Loop Header: Depth=2
	v_lshl_add_u32 v10, v11, 2, 0
	ds_read_b32 v22, v10
                                        ; implicit-def: $sgpr22_sgpr23
	s_waitcnt lgkmcnt(0)
	v_cmp_ne_u32_e32 vcc, v22, v15
	s_and_saveexec_b64 s[20:21], vcc
	s_xor_b64 s[20:21], exec, s[20:21]
	s_cbranch_execz .LBB70_94
; %bb.87:                               ;   in Loop: Header=BB70_86 Depth=2
	v_cmp_ne_u32_e32 vcc, s58, v22
                                        ; implicit-def: $sgpr22_sgpr23
	s_and_saveexec_b64 s[24:25], vcc
	s_xor_b64 s[24:25], exec, s[24:25]
; %bb.88:                               ;   in Loop: Header=BB70_86 Depth=2
	v_add_u32_e32 v10, 1, v11
	v_and_b32_e32 v11, 0xff, v10
	s_mov_b64 s[22:23], -1
                                        ; implicit-def: $vgpr10
; %bb.89:                               ;   in Loop: Header=BB70_86 Depth=2
	s_andn2_saveexec_b64 s[24:25], s[24:25]
	s_cbranch_execz .LBB70_93
; %bb.90:                               ;   in Loop: Header=BB70_86 Depth=2
	v_mov_b32_e32 v22, s58
	ds_cmpst_rtn_b32 v22, v10, v22, v15
	s_mov_b64 s[28:29], -1
	s_waitcnt lgkmcnt(0)
	v_cmp_eq_u32_e32 vcc, s58, v22
	s_and_saveexec_b64 s[26:27], vcc
	s_cbranch_execz .LBB70_92
; %bb.91:                               ;   in Loop: Header=BB70_86 Depth=2
	v_mad_u64_u32 v[22:23], s[28:29], v11, 60, v[10:11]
	ds_add_f64 v22, v[16:17] offset:1040
	ds_add_f64 v22, v[12:13] offset:1048
	s_xor_b64 s[28:29], exec, -1
.LBB70_92:                              ;   in Loop: Header=BB70_86 Depth=2
	s_or_b64 exec, exec, s[26:27]
	s_andn2_b64 s[22:23], s[22:23], exec
	s_and_b64 s[26:27], s[28:29], exec
	s_or_b64 s[22:23], s[22:23], s[26:27]
.LBB70_93:                              ;   in Loop: Header=BB70_86 Depth=2
	s_or_b64 exec, exec, s[24:25]
	s_and_b64 s[22:23], s[22:23], exec
                                        ; implicit-def: $vgpr10
.LBB70_94:                              ;   in Loop: Header=BB70_86 Depth=2
	s_andn2_saveexec_b64 s[20:21], s[20:21]
	s_cbranch_execz .LBB70_85
; %bb.95:                               ;   in Loop: Header=BB70_86 Depth=2
	v_mad_u64_u32 v[22:23], s[24:25], v11, 60, v[10:11]
	ds_add_f64 v22, v[16:17] offset:1040
	ds_add_f64 v22, v[12:13] offset:1048
	s_andn2_b64 s[22:23], s[22:23], exec
	s_branch .LBB70_85
.LBB70_96:                              ;   in Loop: Header=BB70_72 Depth=1
	s_or_b64 exec, exec, s[12:13]
	s_waitcnt vmcnt(0)
	v_mul_f64 v[10:11], v[8:9], -v[18:19]
	v_mul_f64 v[8:9], v[20:21], v[8:9]
	v_fmac_f64_e32 v[10:11], v[20:21], v[6:7]
	v_fmac_f64_e32 v[8:9], v[18:19], v[6:7]
	s_mov_b64 s[12:13], 0
	v_mov_b32_e32 v7, v26
	s_branch .LBB70_98
.LBB70_97:                              ;   in Loop: Header=BB70_98 Depth=2
	s_or_b64 exec, exec, s[20:21]
	s_xor_b64 s[20:21], s[22:23], -1
	s_and_b64 s[20:21], exec, s[20:21]
	s_or_b64 s[12:13], s[20:21], s[12:13]
	s_andn2_b64 exec, exec, s[12:13]
	s_cbranch_execz .LBB70_108
.LBB70_98:                              ;   Parent Loop BB70_72 Depth=1
                                        ; =>  This Inner Loop Header: Depth=2
	v_lshl_add_u32 v6, v7, 2, 0
	ds_read_b32 v12, v6
                                        ; implicit-def: $sgpr22_sgpr23
	s_waitcnt lgkmcnt(0)
	v_cmp_ne_u32_e32 vcc, v12, v15
	s_and_saveexec_b64 s[20:21], vcc
	s_xor_b64 s[20:21], exec, s[20:21]
	s_cbranch_execz .LBB70_106
; %bb.99:                               ;   in Loop: Header=BB70_98 Depth=2
	v_cmp_ne_u32_e32 vcc, s58, v12
                                        ; implicit-def: $sgpr22_sgpr23
	s_and_saveexec_b64 s[24:25], vcc
	s_xor_b64 s[24:25], exec, s[24:25]
; %bb.100:                              ;   in Loop: Header=BB70_98 Depth=2
	v_add_u32_e32 v6, 1, v7
	v_and_b32_e32 v7, 0xff, v6
	s_mov_b64 s[22:23], -1
                                        ; implicit-def: $vgpr6
; %bb.101:                              ;   in Loop: Header=BB70_98 Depth=2
	s_andn2_saveexec_b64 s[24:25], s[24:25]
	s_cbranch_execz .LBB70_105
; %bb.102:                              ;   in Loop: Header=BB70_98 Depth=2
	v_mov_b32_e32 v12, s58
	ds_cmpst_rtn_b32 v12, v6, v12, v15
	s_mov_b64 s[28:29], -1
	s_waitcnt lgkmcnt(0)
	v_cmp_eq_u32_e32 vcc, s58, v12
	s_and_saveexec_b64 s[26:27], vcc
	s_cbranch_execz .LBB70_104
; %bb.103:                              ;   in Loop: Header=BB70_98 Depth=2
	v_mad_u64_u32 v[12:13], s[28:29], v7, 60, v[6:7]
	ds_add_f64 v12, v[10:11] offset:1056
	ds_add_f64 v12, v[8:9] offset:1064
	s_xor_b64 s[28:29], exec, -1
.LBB70_104:                             ;   in Loop: Header=BB70_98 Depth=2
	s_or_b64 exec, exec, s[26:27]
	s_andn2_b64 s[22:23], s[22:23], exec
	s_and_b64 s[26:27], s[28:29], exec
	s_or_b64 s[22:23], s[22:23], s[26:27]
.LBB70_105:                             ;   in Loop: Header=BB70_98 Depth=2
	s_or_b64 exec, exec, s[24:25]
	s_and_b64 s[22:23], s[22:23], exec
                                        ; implicit-def: $vgpr6
.LBB70_106:                             ;   in Loop: Header=BB70_98 Depth=2
	s_andn2_saveexec_b64 s[20:21], s[20:21]
	s_cbranch_execz .LBB70_97
; %bb.107:                              ;   in Loop: Header=BB70_98 Depth=2
	v_mad_u64_u32 v[12:13], s[24:25], v7, 60, v[6:7]
	ds_add_f64 v12, v[10:11] offset:1056
	ds_add_f64 v12, v[8:9] offset:1064
	s_andn2_b64 s[22:23], s[22:23], exec
	s_branch .LBB70_97
.LBB70_108:                             ;   in Loop: Header=BB70_72 Depth=1
	s_or_b64 exec, exec, s[12:13]
	v_mul_f64 v[6:7], v[4:5], -v[18:19]
	v_mul_f64 v[4:5], v[20:21], v[4:5]
	v_fmac_f64_e32 v[6:7], v[20:21], v[2:3]
	v_fmac_f64_e32 v[4:5], v[18:19], v[2:3]
	s_mov_b64 s[12:13], 0
	s_branch .LBB70_110
.LBB70_109:                             ;   in Loop: Header=BB70_110 Depth=2
	s_or_b64 exec, exec, s[20:21]
	s_xor_b64 s[20:21], s[22:23], -1
	s_and_b64 s[20:21], exec, s[20:21]
	s_or_b64 s[12:13], s[20:21], s[12:13]
	s_andn2_b64 exec, exec, s[12:13]
	s_cbranch_execz .LBB70_71
.LBB70_110:                             ;   Parent Loop BB70_72 Depth=1
                                        ; =>  This Inner Loop Header: Depth=2
	v_lshl_add_u32 v2, v26, 2, 0
	ds_read_b32 v3, v2
                                        ; implicit-def: $sgpr22_sgpr23
	s_waitcnt lgkmcnt(0)
	v_cmp_ne_u32_e32 vcc, v3, v15
	s_and_saveexec_b64 s[20:21], vcc
	s_xor_b64 s[20:21], exec, s[20:21]
	s_cbranch_execz .LBB70_118
; %bb.111:                              ;   in Loop: Header=BB70_110 Depth=2
	v_cmp_ne_u32_e32 vcc, s58, v3
                                        ; implicit-def: $sgpr22_sgpr23
	s_and_saveexec_b64 s[24:25], vcc
	s_xor_b64 s[24:25], exec, s[24:25]
; %bb.112:                              ;   in Loop: Header=BB70_110 Depth=2
	v_add_u32_e32 v2, 1, v26
	v_and_b32_e32 v26, 0xff, v2
	s_mov_b64 s[22:23], -1
                                        ; implicit-def: $vgpr2
; %bb.113:                              ;   in Loop: Header=BB70_110 Depth=2
	s_andn2_saveexec_b64 s[24:25], s[24:25]
	s_cbranch_execz .LBB70_117
; %bb.114:                              ;   in Loop: Header=BB70_110 Depth=2
	v_mov_b32_e32 v3, s58
	ds_cmpst_rtn_b32 v3, v2, v3, v15
	s_mov_b64 s[28:29], -1
	s_waitcnt lgkmcnt(0)
	v_cmp_eq_u32_e32 vcc, s58, v3
	s_and_saveexec_b64 s[26:27], vcc
	s_cbranch_execz .LBB70_116
; %bb.115:                              ;   in Loop: Header=BB70_110 Depth=2
	v_mad_u64_u32 v[2:3], s[28:29], v26, 60, v[2:3]
	ds_add_f64 v2, v[6:7] offset:1072
	ds_add_f64 v2, v[4:5] offset:1080
	s_xor_b64 s[28:29], exec, -1
.LBB70_116:                             ;   in Loop: Header=BB70_110 Depth=2
	s_or_b64 exec, exec, s[26:27]
	s_andn2_b64 s[22:23], s[22:23], exec
	s_and_b64 s[26:27], s[28:29], exec
	s_or_b64 s[22:23], s[22:23], s[26:27]
.LBB70_117:                             ;   in Loop: Header=BB70_110 Depth=2
	s_or_b64 exec, exec, s[24:25]
	s_and_b64 s[22:23], s[22:23], exec
                                        ; implicit-def: $vgpr2
.LBB70_118:                             ;   in Loop: Header=BB70_110 Depth=2
	s_andn2_saveexec_b64 s[20:21], s[20:21]
	s_cbranch_execz .LBB70_109
; %bb.119:                              ;   in Loop: Header=BB70_110 Depth=2
	v_mad_u64_u32 v[2:3], s[24:25], v26, 60, v[2:3]
	ds_add_f64 v2, v[6:7] offset:1072
	ds_add_f64 v2, v[4:5] offset:1080
	s_andn2_b64 s[22:23], s[22:23], exec
	s_branch .LBB70_109
.LBB70_120:
	s_or_b64 exec, exec, s[4:5]
.LBB70_121:
	s_waitcnt lgkmcnt(0)
	s_barrier
	s_and_saveexec_b64 s[4:5], s[6:7]
	s_cbranch_execz .LBB70_126
; %bb.122:
	ds_read_b32 v2, v51
	s_mov_b32 s6, 0
	s_waitcnt lgkmcnt(0)
	v_cmp_gt_i32_e32 vcc, s58, v2
	s_and_b64 exec, exec, vcc
	s_cbranch_execz .LBB70_126
; %bb.123:
	s_lshl_b64 s[4:5], s[8:9], 2
	s_add_u32 s4, s18, s4
	s_addc_u32 s5, s19, s5
	s_load_dword s4, s[4:5], 0x0
	v_mov_b32_e32 v1, v2
	v_mov_b32_e32 v3, 0
	s_waitcnt lgkmcnt(0)
	s_sub_i32 s4, s4, s30
	v_mov_b32_e32 v4, s4
.LBB70_124:                             ; =>This Inner Loop Header: Depth=1
	s_add_i32 s4, s6, 0
	v_mov_b32_e32 v5, s4
	ds_read2_b32 v[6:7], v5 offset1:1
	ds_read2_b32 v[8:9], v5 offset0:2 offset1:3
	ds_read2_b32 v[10:11], v5 offset0:4 offset1:5
	;; [unrolled: 1-line block ×5, first 2 shown]
	s_waitcnt vmcnt(0)
	ds_read2_b32 v[18:19], v5 offset0:12 offset1:13
	ds_read2_b32 v[20:21], v5 offset0:14 offset1:15
	;; [unrolled: 1-line block ×10, first 2 shown]
	s_waitcnt lgkmcnt(14)
	v_cmp_gt_i32_e32 vcc, v1, v7
	s_waitcnt lgkmcnt(13)
	v_cmp_gt_i32_e64 s[4:5], v2, v10
	v_cndmask_b32_e64 v5, 0, 1, vcc
	v_cmp_gt_i32_e32 vcc, v2, v6
	v_cndmask_b32_e64 v7, 0, 1, s[4:5]
	v_cmp_gt_i32_e64 s[4:5], v1, v11
	v_cndmask_b32_e64 v6, 0, 1, vcc
	v_cmp_gt_i32_e32 vcc, v1, v9
	v_cndmask_b32_e64 v9, 0, 1, s[4:5]
	s_waitcnt lgkmcnt(11)
	v_cmp_gt_i32_e64 s[4:5], v1, v15
	v_cndmask_b32_e64 v10, 0, 1, s[4:5]
	v_cmp_gt_i32_e64 s[4:5], v2, v14
	v_cndmask_b32_e64 v11, 0, 1, s[4:5]
	s_waitcnt lgkmcnt(9)
	v_cmp_gt_i32_e64 s[4:5], v2, v18
	v_cndmask_b32_e64 v14, 0, 1, s[4:5]
	v_cmp_gt_i32_e64 s[4:5], v1, v19
	;; [unrolled: 5-line block ×6, first 2 shown]
	v_cndmask_b32_e64 v31, 0, 1, s[4:5]
	v_cmp_gt_i32_e64 s[4:5], v2, v8
	v_addc_co_u32_e64 v4, s[4:5], v4, v6, s[4:5]
	v_addc_co_u32_e32 v3, vcc, v3, v5, vcc
	v_cmp_gt_i32_e32 vcc, v2, v12
	v_cmp_gt_i32_e64 s[4:5], v1, v13
	v_addc_co_u32_e64 v3, s[4:5], v3, v9, s[4:5]
	v_addc_co_u32_e32 v4, vcc, v4, v7, vcc
	v_cmp_gt_i32_e32 vcc, v1, v17
	;; [unrolled: 4-line block ×6, first 2 shown]
	v_cmp_gt_i32_e64 s[4:5], v2, v32
	v_addc_co_u32_e64 v4, s[4:5], v4, v27, s[4:5]
	v_addc_co_u32_e32 v3, vcc, v3, v26, vcc
	s_addk_i32 s6, 0x80
	s_waitcnt lgkmcnt(0)
	v_cmp_gt_i32_e32 vcc, v2, v36
	v_cmp_gt_i32_e64 s[4:5], v1, v37
	s_cmpk_lg_i32 s6, 0x400
	v_addc_co_u32_e64 v3, s[4:5], v3, v31, s[4:5]
	v_addc_co_u32_e32 v4, vcc, v4, v30, vcc
	s_cbranch_scc1 .LBB70_124
; %bb.125:
	v_add_u32_e32 v4, v4, v3
	v_ashrrev_i32_e32 v5, 31, v4
	v_add_u32_e32 v1, s30, v2
	v_lshlrev_b64 v[2:3], 2, v[4:5]
	s_add_i32 s4, 0, 0x400
	v_mov_b32_e32 v5, s37
	v_add_co_u32_e32 v2, vcc, s36, v2
	s_cmp_eq_u32 s33, 0
	v_addc_co_u32_e32 v3, vcc, v5, v3, vcc
	global_store_dword v[2:3], v1, off
	v_lshlrev_b32_e32 v1, 2, v0
	v_lshl_add_u32 v12, v0, 6, s4
	s_cselect_b32 s4, 1, 2
	s_cselect_b32 s5, 2, 1
	v_mad_u32_u24 v8, v0, 60, v51
	v_lshlrev_b32_e32 v2, 2, v4
	v_or_b32_e32 v0, s4, v1
	v_or_b32_e32 v1, s5, v1
	v_ashrrev_i32_e32 v3, 31, v2
	v_lshl_add_u32 v0, v0, 4, 0
	v_lshl_add_u32 v4, v1, 4, 0
	v_lshlrev_b64 v[16:17], 4, v[2:3]
	ds_read2_b64 v[0:3], v0 offset0:128 offset1:129
	ds_read2_b64 v[4:7], v4 offset0:128 offset1:129
	;; [unrolled: 1-line block ×4, first 2 shown]
	v_mov_b32_e32 v18, s39
	v_add_co_u32_e32 v16, vcc, s38, v16
	v_addc_co_u32_e32 v17, vcc, v18, v17, vcc
	s_waitcnt lgkmcnt(1)
	global_store_dwordx4 v[16:17], v[8:11], off
	global_store_dwordx4 v[16:17], v[0:3], off offset:16
	global_store_dwordx4 v[16:17], v[4:7], off offset:32
	s_waitcnt lgkmcnt(0)
	global_store_dwordx4 v[16:17], v[12:15], off offset:48
.LBB70_126:
	s_endpgm
	.section	.rodata,"a",@progbits
	.p2align	6, 0x0
	.amdhsa_kernel _ZN9rocsparseL30bsrgemm_fill_block_per_row_2x2ILj256ELj16ELj256ELj137Eii21rocsparse_complex_numIdEEEv20rocsparse_direction_T4_S4_PKS4_S6_NS_24const_host_device_scalarIT5_EEPKT3_S6_PKS8_SC_S6_SE_S9_SC_S6_SE_SC_PS4_PS8_21rocsparse_index_base_SH_SH_SH_bbb
		.amdhsa_group_segment_fixed_size 0
		.amdhsa_private_segment_fixed_size 24
		.amdhsa_kernarg_size 180
		.amdhsa_user_sgpr_count 8
		.amdhsa_user_sgpr_private_segment_buffer 1
		.amdhsa_user_sgpr_dispatch_ptr 0
		.amdhsa_user_sgpr_queue_ptr 0
		.amdhsa_user_sgpr_kernarg_segment_ptr 1
		.amdhsa_user_sgpr_dispatch_id 0
		.amdhsa_user_sgpr_flat_scratch_init 1
		.amdhsa_user_sgpr_kernarg_preload_length 0
		.amdhsa_user_sgpr_kernarg_preload_offset 0
		.amdhsa_user_sgpr_private_segment_size 0
		.amdhsa_uses_dynamic_stack 0
		.amdhsa_system_sgpr_private_segment_wavefront_offset 1
		.amdhsa_system_sgpr_workgroup_id_x 1
		.amdhsa_system_sgpr_workgroup_id_y 0
		.amdhsa_system_sgpr_workgroup_id_z 0
		.amdhsa_system_sgpr_workgroup_info 0
		.amdhsa_system_vgpr_workitem_id 0
		.amdhsa_next_free_vgpr 58
		.amdhsa_next_free_sgpr 62
		.amdhsa_accum_offset 60
		.amdhsa_reserve_vcc 1
		.amdhsa_reserve_flat_scratch 1
		.amdhsa_float_round_mode_32 0
		.amdhsa_float_round_mode_16_64 0
		.amdhsa_float_denorm_mode_32 3
		.amdhsa_float_denorm_mode_16_64 3
		.amdhsa_dx10_clamp 1
		.amdhsa_ieee_mode 1
		.amdhsa_fp16_overflow 0
		.amdhsa_tg_split 0
		.amdhsa_exception_fp_ieee_invalid_op 0
		.amdhsa_exception_fp_denorm_src 0
		.amdhsa_exception_fp_ieee_div_zero 0
		.amdhsa_exception_fp_ieee_overflow 0
		.amdhsa_exception_fp_ieee_underflow 0
		.amdhsa_exception_fp_ieee_inexact 0
		.amdhsa_exception_int_div_zero 0
	.end_amdhsa_kernel
	.section	.text._ZN9rocsparseL30bsrgemm_fill_block_per_row_2x2ILj256ELj16ELj256ELj137Eii21rocsparse_complex_numIdEEEv20rocsparse_direction_T4_S4_PKS4_S6_NS_24const_host_device_scalarIT5_EEPKT3_S6_PKS8_SC_S6_SE_S9_SC_S6_SE_SC_PS4_PS8_21rocsparse_index_base_SH_SH_SH_bbb,"axG",@progbits,_ZN9rocsparseL30bsrgemm_fill_block_per_row_2x2ILj256ELj16ELj256ELj137Eii21rocsparse_complex_numIdEEEv20rocsparse_direction_T4_S4_PKS4_S6_NS_24const_host_device_scalarIT5_EEPKT3_S6_PKS8_SC_S6_SE_S9_SC_S6_SE_SC_PS4_PS8_21rocsparse_index_base_SH_SH_SH_bbb,comdat
.Lfunc_end70:
	.size	_ZN9rocsparseL30bsrgemm_fill_block_per_row_2x2ILj256ELj16ELj256ELj137Eii21rocsparse_complex_numIdEEEv20rocsparse_direction_T4_S4_PKS4_S6_NS_24const_host_device_scalarIT5_EEPKT3_S6_PKS8_SC_S6_SE_S9_SC_S6_SE_SC_PS4_PS8_21rocsparse_index_base_SH_SH_SH_bbb, .Lfunc_end70-_ZN9rocsparseL30bsrgemm_fill_block_per_row_2x2ILj256ELj16ELj256ELj137Eii21rocsparse_complex_numIdEEEv20rocsparse_direction_T4_S4_PKS4_S6_NS_24const_host_device_scalarIT5_EEPKT3_S6_PKS8_SC_S6_SE_S9_SC_S6_SE_SC_PS4_PS8_21rocsparse_index_base_SH_SH_SH_bbb
                                        ; -- End function
	.section	.AMDGPU.csdata,"",@progbits
; Kernel info:
; codeLenInByte = 4636
; NumSgprs: 68
; NumVgprs: 58
; NumAgprs: 0
; TotalNumVgprs: 58
; ScratchSize: 24
; MemoryBound: 0
; FloatMode: 240
; IeeeMode: 1
; LDSByteSize: 0 bytes/workgroup (compile time only)
; SGPRBlocks: 8
; VGPRBlocks: 7
; NumSGPRsForWavesPerEU: 68
; NumVGPRsForWavesPerEU: 58
; AccumOffset: 60
; Occupancy: 8
; WaveLimiterHint : 1
; COMPUTE_PGM_RSRC2:SCRATCH_EN: 1
; COMPUTE_PGM_RSRC2:USER_SGPR: 8
; COMPUTE_PGM_RSRC2:TRAP_HANDLER: 0
; COMPUTE_PGM_RSRC2:TGID_X_EN: 1
; COMPUTE_PGM_RSRC2:TGID_Y_EN: 0
; COMPUTE_PGM_RSRC2:TGID_Z_EN: 0
; COMPUTE_PGM_RSRC2:TIDIG_COMP_CNT: 0
; COMPUTE_PGM_RSRC3_GFX90A:ACCUM_OFFSET: 14
; COMPUTE_PGM_RSRC3_GFX90A:TG_SPLIT: 0
	.section	.text._ZN9rocsparseL38bsrgemm_block_per_row_atomic_multipassILj256ELj256ELj2Eii21rocsparse_complex_numIdEEEv20rocsparse_direction_T3_S4_PKS4_S6_NS_24const_host_device_scalarIT4_EEPKT2_S6_PKS8_SC_S6_SE_S9_SC_S6_SE_SC_PS4_PS8_PSA_21rocsparse_index_base_SI_SI_SI_bbb,"axG",@progbits,_ZN9rocsparseL38bsrgemm_block_per_row_atomic_multipassILj256ELj256ELj2Eii21rocsparse_complex_numIdEEEv20rocsparse_direction_T3_S4_PKS4_S6_NS_24const_host_device_scalarIT4_EEPKT2_S6_PKS8_SC_S6_SE_S9_SC_S6_SE_SC_PS4_PS8_PSA_21rocsparse_index_base_SI_SI_SI_bbb,comdat
	.globl	_ZN9rocsparseL38bsrgemm_block_per_row_atomic_multipassILj256ELj256ELj2Eii21rocsparse_complex_numIdEEEv20rocsparse_direction_T3_S4_PKS4_S6_NS_24const_host_device_scalarIT4_EEPKT2_S6_PKS8_SC_S6_SE_S9_SC_S6_SE_SC_PS4_PS8_PSA_21rocsparse_index_base_SI_SI_SI_bbb ; -- Begin function _ZN9rocsparseL38bsrgemm_block_per_row_atomic_multipassILj256ELj256ELj2Eii21rocsparse_complex_numIdEEEv20rocsparse_direction_T3_S4_PKS4_S6_NS_24const_host_device_scalarIT4_EEPKT2_S6_PKS8_SC_S6_SE_S9_SC_S6_SE_SC_PS4_PS8_PSA_21rocsparse_index_base_SI_SI_SI_bbb
	.p2align	8
	.type	_ZN9rocsparseL38bsrgemm_block_per_row_atomic_multipassILj256ELj256ELj2Eii21rocsparse_complex_numIdEEEv20rocsparse_direction_T3_S4_PKS4_S6_NS_24const_host_device_scalarIT4_EEPKT2_S6_PKS8_SC_S6_SE_S9_SC_S6_SE_SC_PS4_PS8_PSA_21rocsparse_index_base_SI_SI_SI_bbb,@function
_ZN9rocsparseL38bsrgemm_block_per_row_atomic_multipassILj256ELj256ELj2Eii21rocsparse_complex_numIdEEEv20rocsparse_direction_T3_S4_PKS4_S6_NS_24const_host_device_scalarIT4_EEPKT2_S6_PKS8_SC_S6_SE_S9_SC_S6_SE_SC_PS4_PS8_PSA_21rocsparse_index_base_SI_SI_SI_bbb: ; @_ZN9rocsparseL38bsrgemm_block_per_row_atomic_multipassILj256ELj256ELj2Eii21rocsparse_complex_numIdEEEv20rocsparse_direction_T3_S4_PKS4_S6_NS_24const_host_device_scalarIT4_EEPKT2_S6_PKS8_SC_S6_SE_S9_SC_S6_SE_SC_PS4_PS8_PSA_21rocsparse_index_base_SI_SI_SI_bbb
; %bb.0:
	s_add_u32 flat_scratch_lo, s6, s9
	s_addc_u32 flat_scratch_hi, s7, 0
	s_load_dwordx4 s[16:19], s[4:5], 0x20
	s_load_dwordx4 s[12:15], s[4:5], 0x60
	s_add_u32 s0, s0, s9
	s_load_dword s9, s[4:5], 0xb8
	s_load_dwordx4 s[56:59], s[4:5], 0xa8
	s_addc_u32 s1, s1, 0
	s_waitcnt lgkmcnt(0)
	v_mov_b32_e32 v1, s17
	buffer_store_dword v1, off, s[0:3], 0 offset:4
	s_bitcmp1_b32 s9, 0
	s_cselect_b64 s[34:35], -1, 0
	s_bitcmp1_b32 s9, 16
	v_mov_b32_e32 v1, s16
	s_cselect_b64 s[6:7], -1, 0
	buffer_store_dword v1, off, s[0:3], 0
	v_mov_b32_e32 v1, s13
	buffer_store_dword v1, off, s[0:3], 0 offset:12
	v_mov_b32_e32 v1, s12
	s_xor_b64 s[10:11], s[6:7], -1
	buffer_store_dword v1, off, s[0:3], 0 offset:8
	v_pk_mov_b32 v[6:7], 0, 0
	v_cndmask_b32_e64 v1, 0, 1, s[10:11]
	s_bitcmp0_b32 s9, 0
	v_cmp_ne_u32_e64 s[10:11], 1, v1
	v_pk_mov_b32 v[4:5], v[6:7], v[6:7] op_sel:[0,1]
	v_pk_mov_b32 v[8:9], v[6:7], v[6:7] op_sel:[0,1]
	s_cbranch_scc1 .LBB71_3
; %bb.1:
	s_mov_b64 s[20:21], src_private_base
	s_and_b64 s[22:23], s[6:7], exec
	s_cselect_b32 s20, s21, s17
	v_mov_b32_e32 v1, 0
	v_mov_b32_e32 v2, s16
	v_cndmask_b32_e64 v2, v2, v1, s[6:7]
	v_mov_b32_e32 v3, s20
	flat_load_dwordx2 v[4:5], v[2:3]
	s_and_b64 vcc, exec, s[10:11]
	v_pk_mov_b32 v[8:9], s[18:19], s[18:19] op_sel:[0,1]
	s_cbranch_vccnz .LBB71_3
; %bb.2:
	v_pk_mov_b32 v[2:3], s[16:17], s[16:17] op_sel:[0,1]
	flat_load_dwordx2 v[8:9], v[2:3] offset:8
.LBB71_3:
	s_load_dwordx2 s[16:17], s[4:5], 0x18
	s_bitcmp1_b32 s9, 8
	s_cselect_b64 s[68:69], -1, 0
	s_bfe_u32 s9, s9, 0x10008
	s_cmp_eq_u32 s9, 0
	v_pk_mov_b32 v[10:11], v[6:7], v[6:7] op_sel:[0,1]
	s_cbranch_scc1 .LBB71_6
; %bb.4:
	s_mov_b64 s[18:19], src_private_base
	s_and_b64 s[20:21], s[6:7], exec
	s_cselect_b32 s9, s19, s13
	v_mov_b32_e32 v1, 8
	v_mov_b32_e32 v2, s12
	v_cndmask_b32_e64 v2, v2, v1, s[6:7]
	v_mov_b32_e32 v3, s9
	flat_load_dwordx2 v[10:11], v[2:3]
	s_and_b64 vcc, exec, s[10:11]
	v_pk_mov_b32 v[6:7], s[14:15], s[14:15] op_sel:[0,1]
	s_cbranch_vccnz .LBB71_6
; %bb.5:
	v_pk_mov_b32 v[2:3], s[12:13], s[12:13] op_sel:[0,1]
	flat_load_dwordx2 v[6:7], v[2:3] offset:8
.LBB71_6:
	s_load_dwordx2 s[10:11], s[4:5], 0x30
	s_waitcnt lgkmcnt(0)
	s_cmp_eq_u64 s[16:17], 0
	s_cbranch_scc1 .LBB71_8
; %bb.7:
	s_load_dwordx2 s[6:7], s[4:5], 0x10
	s_waitcnt lgkmcnt(0)
	s_load_dword s6, s[6:7], 0x0
	s_mov_b32 s7, 0
	s_waitcnt lgkmcnt(0)
	s_add_i32 s6, s6, s8
	s_lshl_b64 s[6:7], s[6:7], 2
	s_add_u32 s6, s16, s6
	s_addc_u32 s7, s17, s7
	s_load_dword s8, s[6:7], 0x0
.LBB71_8:
	v_cndmask_b32_e64 v1, 0, 1, s[34:35]
	s_mov_b32 s33, 0
	v_cmp_ne_u32_e64 s[6:7], 1, v1
	s_andn2_b64 vcc, exec, s[34:35]
	s_mov_b32 s90, 0
	s_cbranch_vccz .LBB71_11
; %bb.9:
	s_and_b64 vcc, exec, s[6:7]
	s_cbranch_vccz .LBB71_12
.LBB71_10:
	s_load_dwordx4 s[60:63], s[4:5], 0x0
	s_waitcnt lgkmcnt(0)
	s_cmp_lt_i32 s61, 1
	s_cbranch_scc0 .LBB71_13
	s_branch .LBB71_100
.LBB71_11:
	s_waitcnt lgkmcnt(0)
	s_ashr_i32 s9, s8, 31
	s_lshl_b64 s[12:13], s[8:9], 2
	s_add_u32 s12, s10, s12
	s_addc_u32 s13, s11, s13
	s_load_dword s9, s[12:13], 0x0
	s_waitcnt lgkmcnt(0)
	s_sub_i32 s90, s9, s56
	s_and_b64 vcc, exec, s[6:7]
	s_cbranch_vccnz .LBB71_10
.LBB71_12:
	s_waitcnt lgkmcnt(0)
	s_ashr_i32 s9, s8, 31
	s_lshl_b64 s[6:7], s[8:9], 2
	s_add_u32 s6, s10, s6
	s_addc_u32 s7, s11, s7
	s_load_dword s6, s[6:7], 0x4
	s_waitcnt lgkmcnt(0)
	s_sub_i32 s33, s6, s56
	s_load_dwordx4 s[60:63], s[4:5], 0x0
	s_waitcnt lgkmcnt(0)
	s_cmp_lt_i32 s61, 1
	s_cbranch_scc1 .LBB71_100
.LBB71_13:
	s_load_dwordx2 s[70:71], s[4:5], 0xa0
	s_load_dwordx4 s[64:67], s[4:5], 0x90
	s_load_dwordx8 s[40:47], s[4:5], 0x70
	s_load_dwordx2 s[72:73], s[4:5], 0x58
	s_load_dwordx8 s[48:55], s[4:5], 0x38
	s_ashr_i32 s9, s8, 31
	s_lshl_b64 s[12:13], s[8:9], 2
	s_waitcnt lgkmcnt(0)
	s_add_u32 s4, s46, s12
	s_addc_u32 s5, s47, s13
	s_load_dword s4, s[4:5], 0x0
	v_and_b32_e32 v12, 1, v0
	v_bfe_u32 v14, v0, 1, 1
	v_and_b32_e32 v1, 3, v0
	v_max_i32_e32 v2, v12, v14
	s_waitcnt lgkmcnt(0)
	s_sub_i32 s74, s4, s58
	s_cmp_lt_i32 s90, s33
	s_cselect_b64 s[36:37], -1, 0
	s_cmp_eq_u32 s60, 0
	s_cselect_b64 vcc, -1, 0
	s_cmp_lg_u32 s60, 0
	s_cselect_b64 s[46:47], -1, 0
	s_cmp_gt_i32 s62, 0
	s_cselect_b64 s[38:39], -1, 0
	s_add_u32 s40, s40, s12
	v_lshrrev_b32_e32 v13, 2, v0
	v_cmp_gt_i32_e64 s[8:9], s62, v2
	v_cmp_le_i32_e64 s[10:11], s62, v2
	s_addc_u32 s41, s41, s13
	v_cmp_eq_u32_e64 s[12:13], 3, v1
	v_lshlrev_b32_e32 v1, 2, v0
	v_add_co_u32_e64 v2, s[14:15], -1, v0
	v_mov_b32_e32 v3, 0x5000
	s_movk_i32 s4, 0x100
	v_lshlrev_b32_e32 v15, 4, v0
	s_movk_i32 s75, 0x4000
	v_or_b32_e32 v33, 0x5000, v1
	v_lshl_add_u32 v34, v2, 2, v3
	v_add_u32_e32 v35, 0x4ff8, v1
	v_add_u32_e32 v36, 0x4ff0, v1
	;; [unrolled: 1-line block ×6, first 2 shown]
	s_movk_i32 s30, 0x7f
	v_add_u32_e32 v41, 0x4e00, v1
	v_lshlrev_b32_e32 v1, 6, v13
	v_lshlrev_b32_e32 v2, 4, v14
	v_cmp_gt_u32_e64 s[4:5], s4, v0
	v_cmp_eq_u32_e64 s[6:7], 0, v0
	v_and_b32_e32 v19, 2, v0
	v_cmp_ne_u32_e64 s[16:17], 0, v0
	v_cmp_lt_u32_e64 s[18:19], 1, v0
	v_cmp_lt_u32_e64 s[20:21], 3, v0
	;; [unrolled: 1-line block ×7, first 2 shown]
	s_and_b64 s[34:35], s[34:35], s[36:37]
	v_or_b32_e32 v42, 0xffffff00, v0
	v_or3_b32 v43, v1, v2, s75
	v_and_b32_e32 v1, 0xfe0, v15
	v_and_b32_e32 v0, 0xfc, v0
	s_add_u32 s60, s52, 4
	s_mul_i32 s91, s62, s62
	v_or_b32_e32 v44, 0x4000, v1
	v_or3_b32 v1, v0, v19, v12
	v_or_b32_e32 v46, 0x5000, v0
	v_mov_b32_e32 v0, 0
	v_cndmask_b32_e64 v20, 0, 1, s[34:35]
	s_mov_b32 s94, 0
	v_or_b32_e32 v17, 0x4000, v15
	v_subrev_u32_e32 v32, s59, v13
	v_cndmask_b32_e32 v16, v12, v14, vcc
	v_cndmask_b32_e32 v18, v14, v12, vcc
	s_addc_u32 s63, s53, 0
	s_lshl_b32 s92, s91, 6
	v_lshlrev_b32_e32 v45, 4, v1
	v_mov_b32_e32 v51, 0x100
	v_mov_b32_e32 v47, s74
	;; [unrolled: 1-line block ×5, first 2 shown]
	s_movk_i32 s93, 0x2ff
	v_cmp_ne_u32_e64 s[34:35], 1, v20
	v_mov_b32_e32 v48, 1
	v_cndmask_b32_e64 v49, 0, 1, s[38:39]
	v_mov_b32_e32 v50, s73
	s_movk_i32 s73, 0xbf
	s_branch .LBB71_15
.LBB71_14:                              ;   in Loop: Header=BB71_15 Depth=1
	s_or_b64 exec, exec, s[36:37]
	s_barrier
	ds_read_b32 v20, v0 offset:21504
	v_add_u32_e32 v47, v22, v47
	s_waitcnt lgkmcnt(0)
	s_barrier
	v_cmp_le_i32_e32 vcc, s61, v20
	v_readfirstlane_b32 s94, v20
	v_add_u32_e32 v51, 0x100, v20
	s_cbranch_vccnz .LBB71_100
.LBB71_15:                              ; =>This Loop Header: Depth=1
                                        ;     Child Loop BB71_18 Depth 2
                                        ;     Child Loop BB71_24 Depth 2
                                        ;       Child Loop BB71_38 Depth 3
                                        ;         Child Loop BB71_47 Depth 4
                                        ;         Child Loop BB71_52 Depth 4
                                        ;     Child Loop BB71_63 Depth 2
                                        ;     Child Loop BB71_72 Depth 2
                                        ;     Child Loop BB71_97 Depth 2
	s_and_saveexec_b64 s[36:37], s[4:5]
	s_cbranch_execz .LBB71_17
; %bb.16:                               ;   in Loop: Header=BB71_15 Depth=1
	ds_write_b32 v33, v0
.LBB71_17:                              ;   in Loop: Header=BB71_15 Depth=1
	s_or_b64 exec, exec, s[36:37]
	s_mov_b64 s[36:37], 0
	v_mov_b32_e32 v20, v15
	v_mov_b32_e32 v21, v42
.LBB71_18:                              ;   Parent Loop BB71_15 Depth=1
                                        ; =>  This Inner Loop Header: Depth=2
	v_add_u32_e32 v21, 0x100, v21
	v_cmp_lt_u32_e32 vcc, s93, v21
	ds_write_b128 v20, v[0:3]
	s_or_b64 s[36:37], vcc, s[36:37]
	v_add_u32_e32 v20, 0x1000, v20
	s_andn2_b64 exec, exec, s[36:37]
	s_cbranch_execnz .LBB71_18
; %bb.19:                               ;   in Loop: Header=BB71_15 Depth=1
	s_or_b64 exec, exec, s[36:37]
	s_and_saveexec_b64 s[36:37], s[6:7]
	s_cbranch_execz .LBB71_21
; %bb.20:                               ;   in Loop: Header=BB71_15 Depth=1
	v_mov_b32_e32 v20, s61
	ds_write_b32 v0, v20 offset:21504
.LBB71_21:                              ;   in Loop: Header=BB71_15 Depth=1
	s_or_b64 exec, exec, s[36:37]
	s_and_b64 vcc, exec, s[34:35]
	v_mov_b32_e32 v52, s61
	s_waitcnt lgkmcnt(0)
	s_barrier
	s_cbranch_vccnz .LBB71_58
; %bb.22:                               ;   in Loop: Header=BB71_15 Depth=1
	s_cmp_lg_u32 s94, 0
	s_cselect_b64 s[74:75], -1, 0
	v_mov_b32_e32 v52, s61
	s_mov_b32 s95, s90
	s_branch .LBB71_24
.LBB71_23:                              ;   in Loop: Header=BB71_24 Depth=2
	s_or_b64 exec, exec, s[38:39]
	s_add_i32 s95, s95, 64
	s_cmp_lt_i32 s95, s33
	s_cbranch_scc0 .LBB71_58
.LBB71_24:                              ;   Parent Loop BB71_15 Depth=1
                                        ; =>  This Loop Header: Depth=2
                                        ;       Child Loop BB71_38 Depth 3
                                        ;         Child Loop BB71_47 Depth 4
                                        ;         Child Loop BB71_52 Depth 4
	v_add_u32_e32 v20, s95, v13
	v_cmp_gt_i32_e64 s[36:37], s33, v20
	s_barrier
	s_and_saveexec_b64 s[38:39], s[36:37]
	s_cbranch_execz .LBB71_29
; %bb.25:                               ;   in Loop: Header=BB71_24 Depth=2
	s_and_saveexec_b64 s[76:77], s[10:11]
	s_xor_b64 s[76:77], exec, s[76:77]
	s_cbranch_execz .LBB71_27
; %bb.26:                               ;   in Loop: Header=BB71_24 Depth=2
	ds_write_b128 v17, v[0:3]
.LBB71_27:                              ;   in Loop: Header=BB71_24 Depth=2
	s_andn2_saveexec_b64 s[76:77], s[76:77]
	s_cbranch_execz .LBB71_29
; %bb.28:                               ;   in Loop: Header=BB71_24 Depth=2
	v_mad_u64_u32 v[22:23], s[76:77], v20, s62, v[14:15]
	v_mad_u64_u32 v[22:23], s[76:77], v22, s62, v[12:13]
	v_ashrrev_i32_e32 v23, 31, v22
	v_lshlrev_b64 v[22:23], 4, v[22:23]
	v_mov_b32_e32 v21, s51
	v_add_co_u32_e32 v22, vcc, s50, v22
	v_addc_co_u32_e32 v23, vcc, v21, v23, vcc
	global_load_dwordx4 v[22:25], v[22:23], off
	s_waitcnt vmcnt(0)
	ds_write2_b64 v17, v[22:23], v[24:25] offset1:1
.LBB71_29:                              ;   in Loop: Header=BB71_24 Depth=2
	s_or_b64 exec, exec, s[38:39]
	v_mov_b32_e32 v53, 0
	s_waitcnt lgkmcnt(0)
	s_barrier
	s_and_saveexec_b64 s[76:77], s[36:37]
	s_cbranch_execz .LBB71_55
; %bb.30:                               ;   in Loop: Header=BB71_24 Depth=2
	v_ashrrev_i32_e32 v21, 31, v20
	v_lshlrev_b64 v[24:25], 2, v[20:21]
	v_mov_b32_e32 v21, s49
	v_add_co_u32_e32 v22, vcc, s48, v24
	v_addc_co_u32_e32 v23, vcc, v21, v25, vcc
	global_load_dword v21, v[22:23], off
	s_and_b64 vcc, exec, s[74:75]
	s_waitcnt vmcnt(0)
	v_subrev_u32_e32 v22, s56, v21
	v_ashrrev_i32_e32 v23, 31, v22
	s_cbranch_vccz .LBB71_57
; %bb.31:                               ;   in Loop: Header=BB71_24 Depth=2
	v_mov_b32_e32 v21, s71
	v_add_co_u32_e32 v24, vcc, s70, v24
	v_addc_co_u32_e32 v25, vcc, v21, v25, vcc
	global_load_dword v53, v[24:25], off
	s_cbranch_execnz .LBB71_33
.LBB71_32:                              ;   in Loop: Header=BB71_24 Depth=2
	v_lshlrev_b64 v[24:25], 2, v[22:23]
	v_mov_b32_e32 v21, s53
	v_add_co_u32_e32 v24, vcc, s52, v24
	v_addc_co_u32_e32 v25, vcc, v21, v25, vcc
	global_load_dword v21, v[24:25], off
	s_waitcnt vmcnt(0)
	v_subrev_u32_e32 v53, s57, v21
.LBB71_33:                              ;   in Loop: Header=BB71_24 Depth=2
	v_lshlrev_b64 v[22:23], 2, v[22:23]
	v_mov_b32_e32 v21, s63
	v_add_co_u32_e32 v22, vcc, s60, v22
	v_addc_co_u32_e32 v23, vcc, v21, v23, vcc
	global_load_dword v21, v[22:23], off
	s_waitcnt vmcnt(0)
	v_subrev_u32_e32 v21, s57, v21
	v_cmp_lt_i32_e32 vcc, v53, v21
	s_and_saveexec_b64 s[78:79], vcc
	s_cbranch_execz .LBB71_54
; %bb.34:                               ;   in Loop: Header=BB71_24 Depth=2
	v_mad_u64_u32 v[22:23], s[38:39], s62, v53, v[12:13]
	v_mul_lo_u32 v54, s62, v22
	v_mad_u64_u32 v[22:23], s[38:39], s91, v53, v[12:13]
	s_mov_b64 s[80:81], 0
	v_mov_b32_e32 v24, v53
	s_branch .LBB71_38
.LBB71_35:                              ;   in Loop: Header=BB71_38 Depth=3
	v_or3_b32 v23, v23, v19, v12
	v_mul_f64 v[30:31], v[28:29], -v[8:9]
	v_lshlrev_b32_e32 v23, 4, v23
	v_fmac_f64_e32 v[30:31], v[4:5], v[26:27]
	v_mul_f64 v[28:29], v[4:5], v[28:29]
	v_fmac_f64_e32 v[28:29], v[8:9], v[26:27]
	ds_add_f64 v23, v[30:31]
	ds_add_f64 v23, v[28:29] offset:8
.LBB71_36:                              ;   in Loop: Header=BB71_38 Depth=3
	s_or_b64 exec, exec, s[86:87]
	s_or_b64 s[82:83], s[82:83], exec
.LBB71_37:                              ;   in Loop: Header=BB71_38 Depth=3
	s_or_b64 exec, exec, s[84:85]
	v_add_u32_e32 v24, 1, v24
	v_cmp_ge_i32_e32 vcc, v24, v21
	s_xor_b64 s[38:39], s[82:83], -1
	s_or_b64 s[38:39], s[38:39], vcc
	s_and_b64 s[38:39], exec, s[38:39]
	v_add_u32_e32 v54, s91, v54
	s_or_b64 s[80:81], s[38:39], s[80:81]
	v_add_u32_e32 v22, s91, v22
	s_andn2_b64 exec, exec, s[80:81]
	s_cbranch_execz .LBB71_53
.LBB71_38:                              ;   Parent Loop BB71_15 Depth=1
                                        ;     Parent Loop BB71_24 Depth=2
                                        ; =>    This Loop Header: Depth=3
                                        ;         Child Loop BB71_47 Depth 4
                                        ;         Child Loop BB71_52 Depth 4
	v_ashrrev_i32_e32 v25, 31, v24
	v_lshlrev_b64 v[26:27], 2, v[24:25]
	v_mov_b32_e32 v23, s55
	v_add_co_u32_e32 v26, vcc, s54, v26
	v_addc_co_u32_e32 v27, vcc, v23, v27, vcc
	global_load_dword v23, v[26:27], off
                                        ; implicit-def: $sgpr82_sgpr83
	s_waitcnt vmcnt(0)
	v_subrev_u32_e32 v23, s57, v23
	v_cmp_gt_i32_e64 s[38:39], s94, v23
	v_cmp_ge_i32_e32 vcc, v23, v51
	s_or_b64 s[38:39], s[38:39], vcc
	s_and_saveexec_b64 s[84:85], s[38:39]
	s_xor_b64 s[38:39], exec, s[84:85]
	s_cbranch_execz .LBB71_42
; %bb.39:                               ;   in Loop: Header=BB71_38 Depth=3
	s_mov_b64 s[82:83], -1
	s_and_saveexec_b64 s[84:85], vcc
; %bb.40:                               ;   in Loop: Header=BB71_38 Depth=3
	v_min_i32_e32 v52, v23, v52
	s_xor_b64 s[82:83], exec, -1
	v_mov_b32_e32 v53, v24
; %bb.41:                               ;   in Loop: Header=BB71_38 Depth=3
	s_or_b64 exec, exec, s[84:85]
	s_and_b64 s[82:83], s[82:83], exec
                                        ; implicit-def: $vgpr23
.LBB71_42:                              ;   in Loop: Header=BB71_38 Depth=3
	s_andn2_saveexec_b64 s[84:85], s[38:39]
	s_cbranch_execz .LBB71_37
; %bb.43:                               ;   in Loop: Header=BB71_38 Depth=3
	v_subrev_u32_e32 v23, s94, v23
	v_lshlrev_b32_e32 v23, 2, v23
	ds_write_b32 v23, v48 offset:20480
	s_and_saveexec_b64 s[86:87], s[8:9]
	s_cbranch_execz .LBB71_36
; %bb.44:                               ;   in Loop: Header=BB71_38 Depth=3
	s_andn2_b64 vcc, exec, s[46:47]
	v_cmp_ne_u32_e64 s[38:39], 1, v49
	s_cbranch_vccnz .LBB71_49
; %bb.45:                               ;   in Loop: Header=BB71_38 Depth=3
	v_pk_mov_b32 v[26:27], 0, 0
	s_mov_b64 s[88:89], 0
	s_and_b64 vcc, exec, s[38:39]
	v_pk_mov_b32 v[28:29], v[26:27], v[26:27] op_sel:[0,1]
	s_cbranch_vccnz .LBB71_48
; %bb.46:                               ;   in Loop: Header=BB71_38 Depth=3
	v_pk_mov_b32 v[26:27], 0, 0
	v_mov_b32_e32 v30, v54
	s_mov_b32 s96, s62
	v_mov_b32_e32 v25, v43
	v_pk_mov_b32 v[28:29], v[26:27], v[26:27] op_sel:[0,1]
.LBB71_47:                              ;   Parent Loop BB71_15 Depth=1
                                        ;     Parent Loop BB71_24 Depth=2
                                        ;       Parent Loop BB71_38 Depth=3
                                        ; =>      This Inner Loop Header: Depth=4
	v_ashrrev_i32_e32 v31, 31, v30
	v_lshlrev_b64 v[56:57], 4, v[30:31]
	v_add_co_u32_e32 v56, vcc, s72, v56
	v_addc_co_u32_e32 v57, vcc, v50, v57, vcc
	global_load_dwordx4 v[56:59], v[56:57], off
	ds_read_b128 v[60:63], v25
	s_add_i32 s96, s96, -1
	v_add_u32_e32 v25, 32, v25
	v_add_u32_e32 v30, 1, v30
	s_cmp_lg_u32 s96, 0
	s_waitcnt vmcnt(0) lgkmcnt(0)
	v_fmac_f64_e32 v[26:27], v[60:61], v[56:57]
	v_fmac_f64_e32 v[28:29], v[62:63], v[56:57]
	v_fma_f64 v[26:27], -v[62:63], v[58:59], v[26:27]
	v_fmac_f64_e32 v[28:29], v[60:61], v[58:59]
	s_cbranch_scc1 .LBB71_47
.LBB71_48:                              ;   in Loop: Header=BB71_38 Depth=3
	s_andn2_b64 vcc, exec, s[88:89]
	s_cbranch_vccnz .LBB71_35
	s_branch .LBB71_50
.LBB71_49:                              ;   in Loop: Header=BB71_38 Depth=3
                                        ; implicit-def: $vgpr26_vgpr27
                                        ; implicit-def: $vgpr28_vgpr29
.LBB71_50:                              ;   in Loop: Header=BB71_38 Depth=3
	v_pk_mov_b32 v[26:27], 0, 0
	s_and_b64 vcc, exec, s[38:39]
	v_pk_mov_b32 v[28:29], v[26:27], v[26:27] op_sel:[0,1]
	s_cbranch_vccnz .LBB71_35
; %bb.51:                               ;   in Loop: Header=BB71_38 Depth=3
	v_pk_mov_b32 v[26:27], 0, 0
	v_mov_b32_e32 v25, v44
	v_mov_b32_e32 v30, v22
	s_mov_b32 s38, s62
	v_pk_mov_b32 v[28:29], v[26:27], v[26:27] op_sel:[0,1]
.LBB71_52:                              ;   Parent Loop BB71_15 Depth=1
                                        ;     Parent Loop BB71_24 Depth=2
                                        ;       Parent Loop BB71_38 Depth=3
                                        ; =>      This Inner Loop Header: Depth=4
	v_ashrrev_i32_e32 v31, 31, v30
	v_lshlrev_b64 v[56:57], 4, v[30:31]
	v_add_co_u32_e32 v56, vcc, s72, v56
	v_addc_co_u32_e32 v57, vcc, v50, v57, vcc
	global_load_dwordx4 v[56:59], v[56:57], off
	ds_read_b128 v[60:63], v25
	s_add_i32 s38, s38, -1
	v_add_u32_e32 v25, 16, v25
	v_add_u32_e32 v30, s62, v30
	s_cmp_eq_u32 s38, 0
	s_waitcnt vmcnt(0) lgkmcnt(0)
	v_fmac_f64_e32 v[26:27], v[60:61], v[56:57]
	v_fmac_f64_e32 v[28:29], v[62:63], v[56:57]
	v_fma_f64 v[26:27], -v[62:63], v[58:59], v[26:27]
	v_fmac_f64_e32 v[28:29], v[60:61], v[58:59]
	s_cbranch_scc0 .LBB71_52
	s_branch .LBB71_35
.LBB71_53:                              ;   in Loop: Header=BB71_24 Depth=2
	s_or_b64 exec, exec, s[80:81]
.LBB71_54:                              ;   in Loop: Header=BB71_24 Depth=2
	s_or_b64 exec, exec, s[78:79]
.LBB71_55:                              ;   in Loop: Header=BB71_24 Depth=2
	s_or_b64 exec, exec, s[76:77]
	s_waitcnt lgkmcnt(0)
	s_barrier
	s_and_saveexec_b64 s[38:39], s[36:37]
	s_cbranch_execz .LBB71_23
; %bb.56:                               ;   in Loop: Header=BB71_24 Depth=2
	v_ashrrev_i32_e32 v21, 31, v20
	v_lshlrev_b64 v[20:21], 2, v[20:21]
	v_mov_b32_e32 v22, s71
	v_add_co_u32_e32 v20, vcc, s70, v20
	v_addc_co_u32_e32 v21, vcc, v22, v21, vcc
	global_store_dword v[20:21], v53, off
	s_branch .LBB71_23
.LBB71_57:                              ;   in Loop: Header=BB71_24 Depth=2
                                        ; implicit-def: $vgpr53
	s_branch .LBB71_32
.LBB71_58:                              ;   in Loop: Header=BB71_15 Depth=1
	s_andn2_b64 vcc, exec, s[68:69]
	s_cbranch_vccnz .LBB71_70
; %bb.59:                               ;   in Loop: Header=BB71_15 Depth=1
	s_load_dwordx2 s[36:37], s[40:41], 0x0
	s_waitcnt lgkmcnt(0)
	s_sub_i32 s80, s37, s59
	v_add_u32_e32 v20, s36, v32
	v_cmp_gt_i32_e32 vcc, s80, v20
	s_and_saveexec_b64 s[74:75], vcc
	s_cbranch_execz .LBB71_69
; %bb.60:                               ;   in Loop: Header=BB71_15 Depth=1
	v_mad_u64_u32 v[22:23], s[36:37], s62, v20, v[16:17]
	v_mad_u64_u32 v[22:23], s[36:37], s62, v22, v[18:19]
	s_mov_b64 s[76:77], 0
	s_branch .LBB71_63
.LBB71_61:                              ;   in Loop: Header=BB71_63 Depth=2
	s_or_b64 exec, exec, s[78:79]
	s_or_b64 s[36:37], s[36:37], exec
.LBB71_62:                              ;   in Loop: Header=BB71_63 Depth=2
	s_or_b64 exec, exec, s[38:39]
	v_add_u32_e32 v20, 64, v20
	v_cmp_le_i32_e32 vcc, s80, v20
	s_xor_b64 s[36:37], s[36:37], -1
	s_or_b64 s[36:37], vcc, s[36:37]
	s_and_b64 s[36:37], exec, s[36:37]
	s_or_b64 s[76:77], s[36:37], s[76:77]
	v_add_u32_e32 v22, s92, v22
	s_andn2_b64 exec, exec, s[76:77]
	s_cbranch_execz .LBB71_68
.LBB71_63:                              ;   Parent Loop BB71_15 Depth=1
                                        ; =>  This Inner Loop Header: Depth=2
	v_ashrrev_i32_e32 v21, 31, v20
	v_lshlrev_b64 v[24:25], 2, v[20:21]
	v_mov_b32_e32 v21, s43
	v_add_co_u32_e32 v24, vcc, s42, v24
	v_addc_co_u32_e32 v25, vcc, v21, v25, vcc
	global_load_dword v21, v[24:25], off
	s_waitcnt vmcnt(0)
	v_subrev_u32_e32 v21, s59, v21
	v_cmp_gt_i32_e64 s[36:37], s94, v21
	v_cmp_ge_i32_e64 s[38:39], v21, v51
	v_cmp_lt_i32_e32 vcc, v21, v51
	s_or_b64 s[38:39], s[36:37], s[38:39]
                                        ; implicit-def: $sgpr36_sgpr37
	s_and_saveexec_b64 s[78:79], s[38:39]
	s_xor_b64 s[38:39], exec, s[78:79]
; %bb.64:                               ;   in Loop: Header=BB71_63 Depth=2
	v_min_i32_e32 v21, v21, v52
	v_cndmask_b32_e32 v52, v21, v52, vcc
	s_and_b64 s[36:37], vcc, exec
                                        ; implicit-def: $vgpr21
; %bb.65:                               ;   in Loop: Header=BB71_63 Depth=2
	s_andn2_saveexec_b64 s[38:39], s[38:39]
	s_cbranch_execz .LBB71_62
; %bb.66:                               ;   in Loop: Header=BB71_63 Depth=2
	v_subrev_u32_e32 v21, s94, v21
	v_lshlrev_b32_e32 v21, 2, v21
	ds_write_b32 v21, v48 offset:20480
	s_and_saveexec_b64 s[78:79], s[8:9]
	s_cbranch_execz .LBB71_61
; %bb.67:                               ;   in Loop: Header=BB71_63 Depth=2
	v_ashrrev_i32_e32 v23, 31, v22
	v_lshlrev_b64 v[24:25], 4, v[22:23]
	v_mov_b32_e32 v23, s45
	v_add_co_u32_e32 v24, vcc, s44, v24
	v_addc_co_u32_e32 v25, vcc, v23, v25, vcc
	global_load_dwordx4 v[24:27], v[24:25], off
	v_or3_b32 v21, v21, v19, v12
	v_lshlrev_b32_e32 v21, 4, v21
	s_waitcnt vmcnt(0)
	v_mul_f64 v[28:29], v[26:27], -v[6:7]
	v_mul_f64 v[26:27], v[10:11], v[26:27]
	v_fmac_f64_e32 v[28:29], v[10:11], v[24:25]
	v_fmac_f64_e32 v[26:27], v[6:7], v[24:25]
	ds_add_f64 v21, v[28:29]
	ds_add_f64 v21, v[26:27] offset:8
	s_branch .LBB71_61
.LBB71_68:                              ;   in Loop: Header=BB71_15 Depth=1
	s_or_b64 exec, exec, s[76:77]
.LBB71_69:                              ;   in Loop: Header=BB71_15 Depth=1
	s_or_b64 exec, exec, s[74:75]
.LBB71_70:                              ;   in Loop: Header=BB71_15 Depth=1
	s_and_saveexec_b64 s[36:37], s[12:13]
	s_cbranch_execz .LBB71_75
; %bb.71:                               ;   in Loop: Header=BB71_15 Depth=1
	s_mov_b64 s[38:39], exec
	s_brev_b32 s74, -2
.LBB71_72:                              ;   Parent Loop BB71_15 Depth=1
                                        ; =>  This Inner Loop Header: Depth=2
	s_ff1_i32_b64 s75, s[38:39]
	v_readlane_b32 s78, v52, s75
	s_lshl_b64 s[76:77], 1, s75
	s_min_i32 s74, s74, s78
	s_andn2_b64 s[38:39], s[38:39], s[76:77]
	s_cmp_lg_u64 s[38:39], 0
	s_cbranch_scc1 .LBB71_72
; %bb.73:                               ;   in Loop: Header=BB71_15 Depth=1
	v_mbcnt_lo_u32_b32 v20, exec_lo, 0
	v_mbcnt_hi_u32_b32 v20, exec_hi, v20
	v_cmp_eq_u32_e32 vcc, 0, v20
	s_and_saveexec_b64 s[38:39], vcc
	s_xor_b64 s[38:39], exec, s[38:39]
	s_cbranch_execz .LBB71_75
; %bb.74:                               ;   in Loop: Header=BB71_15 Depth=1
	v_mov_b32_e32 v20, s74
	ds_min_i32 v0, v20 offset:21504
.LBB71_75:                              ;   in Loop: Header=BB71_15 Depth=1
	s_or_b64 exec, exec, s[36:37]
	s_waitcnt lgkmcnt(0)
	s_barrier
	ds_read_b32 v20, v33
	s_waitcnt lgkmcnt(0)
	s_barrier
	s_and_saveexec_b64 s[36:37], s[16:17]
	s_cbranch_execz .LBB71_77
; %bb.76:                               ;   in Loop: Header=BB71_15 Depth=1
	ds_read_b32 v21, v34
	s_waitcnt lgkmcnt(0)
	v_add_u32_e32 v20, v21, v20
.LBB71_77:                              ;   in Loop: Header=BB71_15 Depth=1
	s_or_b64 exec, exec, s[36:37]
	s_barrier
	ds_write_b32 v33, v20
	s_waitcnt lgkmcnt(0)
	s_barrier
	s_and_saveexec_b64 s[36:37], s[18:19]
	s_cbranch_execz .LBB71_79
; %bb.78:                               ;   in Loop: Header=BB71_15 Depth=1
	ds_read_b32 v21, v35
	s_waitcnt lgkmcnt(0)
	v_add_u32_e32 v20, v21, v20
.LBB71_79:                              ;   in Loop: Header=BB71_15 Depth=1
	s_or_b64 exec, exec, s[36:37]
	s_barrier
	ds_write_b32 v33, v20
	;; [unrolled: 12-line block ×8, first 2 shown]
	s_waitcnt lgkmcnt(0)
	s_barrier
	ds_read_b32 v22, v0 offset:21500
	v_mov_b32_e32 v21, 0
	s_and_saveexec_b64 s[36:37], s[14:15]
	s_cbranch_execz .LBB71_93
; %bb.92:                               ;   in Loop: Header=BB71_15 Depth=1
	ds_read_b32 v21, v34
.LBB71_93:                              ;   in Loop: Header=BB71_15 Depth=1
	s_or_b64 exec, exec, s[36:37]
	s_waitcnt lgkmcnt(0)
	v_cmp_eq_u32_e32 vcc, v20, v21
	s_and_b64 s[38:39], s[14:15], vcc
	s_barrier
	s_and_saveexec_b64 s[36:37], s[38:39]
	s_cbranch_execz .LBB71_95
; %bb.94:                               ;   in Loop: Header=BB71_15 Depth=1
	ds_write_b32 v33, v0
.LBB71_95:                              ;   in Loop: Header=BB71_15 Depth=1
	s_or_b64 exec, exec, s[36:37]
	v_add_u32_e32 v23, -1, v47
	s_add_i32 s74, s58, s94
	s_mov_b64 s[36:37], 0
	v_mov_b32_e32 v24, v46
	v_mov_b32_e32 v25, v45
	;; [unrolled: 1-line block ×3, first 2 shown]
	s_waitcnt lgkmcnt(0)
	s_barrier
	s_branch .LBB71_97
.LBB71_96:                              ;   in Loop: Header=BB71_97 Depth=2
	s_or_b64 exec, exec, s[38:39]
	v_add_u32_e32 v20, 64, v26
	v_cmp_lt_u32_e32 vcc, s73, v26
	v_add_u32_e32 v25, 0x1000, v25
	v_add_u32_e32 v24, 0x100, v24
	s_or_b64 s[36:37], vcc, s[36:37]
	v_mov_b32_e32 v26, v20
	s_andn2_b64 exec, exec, s[36:37]
	s_cbranch_execz .LBB71_14
.LBB71_97:                              ;   Parent Loop BB71_15 Depth=1
                                        ; =>  This Inner Loop Header: Depth=2
	ds_read_b32 v20, v24
	s_waitcnt lgkmcnt(0)
	v_cmp_ne_u32_e32 vcc, 0, v20
	s_and_saveexec_b64 s[38:39], vcc
	s_cbranch_execz .LBB71_96
; %bb.98:                               ;   in Loop: Header=BB71_97 Depth=2
	v_add_u32_e32 v20, v23, v20
	v_ashrrev_i32_e32 v21, 31, v20
	v_lshlrev_b64 v[28:29], 2, v[20:21]
	v_mov_b32_e32 v21, s65
	v_add_co_u32_e32 v28, vcc, s64, v28
	v_add_u32_e32 v27, s74, v26
	v_addc_co_u32_e32 v29, vcc, v21, v29, vcc
	global_store_dword v[28:29], v27, off
	s_and_b64 exec, exec, s[8:9]
	s_cbranch_execz .LBB71_96
; %bb.99:                               ;   in Loop: Header=BB71_97 Depth=2
	v_mad_u64_u32 v[20:21], s[76:77], v20, s62, v[16:17]
	v_mad_u64_u32 v[20:21], s[76:77], v20, s62, v[18:19]
	ds_read2_b64 v[28:31], v25 offset1:1
	v_ashrrev_i32_e32 v21, 31, v20
	v_lshlrev_b64 v[20:21], 4, v[20:21]
	v_mov_b32_e32 v27, s67
	v_add_co_u32_e32 v20, vcc, s66, v20
	v_addc_co_u32_e32 v21, vcc, v27, v21, vcc
	s_waitcnt lgkmcnt(0)
	global_store_dwordx4 v[20:21], v[28:31], off
	s_branch .LBB71_96
.LBB71_100:
	s_endpgm
	.section	.rodata,"a",@progbits
	.p2align	6, 0x0
	.amdhsa_kernel _ZN9rocsparseL38bsrgemm_block_per_row_atomic_multipassILj256ELj256ELj2Eii21rocsparse_complex_numIdEEEv20rocsparse_direction_T3_S4_PKS4_S6_NS_24const_host_device_scalarIT4_EEPKT2_S6_PKS8_SC_S6_SE_S9_SC_S6_SE_SC_PS4_PS8_PSA_21rocsparse_index_base_SI_SI_SI_bbb
		.amdhsa_group_segment_fixed_size 21512
		.amdhsa_private_segment_fixed_size 24
		.amdhsa_kernarg_size 188
		.amdhsa_user_sgpr_count 8
		.amdhsa_user_sgpr_private_segment_buffer 1
		.amdhsa_user_sgpr_dispatch_ptr 0
		.amdhsa_user_sgpr_queue_ptr 0
		.amdhsa_user_sgpr_kernarg_segment_ptr 1
		.amdhsa_user_sgpr_dispatch_id 0
		.amdhsa_user_sgpr_flat_scratch_init 1
		.amdhsa_user_sgpr_kernarg_preload_length 0
		.amdhsa_user_sgpr_kernarg_preload_offset 0
		.amdhsa_user_sgpr_private_segment_size 0
		.amdhsa_uses_dynamic_stack 0
		.amdhsa_system_sgpr_private_segment_wavefront_offset 1
		.amdhsa_system_sgpr_workgroup_id_x 1
		.amdhsa_system_sgpr_workgroup_id_y 0
		.amdhsa_system_sgpr_workgroup_id_z 0
		.amdhsa_system_sgpr_workgroup_info 0
		.amdhsa_system_vgpr_workitem_id 0
		.amdhsa_next_free_vgpr 64
		.amdhsa_next_free_sgpr 97
		.amdhsa_accum_offset 64
		.amdhsa_reserve_vcc 1
		.amdhsa_reserve_flat_scratch 1
		.amdhsa_float_round_mode_32 0
		.amdhsa_float_round_mode_16_64 0
		.amdhsa_float_denorm_mode_32 3
		.amdhsa_float_denorm_mode_16_64 3
		.amdhsa_dx10_clamp 1
		.amdhsa_ieee_mode 1
		.amdhsa_fp16_overflow 0
		.amdhsa_tg_split 0
		.amdhsa_exception_fp_ieee_invalid_op 0
		.amdhsa_exception_fp_denorm_src 0
		.amdhsa_exception_fp_ieee_div_zero 0
		.amdhsa_exception_fp_ieee_overflow 0
		.amdhsa_exception_fp_ieee_underflow 0
		.amdhsa_exception_fp_ieee_inexact 0
		.amdhsa_exception_int_div_zero 0
	.end_amdhsa_kernel
	.section	.text._ZN9rocsparseL38bsrgemm_block_per_row_atomic_multipassILj256ELj256ELj2Eii21rocsparse_complex_numIdEEEv20rocsparse_direction_T3_S4_PKS4_S6_NS_24const_host_device_scalarIT4_EEPKT2_S6_PKS8_SC_S6_SE_S9_SC_S6_SE_SC_PS4_PS8_PSA_21rocsparse_index_base_SI_SI_SI_bbb,"axG",@progbits,_ZN9rocsparseL38bsrgemm_block_per_row_atomic_multipassILj256ELj256ELj2Eii21rocsparse_complex_numIdEEEv20rocsparse_direction_T3_S4_PKS4_S6_NS_24const_host_device_scalarIT4_EEPKT2_S6_PKS8_SC_S6_SE_S9_SC_S6_SE_SC_PS4_PS8_PSA_21rocsparse_index_base_SI_SI_SI_bbb,comdat
.Lfunc_end71:
	.size	_ZN9rocsparseL38bsrgemm_block_per_row_atomic_multipassILj256ELj256ELj2Eii21rocsparse_complex_numIdEEEv20rocsparse_direction_T3_S4_PKS4_S6_NS_24const_host_device_scalarIT4_EEPKT2_S6_PKS8_SC_S6_SE_S9_SC_S6_SE_SC_PS4_PS8_PSA_21rocsparse_index_base_SI_SI_SI_bbb, .Lfunc_end71-_ZN9rocsparseL38bsrgemm_block_per_row_atomic_multipassILj256ELj256ELj2Eii21rocsparse_complex_numIdEEEv20rocsparse_direction_T3_S4_PKS4_S6_NS_24const_host_device_scalarIT4_EEPKT2_S6_PKS8_SC_S6_SE_S9_SC_S6_SE_SC_PS4_PS8_PSA_21rocsparse_index_base_SI_SI_SI_bbb
                                        ; -- End function
	.section	.AMDGPU.csdata,"",@progbits
; Kernel info:
; codeLenInByte = 3384
; NumSgprs: 103
; NumVgprs: 64
; NumAgprs: 0
; TotalNumVgprs: 64
; ScratchSize: 24
; MemoryBound: 0
; FloatMode: 240
; IeeeMode: 1
; LDSByteSize: 21512 bytes/workgroup (compile time only)
; SGPRBlocks: 12
; VGPRBlocks: 7
; NumSGPRsForWavesPerEU: 103
; NumVGPRsForWavesPerEU: 64
; AccumOffset: 64
; Occupancy: 3
; WaveLimiterHint : 1
; COMPUTE_PGM_RSRC2:SCRATCH_EN: 1
; COMPUTE_PGM_RSRC2:USER_SGPR: 8
; COMPUTE_PGM_RSRC2:TRAP_HANDLER: 0
; COMPUTE_PGM_RSRC2:TGID_X_EN: 1
; COMPUTE_PGM_RSRC2:TGID_Y_EN: 0
; COMPUTE_PGM_RSRC2:TGID_Z_EN: 0
; COMPUTE_PGM_RSRC2:TIDIG_COMP_CNT: 0
; COMPUTE_PGM_RSRC3_GFX90A:ACCUM_OFFSET: 15
; COMPUTE_PGM_RSRC3_GFX90A:TG_SPLIT: 0
	.section	.text._ZN9rocsparseL23bsrgemm_fill_wf_per_rowILj256ELj64ELj8ELj137ELj4Eii21rocsparse_complex_numIdEEEv20rocsparse_direction_T5_S4_S4_PKS4_S6_NS_24const_host_device_scalarIT6_EEPKT4_S6_PKS8_SC_S6_SE_S9_SC_S6_SE_SC_PS4_PS8_21rocsparse_index_base_SH_SH_SH_bbb,"axG",@progbits,_ZN9rocsparseL23bsrgemm_fill_wf_per_rowILj256ELj64ELj8ELj137ELj4Eii21rocsparse_complex_numIdEEEv20rocsparse_direction_T5_S4_S4_PKS4_S6_NS_24const_host_device_scalarIT6_EEPKT4_S6_PKS8_SC_S6_SE_S9_SC_S6_SE_SC_PS4_PS8_21rocsparse_index_base_SH_SH_SH_bbb,comdat
	.globl	_ZN9rocsparseL23bsrgemm_fill_wf_per_rowILj256ELj64ELj8ELj137ELj4Eii21rocsparse_complex_numIdEEEv20rocsparse_direction_T5_S4_S4_PKS4_S6_NS_24const_host_device_scalarIT6_EEPKT4_S6_PKS8_SC_S6_SE_S9_SC_S6_SE_SC_PS4_PS8_21rocsparse_index_base_SH_SH_SH_bbb ; -- Begin function _ZN9rocsparseL23bsrgemm_fill_wf_per_rowILj256ELj64ELj8ELj137ELj4Eii21rocsparse_complex_numIdEEEv20rocsparse_direction_T5_S4_S4_PKS4_S6_NS_24const_host_device_scalarIT6_EEPKT4_S6_PKS8_SC_S6_SE_S9_SC_S6_SE_SC_PS4_PS8_21rocsparse_index_base_SH_SH_SH_bbb
	.p2align	8
	.type	_ZN9rocsparseL23bsrgemm_fill_wf_per_rowILj256ELj64ELj8ELj137ELj4Eii21rocsparse_complex_numIdEEEv20rocsparse_direction_T5_S4_S4_PKS4_S6_NS_24const_host_device_scalarIT6_EEPKT4_S6_PKS8_SC_S6_SE_S9_SC_S6_SE_SC_PS4_PS8_21rocsparse_index_base_SH_SH_SH_bbb,@function
_ZN9rocsparseL23bsrgemm_fill_wf_per_rowILj256ELj64ELj8ELj137ELj4Eii21rocsparse_complex_numIdEEEv20rocsparse_direction_T5_S4_S4_PKS4_S6_NS_24const_host_device_scalarIT6_EEPKT4_S6_PKS8_SC_S6_SE_S9_SC_S6_SE_SC_PS4_PS8_21rocsparse_index_base_SH_SH_SH_bbb: ; @_ZN9rocsparseL23bsrgemm_fill_wf_per_rowILj256ELj64ELj8ELj137ELj4Eii21rocsparse_complex_numIdEEEv20rocsparse_direction_T5_S4_S4_PKS4_S6_NS_24const_host_device_scalarIT6_EEPKT4_S6_PKS8_SC_S6_SE_S9_SC_S6_SE_SC_PS4_PS8_21rocsparse_index_base_SH_SH_SH_bbb
; %bb.0:
	s_add_u32 flat_scratch_lo, s6, s9
	s_addc_u32 flat_scratch_hi, s7, 0
	s_add_u32 s0, s0, s9
	s_load_dword s9, s[4:5], 0xb0
	s_load_dwordx4 s[16:19], s[4:5], 0x20
	s_load_dwordx4 s[12:15], s[4:5], 0x60
	s_addc_u32 s1, s1, 0
	v_pk_mov_b32 v[6:7], 0, 0
	s_waitcnt lgkmcnt(0)
	s_bitcmp1_b32 s9, 0
	v_mov_b32_e32 v1, s17
	s_cselect_b64 s[52:53], -1, 0
	s_bitcmp1_b32 s9, 16
	buffer_store_dword v1, off, s[0:3], 0 offset:4
	v_mov_b32_e32 v1, s16
	s_cselect_b64 s[6:7], -1, 0
	buffer_store_dword v1, off, s[0:3], 0
	v_mov_b32_e32 v1, s13
	buffer_store_dword v1, off, s[0:3], 0 offset:12
	v_mov_b32_e32 v1, s12
	s_xor_b64 s[10:11], s[6:7], -1
	buffer_store_dword v1, off, s[0:3], 0 offset:8
	v_cndmask_b32_e64 v1, 0, 1, s[10:11]
	s_bitcmp0_b32 s9, 0
	v_cmp_ne_u32_e64 s[10:11], 1, v1
	v_pk_mov_b32 v[12:13], v[6:7], v[6:7] op_sel:[0,1]
	v_pk_mov_b32 v[14:15], v[6:7], v[6:7] op_sel:[0,1]
	s_cbranch_scc1 .LBB72_3
; %bb.1:
	s_mov_b64 s[20:21], src_private_base
	s_and_b64 s[22:23], s[6:7], exec
	s_cselect_b32 s20, s21, s17
	v_mov_b32_e32 v1, 0
	v_mov_b32_e32 v2, s16
	v_cndmask_b32_e64 v2, v2, v1, s[6:7]
	v_mov_b32_e32 v3, s20
	flat_load_dwordx2 v[12:13], v[2:3]
	s_and_b64 vcc, exec, s[10:11]
	v_pk_mov_b32 v[14:15], s[18:19], s[18:19] op_sel:[0,1]
	s_cbranch_vccnz .LBB72_3
; %bb.2:
	v_pk_mov_b32 v[2:3], s[16:17], s[16:17] op_sel:[0,1]
	flat_load_dwordx2 v[14:15], v[2:3] offset:8
.LBB72_3:
	s_load_dwordx4 s[28:31], s[4:5], 0xa0
	s_bitcmp1_b32 s9, 8
	s_cselect_b64 s[34:35], -1, 0
	s_bfe_u32 s9, s9, 0x10008
	s_cmp_eq_u32 s9, 0
	v_pk_mov_b32 v[8:9], v[6:7], v[6:7] op_sel:[0,1]
	s_cbranch_scc1 .LBB72_6
; %bb.4:
	s_mov_b64 s[16:17], src_private_base
	s_and_b64 s[18:19], s[6:7], exec
	s_cselect_b32 s9, s17, s13
	v_mov_b32_e32 v1, 8
	v_mov_b32_e32 v2, s12
	v_cndmask_b32_e64 v2, v2, v1, s[6:7]
	v_mov_b32_e32 v3, s9
	flat_load_dwordx2 v[8:9], v[2:3]
	s_and_b64 vcc, exec, s[10:11]
	v_pk_mov_b32 v[6:7], s[14:15], s[14:15] op_sel:[0,1]
	s_cbranch_vccnz .LBB72_6
; %bb.5:
	v_pk_mov_b32 v[2:3], s[12:13], s[12:13] op_sel:[0,1]
	flat_load_dwordx2 v[6:7], v[2:3] offset:8
.LBB72_6:
	s_load_dwordx4 s[44:47], s[4:5], 0x90
	s_load_dwordx8 s[20:27], s[4:5], 0x70
	s_load_dwordx4 s[48:51], s[4:5], 0x50
	s_load_dwordx8 s[12:19], s[4:5], 0x0
	s_load_dwordx8 s[36:43], s[4:5], 0x30
	v_and_b32_e32 v11, 63, v0
	v_lshrrev_b32_e32 v1, 6, v0
	v_mov_b32_e32 v2, 0x2000
	v_lshl_or_b32 v38, v1, 5, v2
	v_cmp_gt_u32_e32 vcc, 8, v11
	s_and_saveexec_b64 s[4:5], vcc
	s_cbranch_execz .LBB72_8
; %bb.7:
	v_lshl_add_u32 v2, v11, 2, v38
	s_waitcnt lgkmcnt(0)
	v_mov_b32_e32 v3, s14
	ds_write_b32 v2, v3
.LBB72_8:
	s_or_b64 exec, exec, s[4:5]
	v_lshlrev_b32_e32 v39, 11, v1
	v_mov_b32_e32 v2, 0
	v_or_b32_e32 v10, 0xffffffc0, v11
	v_lshl_or_b32 v16, v11, 4, v39
	s_mov_b64 s[4:5], 0
	v_mov_b32_e32 v3, v2
	v_mov_b32_e32 v4, v2
	;; [unrolled: 1-line block ×3, first 2 shown]
.LBB72_9:                               ; =>This Inner Loop Header: Depth=1
	v_add_co_u32_e32 v10, vcc, 64, v10
	s_xor_b64 s[6:7], vcc, -1
	s_and_b64 s[6:7], exec, s[6:7]
	ds_write_b128 v16, v[2:5]
	s_or_b64 s[4:5], s[6:7], s[4:5]
	v_add_u32_e32 v16, 0x400, v16
	s_andn2_b64 exec, exec, s[4:5]
	s_cbranch_execnz .LBB72_9
; %bb.10:
	s_or_b64 exec, exec, s[4:5]
	v_lshl_or_b32 v10, s8, 2, v1
	s_waitcnt lgkmcnt(0)
	v_cmp_gt_i32_e32 vcc, s13, v10
	s_barrier
	s_and_saveexec_b64 s[4:5], vcc
	s_cbranch_execz .LBB72_66
; %bb.11:
	s_cmp_eq_u64 s[18:19], 0
	s_cbranch_scc1 .LBB72_13
; %bb.12:
	s_load_dword s4, s[16:17], 0x0
	v_mov_b32_e32 v4, s19
	s_waitcnt lgkmcnt(0)
	v_add_u32_e32 v2, s4, v10
	v_ashrrev_i32_e32 v3, 31, v2
	v_lshlrev_b64 v[2:3], 2, v[2:3]
	v_add_co_u32_e32 v2, vcc, s18, v2
	v_addc_co_u32_e32 v3, vcc, v4, v3, vcc
	global_load_dword v10, v[2:3], off
.LBB72_13:
	v_lshrrev_b32_e32 v3, 4, v11
	s_waitcnt vmcnt(0)
	v_ashrrev_i32_e32 v11, 31, v10
	v_and_b32_e32 v2, 3, v0
	v_bfe_u32 v4, v0, 2, 2
	s_andn2_b64 vcc, exec, s[52:53]
	v_lshlrev_b64 v[10:11], 2, v[10:11]
	s_cbranch_vccnz .LBB72_43
; %bb.14:
	v_mov_b32_e32 v5, s37
	v_add_co_u32_e32 v16, vcc, s36, v10
	v_addc_co_u32_e32 v17, vcc, v5, v11, vcc
	global_load_dwordx2 v[16:17], v[16:17], off
	v_subrev_u32_e32 v18, s28, v3
	s_waitcnt vmcnt(0)
	v_subrev_u32_e32 v5, s28, v17
	v_add_u32_e32 v16, v16, v18
	v_cmp_lt_i32_e32 vcc, v16, v5
	s_and_saveexec_b64 s[10:11], vcc
	s_cbranch_execz .LBB72_42
; %bb.15:
	s_cmp_lg_u32 s12, 0
	s_cselect_b64 s[6:7], -1, 0
	s_cmp_gt_i32 s15, 0
	v_max_i32_e32 v17, v2, v4
	s_cselect_b64 s[8:9], -1, 0
	s_mul_i32 s13, s15, s15
	s_add_u32 s33, s50, 8
	v_cmp_gt_i32_e64 s[4:5], s15, v17
	s_addc_u32 s66, s51, 0
	s_lshl_b32 s67, s13, 2
	v_cndmask_b32_e64 v17, 0, 1, s[6:7]
	v_mad_u64_u32 v[18:19], s[16:17], s13, v16, v[4:5]
	s_add_u32 s68, s40, 8
	v_mad_u64_u32 v[20:21], s[16:17], s15, v16, v[4:5]
	v_cmp_ne_u32_e64 s[6:7], 1, v17
	v_cndmask_b32_e64 v17, 0, 1, s[8:9]
	v_and_b32_e32 v40, 15, v0
	s_addc_u32 s69, s41, 0
	v_mul_lo_u32 v20, s15, v20
	s_mov_b64 s[16:17], 0
	v_mov_b32_e32 v19, s39
	v_mov_b32_e32 v41, s43
	v_cmp_ne_u32_e64 s[8:9], 1, v17
	s_branch .LBB72_17
.LBB72_16:                              ;   in Loop: Header=BB72_17 Depth=1
	s_or_b64 exec, exec, s[18:19]
	v_add_u32_e32 v16, 4, v16
	v_cmp_ge_i32_e32 vcc, v16, v5
	v_add_u32_e32 v18, s67, v18
	s_or_b64 s[16:17], vcc, s[16:17]
	v_add_u32_e32 v20, s67, v20
	s_andn2_b64 exec, exec, s[16:17]
	s_cbranch_execz .LBB72_42
.LBB72_17:                              ; =>This Loop Header: Depth=1
                                        ;     Child Loop BB72_20 Depth 2
                                        ;       Child Loop BB72_24 Depth 3
                                        ;       Child Loop BB72_29 Depth 3
	;; [unrolled: 1-line block ×3, first 2 shown]
	v_ashrrev_i32_e32 v17, 31, v16
	v_lshlrev_b64 v[22:23], 2, v[16:17]
	v_add_co_u32_e32 v22, vcc, s38, v22
	v_addc_co_u32_e32 v23, vcc, v19, v23, vcc
	global_load_dword v17, v[22:23], off
	s_waitcnt vmcnt(0)
	v_subrev_u32_e32 v22, s28, v17
	v_ashrrev_i32_e32 v23, 31, v22
	v_lshlrev_b64 v[22:23], 2, v[22:23]
	v_add_co_u32_e32 v22, vcc, s42, v22
	v_addc_co_u32_e32 v23, vcc, v41, v23, vcc
	global_load_dwordx2 v[24:25], v[22:23], off
	s_waitcnt vmcnt(0)
	v_cmp_lt_i32_e32 vcc, v24, v25
	s_and_saveexec_b64 s[18:19], vcc
	s_cbranch_execz .LBB72_16
; %bb.18:                               ;   in Loop: Header=BB72_17 Depth=1
	v_ashrrev_i32_e32 v21, 31, v20
	v_lshlrev_b64 v[22:23], 4, v[20:21]
	v_subrev_u32_e32 v24, s29, v24
	v_mov_b32_e32 v17, s69
	v_add_co_u32_e32 v22, vcc, s68, v22
	v_mad_u64_u32 v[26:27], s[36:37], s15, v24, v[2:3]
	v_mad_u64_u32 v[28:29], s[36:37], s13, v24, v[2:3]
	v_addc_co_u32_e32 v23, vcc, v17, v23, vcc
	v_subrev_u32_e32 v17, s29, v25
	v_mul_lo_u32 v26, s15, v26
	s_mov_b64 s[36:37], 0
	s_branch .LBB72_20
.LBB72_19:                              ;   in Loop: Header=BB72_20 Depth=2
	s_or_b64 exec, exec, s[52:53]
	v_add_u32_e32 v24, 1, v24
	v_cmp_ge_i32_e32 vcc, v24, v17
	v_add_u32_e32 v26, s13, v26
	s_or_b64 s[36:37], vcc, s[36:37]
	v_add_u32_e32 v28, s13, v28
	s_andn2_b64 exec, exec, s[36:37]
	s_cbranch_execz .LBB72_16
.LBB72_20:                              ;   Parent Loop BB72_17 Depth=1
                                        ; =>  This Loop Header: Depth=2
                                        ;       Child Loop BB72_24 Depth 3
                                        ;       Child Loop BB72_29 Depth 3
                                        ;       Child Loop BB72_32 Depth 3
	s_and_saveexec_b64 s[52:53], s[4:5]
	s_cbranch_execz .LBB72_19
; %bb.21:                               ;   in Loop: Header=BB72_20 Depth=2
	v_ashrrev_i32_e32 v25, 31, v24
	v_lshlrev_b64 v[30:31], 2, v[24:25]
	v_mov_b32_e32 v21, s49
	v_add_co_u32_e32 v30, vcc, s48, v30
	v_addc_co_u32_e32 v31, vcc, v21, v31, vcc
	global_load_dword v21, v[30:31], off
	s_and_b64 vcc, exec, s[6:7]
	s_cbranch_vccnz .LBB72_26
; %bb.22:                               ;   in Loop: Header=BB72_20 Depth=2
	v_pk_mov_b32 v[30:31], 0, 0
	s_mov_b64 s[54:55], 0
	s_and_b64 vcc, exec, s[8:9]
	v_pk_mov_b32 v[32:33], v[30:31], v[30:31] op_sel:[0,1]
	s_cbranch_vccnz .LBB72_25
; %bb.23:                               ;   in Loop: Header=BB72_20 Depth=2
	v_ashrrev_i32_e32 v27, 31, v26
	v_lshlrev_b64 v[30:31], 4, v[26:27]
	v_mov_b32_e32 v25, s66
	v_add_co_u32_e32 v34, vcc, s33, v30
	v_addc_co_u32_e32 v35, vcc, v25, v31, vcc
	v_pk_mov_b32 v[30:31], 0, 0
	v_mov_b32_e32 v36, v18
	s_mov_b32 s39, s15
	v_pk_mov_b32 v[32:33], v[30:31], v[30:31] op_sel:[0,1]
.LBB72_24:                              ;   Parent Loop BB72_17 Depth=1
                                        ;     Parent Loop BB72_20 Depth=2
                                        ; =>    This Inner Loop Header: Depth=3
	v_ashrrev_i32_e32 v37, 31, v36
	v_lshlrev_b64 v[46:47], 4, v[36:37]
	v_mov_b32_e32 v25, s41
	v_add_co_u32_e32 v46, vcc, s40, v46
	v_addc_co_u32_e32 v47, vcc, v25, v47, vcc
	global_load_dwordx4 v[42:45], v[34:35], off offset:-8
	s_add_i32 s39, s39, -1
	global_load_dwordx4 v[46:49], v[46:47], off
	v_add_co_u32_e32 v34, vcc, 16, v34
	v_addc_co_u32_e32 v35, vcc, 0, v35, vcc
	v_add_u32_e32 v36, s15, v36
	s_cmp_lg_u32 s39, 0
	s_waitcnt vmcnt(0)
	v_fmac_f64_e32 v[30:31], v[46:47], v[42:43]
	v_fmac_f64_e32 v[32:33], v[48:49], v[42:43]
	v_fma_f64 v[30:31], -v[48:49], v[44:45], v[30:31]
	v_fmac_f64_e32 v[32:33], v[46:47], v[44:45]
	s_cbranch_scc1 .LBB72_24
.LBB72_25:                              ;   in Loop: Header=BB72_20 Depth=2
	s_andn2_b64 vcc, exec, s[54:55]
	s_cbranch_vccz .LBB72_27
	s_branch .LBB72_30
.LBB72_26:                              ;   in Loop: Header=BB72_20 Depth=2
                                        ; implicit-def: $vgpr30_vgpr31
                                        ; implicit-def: $vgpr32_vgpr33
.LBB72_27:                              ;   in Loop: Header=BB72_20 Depth=2
	v_pk_mov_b32 v[30:31], 0, 0
	s_and_b64 vcc, exec, s[8:9]
	v_pk_mov_b32 v[32:33], v[30:31], v[30:31] op_sel:[0,1]
	s_cbranch_vccnz .LBB72_30
; %bb.28:                               ;   in Loop: Header=BB72_20 Depth=2
	v_pk_mov_b32 v[30:31], 0, 0
	v_pk_mov_b32 v[34:35], v[22:23], v[22:23] op_sel:[0,1]
	v_mov_b32_e32 v36, v28
	s_mov_b32 s39, s15
	v_pk_mov_b32 v[32:33], v[30:31], v[30:31] op_sel:[0,1]
.LBB72_29:                              ;   Parent Loop BB72_17 Depth=1
                                        ;     Parent Loop BB72_20 Depth=2
                                        ; =>    This Inner Loop Header: Depth=3
	v_ashrrev_i32_e32 v37, 31, v36
	v_lshlrev_b64 v[46:47], 4, v[36:37]
	v_mov_b32_e32 v25, s51
	v_add_co_u32_e32 v46, vcc, s50, v46
	v_addc_co_u32_e32 v47, vcc, v25, v47, vcc
	global_load_dwordx4 v[42:45], v[34:35], off offset:-8
	s_add_i32 s39, s39, -1
	global_load_dwordx4 v[46:49], v[46:47], off
	v_add_co_u32_e32 v34, vcc, 16, v34
	v_addc_co_u32_e32 v35, vcc, 0, v35, vcc
	v_add_u32_e32 v36, s15, v36
	s_cmp_eq_u32 s39, 0
	s_waitcnt vmcnt(0)
	v_fmac_f64_e32 v[30:31], v[42:43], v[46:47]
	v_fmac_f64_e32 v[32:33], v[44:45], v[46:47]
	v_fma_f64 v[30:31], -v[44:45], v[48:49], v[30:31]
	v_fmac_f64_e32 v[32:33], v[42:43], v[48:49]
	s_cbranch_scc0 .LBB72_29
.LBB72_30:                              ;   in Loop: Header=BB72_20 Depth=2
	s_waitcnt vmcnt(0)
	v_subrev_u32_e32 v21, s29, v21
	v_mul_f64 v[34:35], v[32:33], -v[14:15]
	v_mul_f64 v[32:33], v[12:13], v[32:33]
	v_fmac_f64_e32 v[34:35], v[12:13], v[30:31]
	v_fmac_f64_e32 v[32:33], v[14:15], v[30:31]
	v_and_b32_e32 v25, 7, v21
	s_mov_b64 s[54:55], 0
	s_branch .LBB72_32
.LBB72_31:                              ;   in Loop: Header=BB72_32 Depth=3
	s_or_b64 exec, exec, s[56:57]
	s_xor_b64 s[56:57], s[58:59], -1
	s_and_b64 s[56:57], exec, s[56:57]
	s_or_b64 s[54:55], s[56:57], s[54:55]
	s_andn2_b64 exec, exec, s[54:55]
	s_cbranch_execz .LBB72_19
.LBB72_32:                              ;   Parent Loop BB72_17 Depth=1
                                        ;     Parent Loop BB72_20 Depth=2
                                        ; =>    This Inner Loop Header: Depth=3
	v_lshl_add_u32 v27, v25, 2, v38
	ds_read_b32 v29, v27
                                        ; implicit-def: $sgpr58_sgpr59
	s_waitcnt lgkmcnt(0)
	v_cmp_ne_u32_e32 vcc, v29, v21
	s_and_saveexec_b64 s[56:57], vcc
	s_xor_b64 s[56:57], exec, s[56:57]
	s_cbranch_execz .LBB72_40
; %bb.33:                               ;   in Loop: Header=BB72_32 Depth=3
	v_cmp_ne_u32_e32 vcc, s14, v29
                                        ; implicit-def: $sgpr58_sgpr59
	s_and_saveexec_b64 s[60:61], vcc
	s_xor_b64 s[60:61], exec, s[60:61]
; %bb.34:                               ;   in Loop: Header=BB72_32 Depth=3
	v_add_u32_e32 v25, 1, v25
	v_and_b32_e32 v25, 7, v25
	s_mov_b64 s[58:59], -1
                                        ; implicit-def: $vgpr27
; %bb.35:                               ;   in Loop: Header=BB72_32 Depth=3
	s_andn2_saveexec_b64 s[60:61], s[60:61]
	s_cbranch_execz .LBB72_39
; %bb.36:                               ;   in Loop: Header=BB72_32 Depth=3
	v_mov_b32_e32 v29, s14
	ds_cmpst_rtn_b32 v27, v27, v29, v21
	s_mov_b64 s[64:65], -1
	s_waitcnt lgkmcnt(0)
	v_cmp_eq_u32_e32 vcc, s14, v27
	s_and_saveexec_b64 s[62:63], vcc
	s_cbranch_execz .LBB72_38
; %bb.37:                               ;   in Loop: Header=BB72_32 Depth=3
	v_lshlrev_b32_e32 v27, 4, v40
	v_lshl_or_b32 v27, v25, 8, v27
	v_add_u32_e32 v27, v39, v27
	ds_add_f64 v27, v[34:35]
	ds_add_f64 v27, v[32:33] offset:8
	s_xor_b64 s[64:65], exec, -1
.LBB72_38:                              ;   in Loop: Header=BB72_32 Depth=3
	s_or_b64 exec, exec, s[62:63]
	s_andn2_b64 s[58:59], s[58:59], exec
	s_and_b64 s[62:63], s[64:65], exec
	s_or_b64 s[58:59], s[58:59], s[62:63]
.LBB72_39:                              ;   in Loop: Header=BB72_32 Depth=3
	s_or_b64 exec, exec, s[60:61]
	s_and_b64 s[58:59], s[58:59], exec
.LBB72_40:                              ;   in Loop: Header=BB72_32 Depth=3
	s_andn2_saveexec_b64 s[56:57], s[56:57]
	s_cbranch_execz .LBB72_31
; %bb.41:                               ;   in Loop: Header=BB72_32 Depth=3
	v_lshlrev_b32_e32 v27, 4, v40
	v_lshl_or_b32 v27, v25, 8, v27
	v_add_u32_e32 v27, v39, v27
	ds_add_f64 v27, v[34:35]
	ds_add_f64 v27, v[32:33] offset:8
	s_andn2_b64 s[58:59], s[58:59], exec
	s_branch .LBB72_31
.LBB72_42:
	s_or_b64 exec, exec, s[10:11]
.LBB72_43:
	s_andn2_b64 vcc, exec, s[34:35]
	s_waitcnt lgkmcnt(0)
	s_barrier
	s_cbranch_vccnz .LBB72_61
; %bb.44:
	v_mov_b32_e32 v5, s21
	v_add_co_u32_e32 v12, vcc, s20, v10
	v_addc_co_u32_e32 v13, vcc, v5, v11, vcc
	global_load_dwordx2 v[12:13], v[12:13], off
	v_subrev_u32_e32 v14, s31, v3
	s_waitcnt vmcnt(0)
	v_subrev_u32_e32 v5, s31, v13
	v_add_u32_e32 v12, v12, v14
	v_cmp_lt_i32_e32 vcc, v12, v5
	s_and_saveexec_b64 s[6:7], vcc
	s_cbranch_execz .LBB72_60
; %bb.45:
	v_max_i32_e32 v13, v2, v4
	s_cmp_eq_u32 s12, 0
	v_cmp_gt_i32_e32 vcc, s15, v13
	v_and_b32_e32 v13, 15, v0
	s_cselect_b64 s[4:5], -1, 0
	v_cndmask_b32_e64 v0, v2, v4, s[4:5]
	v_cndmask_b32_e64 v14, v4, v2, s[4:5]
	s_mov_b64 s[8:9], 0
	v_lshlrev_b32_e32 v15, 4, v13
	s_branch .LBB72_47
.LBB72_46:                              ;   in Loop: Header=BB72_47 Depth=1
	s_or_b64 exec, exec, s[10:11]
	v_add_u32_e32 v12, 4, v12
	v_cmp_ge_i32_e64 s[4:5], v12, v5
	s_or_b64 s[8:9], s[4:5], s[8:9]
	s_andn2_b64 exec, exec, s[8:9]
	s_cbranch_execz .LBB72_60
.LBB72_47:                              ; =>This Loop Header: Depth=1
                                        ;     Child Loop BB72_50 Depth 2
	s_and_saveexec_b64 s[10:11], vcc
	s_cbranch_execz .LBB72_46
; %bb.48:                               ;   in Loop: Header=BB72_47 Depth=1
	v_ashrrev_i32_e32 v13, 31, v12
	v_lshlrev_b64 v[16:17], 2, v[12:13]
	v_mov_b32_e32 v13, s23
	v_add_co_u32_e64 v16, s[4:5], s22, v16
	v_addc_co_u32_e64 v17, s[4:5], v13, v17, s[4:5]
	global_load_dword v13, v[16:17], off
	v_mad_u64_u32 v[16:17], s[4:5], v12, s15, v[0:1]
	v_mad_u64_u32 v[16:17], s[4:5], v16, s15, v[14:15]
	v_ashrrev_i32_e32 v17, 31, v16
	v_lshlrev_b64 v[16:17], 4, v[16:17]
	v_mov_b32_e32 v18, s25
	v_add_co_u32_e64 v16, s[4:5], s24, v16
	v_addc_co_u32_e64 v17, s[4:5], v18, v17, s[4:5]
	global_load_dwordx4 v[22:25], v[16:17], off
	s_mov_b64 s[16:17], 0
	s_waitcnt vmcnt(1)
	v_subrev_u32_e32 v13, s31, v13
	v_and_b32_e32 v20, 7, v13
	s_waitcnt vmcnt(0)
	v_mul_f64 v[16:17], v[24:25], -v[6:7]
	v_mul_f64 v[18:19], v[8:9], v[24:25]
	v_fmac_f64_e32 v[16:17], v[8:9], v[22:23]
	v_fmac_f64_e32 v[18:19], v[6:7], v[22:23]
	s_branch .LBB72_50
.LBB72_49:                              ;   in Loop: Header=BB72_50 Depth=2
	s_or_b64 exec, exec, s[4:5]
	s_xor_b64 s[4:5], s[20:21], -1
	s_and_b64 s[4:5], exec, s[4:5]
	s_or_b64 s[16:17], s[4:5], s[16:17]
	s_andn2_b64 exec, exec, s[16:17]
	s_cbranch_execz .LBB72_46
.LBB72_50:                              ;   Parent Loop BB72_47 Depth=1
                                        ; =>  This Inner Loop Header: Depth=2
	v_lshl_add_u32 v21, v20, 2, v38
	ds_read_b32 v22, v21
                                        ; implicit-def: $sgpr20_sgpr21
	s_waitcnt lgkmcnt(0)
	v_cmp_ne_u32_e64 s[4:5], v22, v13
	s_and_saveexec_b64 s[18:19], s[4:5]
	s_xor_b64 s[18:19], exec, s[18:19]
	s_cbranch_execz .LBB72_58
; %bb.51:                               ;   in Loop: Header=BB72_50 Depth=2
	v_cmp_ne_u32_e64 s[4:5], s14, v22
                                        ; implicit-def: $sgpr20_sgpr21
	s_and_saveexec_b64 s[28:29], s[4:5]
	s_xor_b64 s[4:5], exec, s[28:29]
; %bb.52:                               ;   in Loop: Header=BB72_50 Depth=2
	v_add_u32_e32 v20, 1, v20
	v_and_b32_e32 v20, 7, v20
	s_mov_b64 s[20:21], -1
                                        ; implicit-def: $vgpr21
; %bb.53:                               ;   in Loop: Header=BB72_50 Depth=2
	s_andn2_saveexec_b64 s[28:29], s[4:5]
	s_cbranch_execz .LBB72_57
; %bb.54:                               ;   in Loop: Header=BB72_50 Depth=2
	v_mov_b32_e32 v22, s14
	ds_cmpst_rtn_b32 v21, v21, v22, v13
	s_mov_b64 s[36:37], -1
	s_waitcnt lgkmcnt(0)
	v_cmp_eq_u32_e64 s[4:5], s14, v21
	s_and_saveexec_b64 s[34:35], s[4:5]
	s_cbranch_execz .LBB72_56
; %bb.55:                               ;   in Loop: Header=BB72_50 Depth=2
	v_lshl_or_b32 v21, v20, 8, v15
	v_add_u32_e32 v21, v39, v21
	ds_add_f64 v21, v[16:17]
	ds_add_f64 v21, v[18:19] offset:8
	s_xor_b64 s[36:37], exec, -1
.LBB72_56:                              ;   in Loop: Header=BB72_50 Depth=2
	s_or_b64 exec, exec, s[34:35]
	s_andn2_b64 s[4:5], s[20:21], exec
	s_and_b64 s[20:21], s[36:37], exec
	s_or_b64 s[20:21], s[4:5], s[20:21]
.LBB72_57:                              ;   in Loop: Header=BB72_50 Depth=2
	s_or_b64 exec, exec, s[28:29]
	s_and_b64 s[20:21], s[20:21], exec
.LBB72_58:                              ;   in Loop: Header=BB72_50 Depth=2
	s_andn2_saveexec_b64 s[4:5], s[18:19]
	s_cbranch_execz .LBB72_49
; %bb.59:                               ;   in Loop: Header=BB72_50 Depth=2
	v_lshl_or_b32 v21, v20, 8, v15
	v_add_u32_e32 v21, v39, v21
	ds_add_f64 v21, v[16:17]
	ds_add_f64 v21, v[18:19] offset:8
	s_andn2_b64 s[20:21], s[20:21], exec
	s_branch .LBB72_49
.LBB72_60:
	s_or_b64 exec, exec, s[6:7]
.LBB72_61:
	v_mov_b32_e32 v0, s27
	v_add_co_u32_e32 v6, vcc, s26, v10
	v_addc_co_u32_e32 v7, vcc, v0, v11, vcc
	s_waitcnt lgkmcnt(0)
	s_barrier
	global_load_dword v0, v[6:7], off
	s_cmp_eq_u32 s12, 0
	v_max_i32_e32 v6, v2, v4
	v_lshlrev_b32_e32 v1, 5, v1
	v_lshlrev_b32_e32 v7, 2, v3
	s_movk_i32 s6, 0x2000
	s_cselect_b64 s[4:5], -1, 0
	v_cmp_gt_i32_e32 vcc, s15, v6
	v_or3_b32 v6, v1, v7, s6
	v_cndmask_b32_e64 v1, v4, v2, s[4:5]
	v_lshlrev_b32_e32 v1, 4, v1
	v_cndmask_b32_e64 v8, v2, v4, s[4:5]
	v_lshl_or_b32 v1, v3, 8, v1
	v_lshl_or_b32 v1, v8, 6, v1
	v_or_b32_e32 v5, -4, v3
	v_add_u32_e32 v3, v39, v1
	s_mov_b64 s[6:7], 0
	s_waitcnt vmcnt(0)
	v_subrev_u32_e32 v7, s30, v0
	s_branch .LBB72_63
.LBB72_62:                              ;   in Loop: Header=BB72_63 Depth=1
	s_or_b64 exec, exec, s[8:9]
	v_add_co_u32_e64 v5, s[4:5], 4, v5
	s_xor_b64 s[4:5], s[4:5], -1
	s_and_b64 s[4:5], exec, s[4:5]
	v_add_u32_e32 v3, 0x400, v3
	s_or_b64 s[6:7], s[4:5], s[6:7]
	v_add_u32_e32 v6, 16, v6
	s_andn2_b64 exec, exec, s[6:7]
	s_cbranch_execz .LBB72_66
.LBB72_63:                              ; =>This Inner Loop Header: Depth=1
	ds_read_b32 v1, v6
	s_waitcnt lgkmcnt(0)
	v_cmp_gt_i32_e64 s[4:5], s14, v1
	s_and_saveexec_b64 s[8:9], s[4:5]
	s_cbranch_execz .LBB72_62
; %bb.64:                               ;   in Loop: Header=BB72_63 Depth=1
	ds_read_b128 v[8:11], v38
	ds_read_b128 v[12:15], v38 offset:16
	s_waitcnt lgkmcnt(1)
	v_cmp_gt_i32_e64 s[4:5], v1, v8
	v_cndmask_b32_e64 v0, 0, 1, s[4:5]
	v_cmp_gt_i32_e64 s[4:5], v1, v9
	v_addc_co_u32_e64 v0, s[4:5], v7, v0, s[4:5]
	v_cmp_gt_i32_e64 s[4:5], v1, v10
	v_cndmask_b32_e64 v8, 0, 1, s[4:5]
	v_cmp_gt_i32_e64 s[4:5], v1, v11
	v_addc_co_u32_e64 v0, s[4:5], v0, v8, s[4:5]
	s_waitcnt lgkmcnt(0)
	v_cmp_gt_i32_e64 s[4:5], v1, v12
	v_cndmask_b32_e64 v8, 0, 1, s[4:5]
	v_cmp_gt_i32_e64 s[4:5], v1, v13
	v_addc_co_u32_e64 v0, s[4:5], v0, v8, s[4:5]
	v_cmp_gt_i32_e64 s[4:5], v1, v14
	v_cndmask_b32_e64 v8, 0, 1, s[4:5]
	v_cmp_gt_i32_e64 s[4:5], v1, v15
	v_addc_co_u32_e64 v0, s[4:5], v0, v8, s[4:5]
	v_add_u32_e32 v10, s30, v1
	v_ashrrev_i32_e32 v1, 31, v0
	v_lshlrev_b64 v[8:9], 2, v[0:1]
	v_mov_b32_e32 v1, s45
	v_add_co_u32_e64 v8, s[4:5], s44, v8
	v_addc_co_u32_e64 v9, s[4:5], v1, v9, s[4:5]
	global_store_dword v[8:9], v10, off
	s_and_b64 exec, exec, vcc
	s_cbranch_execz .LBB72_62
; %bb.65:                               ;   in Loop: Header=BB72_63 Depth=1
	v_mad_u64_u32 v[0:1], s[4:5], v0, s15, v[4:5]
	v_mad_u64_u32 v[0:1], s[4:5], v0, s15, v[2:3]
	ds_read2_b64 v[8:11], v3 offset1:1
	v_ashrrev_i32_e32 v1, 31, v0
	v_lshlrev_b64 v[0:1], 4, v[0:1]
	v_mov_b32_e32 v12, s47
	v_add_co_u32_e64 v0, s[4:5], s46, v0
	v_addc_co_u32_e64 v1, s[4:5], v12, v1, s[4:5]
	s_waitcnt lgkmcnt(0)
	global_store_dwordx4 v[0:1], v[8:11], off
	s_branch .LBB72_62
.LBB72_66:
	s_endpgm
	.section	.rodata,"a",@progbits
	.p2align	6, 0x0
	.amdhsa_kernel _ZN9rocsparseL23bsrgemm_fill_wf_per_rowILj256ELj64ELj8ELj137ELj4Eii21rocsparse_complex_numIdEEEv20rocsparse_direction_T5_S4_S4_PKS4_S6_NS_24const_host_device_scalarIT6_EEPKT4_S6_PKS8_SC_S6_SE_S9_SC_S6_SE_SC_PS4_PS8_21rocsparse_index_base_SH_SH_SH_bbb
		.amdhsa_group_segment_fixed_size 8320
		.amdhsa_private_segment_fixed_size 24
		.amdhsa_kernarg_size 180
		.amdhsa_user_sgpr_count 8
		.amdhsa_user_sgpr_private_segment_buffer 1
		.amdhsa_user_sgpr_dispatch_ptr 0
		.amdhsa_user_sgpr_queue_ptr 0
		.amdhsa_user_sgpr_kernarg_segment_ptr 1
		.amdhsa_user_sgpr_dispatch_id 0
		.amdhsa_user_sgpr_flat_scratch_init 1
		.amdhsa_user_sgpr_kernarg_preload_length 0
		.amdhsa_user_sgpr_kernarg_preload_offset 0
		.amdhsa_user_sgpr_private_segment_size 0
		.amdhsa_uses_dynamic_stack 0
		.amdhsa_system_sgpr_private_segment_wavefront_offset 1
		.amdhsa_system_sgpr_workgroup_id_x 1
		.amdhsa_system_sgpr_workgroup_id_y 0
		.amdhsa_system_sgpr_workgroup_id_z 0
		.amdhsa_system_sgpr_workgroup_info 0
		.amdhsa_system_vgpr_workitem_id 0
		.amdhsa_next_free_vgpr 50
		.amdhsa_next_free_sgpr 70
		.amdhsa_accum_offset 52
		.amdhsa_reserve_vcc 1
		.amdhsa_reserve_flat_scratch 1
		.amdhsa_float_round_mode_32 0
		.amdhsa_float_round_mode_16_64 0
		.amdhsa_float_denorm_mode_32 3
		.amdhsa_float_denorm_mode_16_64 3
		.amdhsa_dx10_clamp 1
		.amdhsa_ieee_mode 1
		.amdhsa_fp16_overflow 0
		.amdhsa_tg_split 0
		.amdhsa_exception_fp_ieee_invalid_op 0
		.amdhsa_exception_fp_denorm_src 0
		.amdhsa_exception_fp_ieee_div_zero 0
		.amdhsa_exception_fp_ieee_overflow 0
		.amdhsa_exception_fp_ieee_underflow 0
		.amdhsa_exception_fp_ieee_inexact 0
		.amdhsa_exception_int_div_zero 0
	.end_amdhsa_kernel
	.section	.text._ZN9rocsparseL23bsrgemm_fill_wf_per_rowILj256ELj64ELj8ELj137ELj4Eii21rocsparse_complex_numIdEEEv20rocsparse_direction_T5_S4_S4_PKS4_S6_NS_24const_host_device_scalarIT6_EEPKT4_S6_PKS8_SC_S6_SE_S9_SC_S6_SE_SC_PS4_PS8_21rocsparse_index_base_SH_SH_SH_bbb,"axG",@progbits,_ZN9rocsparseL23bsrgemm_fill_wf_per_rowILj256ELj64ELj8ELj137ELj4Eii21rocsparse_complex_numIdEEEv20rocsparse_direction_T5_S4_S4_PKS4_S6_NS_24const_host_device_scalarIT6_EEPKT4_S6_PKS8_SC_S6_SE_S9_SC_S6_SE_SC_PS4_PS8_21rocsparse_index_base_SH_SH_SH_bbb,comdat
.Lfunc_end72:
	.size	_ZN9rocsparseL23bsrgemm_fill_wf_per_rowILj256ELj64ELj8ELj137ELj4Eii21rocsparse_complex_numIdEEEv20rocsparse_direction_T5_S4_S4_PKS4_S6_NS_24const_host_device_scalarIT6_EEPKT4_S6_PKS8_SC_S6_SE_S9_SC_S6_SE_SC_PS4_PS8_21rocsparse_index_base_SH_SH_SH_bbb, .Lfunc_end72-_ZN9rocsparseL23bsrgemm_fill_wf_per_rowILj256ELj64ELj8ELj137ELj4Eii21rocsparse_complex_numIdEEEv20rocsparse_direction_T5_S4_S4_PKS4_S6_NS_24const_host_device_scalarIT6_EEPKT4_S6_PKS8_SC_S6_SE_S9_SC_S6_SE_SC_PS4_PS8_21rocsparse_index_base_SH_SH_SH_bbb
                                        ; -- End function
	.section	.AMDGPU.csdata,"",@progbits
; Kernel info:
; codeLenInByte = 2696
; NumSgprs: 76
; NumVgprs: 50
; NumAgprs: 0
; TotalNumVgprs: 50
; ScratchSize: 24
; MemoryBound: 0
; FloatMode: 240
; IeeeMode: 1
; LDSByteSize: 8320 bytes/workgroup (compile time only)
; SGPRBlocks: 9
; VGPRBlocks: 6
; NumSGPRsForWavesPerEU: 76
; NumVGPRsForWavesPerEU: 50
; AccumOffset: 52
; Occupancy: 7
; WaveLimiterHint : 1
; COMPUTE_PGM_RSRC2:SCRATCH_EN: 1
; COMPUTE_PGM_RSRC2:USER_SGPR: 8
; COMPUTE_PGM_RSRC2:TRAP_HANDLER: 0
; COMPUTE_PGM_RSRC2:TGID_X_EN: 1
; COMPUTE_PGM_RSRC2:TGID_Y_EN: 0
; COMPUTE_PGM_RSRC2:TGID_Z_EN: 0
; COMPUTE_PGM_RSRC2:TIDIG_COMP_CNT: 0
; COMPUTE_PGM_RSRC3_GFX90A:ACCUM_OFFSET: 12
; COMPUTE_PGM_RSRC3_GFX90A:TG_SPLIT: 0
	.section	.text._ZN9rocsparseL23bsrgemm_fill_wf_per_rowILj256ELj64ELj16ELj137ELj4Eii21rocsparse_complex_numIdEEEv20rocsparse_direction_T5_S4_S4_PKS4_S6_NS_24const_host_device_scalarIT6_EEPKT4_S6_PKS8_SC_S6_SE_S9_SC_S6_SE_SC_PS4_PS8_21rocsparse_index_base_SH_SH_SH_bbb,"axG",@progbits,_ZN9rocsparseL23bsrgemm_fill_wf_per_rowILj256ELj64ELj16ELj137ELj4Eii21rocsparse_complex_numIdEEEv20rocsparse_direction_T5_S4_S4_PKS4_S6_NS_24const_host_device_scalarIT6_EEPKT4_S6_PKS8_SC_S6_SE_S9_SC_S6_SE_SC_PS4_PS8_21rocsparse_index_base_SH_SH_SH_bbb,comdat
	.globl	_ZN9rocsparseL23bsrgemm_fill_wf_per_rowILj256ELj64ELj16ELj137ELj4Eii21rocsparse_complex_numIdEEEv20rocsparse_direction_T5_S4_S4_PKS4_S6_NS_24const_host_device_scalarIT6_EEPKT4_S6_PKS8_SC_S6_SE_S9_SC_S6_SE_SC_PS4_PS8_21rocsparse_index_base_SH_SH_SH_bbb ; -- Begin function _ZN9rocsparseL23bsrgemm_fill_wf_per_rowILj256ELj64ELj16ELj137ELj4Eii21rocsparse_complex_numIdEEEv20rocsparse_direction_T5_S4_S4_PKS4_S6_NS_24const_host_device_scalarIT6_EEPKT4_S6_PKS8_SC_S6_SE_S9_SC_S6_SE_SC_PS4_PS8_21rocsparse_index_base_SH_SH_SH_bbb
	.p2align	8
	.type	_ZN9rocsparseL23bsrgemm_fill_wf_per_rowILj256ELj64ELj16ELj137ELj4Eii21rocsparse_complex_numIdEEEv20rocsparse_direction_T5_S4_S4_PKS4_S6_NS_24const_host_device_scalarIT6_EEPKT4_S6_PKS8_SC_S6_SE_S9_SC_S6_SE_SC_PS4_PS8_21rocsparse_index_base_SH_SH_SH_bbb,@function
_ZN9rocsparseL23bsrgemm_fill_wf_per_rowILj256ELj64ELj16ELj137ELj4Eii21rocsparse_complex_numIdEEEv20rocsparse_direction_T5_S4_S4_PKS4_S6_NS_24const_host_device_scalarIT6_EEPKT4_S6_PKS8_SC_S6_SE_S9_SC_S6_SE_SC_PS4_PS8_21rocsparse_index_base_SH_SH_SH_bbb: ; @_ZN9rocsparseL23bsrgemm_fill_wf_per_rowILj256ELj64ELj16ELj137ELj4Eii21rocsparse_complex_numIdEEEv20rocsparse_direction_T5_S4_S4_PKS4_S6_NS_24const_host_device_scalarIT6_EEPKT4_S6_PKS8_SC_S6_SE_S9_SC_S6_SE_SC_PS4_PS8_21rocsparse_index_base_SH_SH_SH_bbb
; %bb.0:
	s_load_dword s9, s[6:7], 0xb0
	s_load_dwordx2 s[2:3], s[4:5], 0x4
	s_load_dwordx4 s[16:19], s[6:7], 0x20
	s_load_dwordx4 s[12:15], s[6:7], 0x60
	v_and_b32_e32 v39, 0x3ff, v0
	v_bfe_u32 v2, v0, 10, 10
	s_waitcnt lgkmcnt(0)
	s_bitcmp1_b32 s9, 0
	s_cselect_b64 s[4:5], -1, 0
	s_bitcmp1_b32 s9, 16
	s_cselect_b64 s[0:1], -1, 0
	s_lshr_b32 s2, s2, 16
	s_mul_i32 s2, s2, s3
	v_mul_lo_u32 v1, s2, v39
	v_mad_u32_u24 v1, v2, s3, v1
	v_bfe_u32 v0, v0, 20, 10
	v_add_lshl_u32 v0, v1, v0, 3
	v_pk_mov_b32 v[2:3], s[16:17], s[16:17] op_sel:[0,1]
	v_pk_mov_b32 v[4:5], s[12:13], s[12:13] op_sel:[0,1]
	v_add_u32_e32 v1, 0x100, v0
	s_xor_b64 s[2:3], s[0:1], -1
	ds_write2st64_b64 v1, v[4:5], v[2:3] offset0:32 offset1:36
	v_pk_mov_b32 v[4:5], 0, 0
	v_cndmask_b32_e64 v1, 0, 1, s[2:3]
	s_bitcmp0_b32 s9, 0
	v_cmp_ne_u32_e64 s[2:3], 1, v1
	v_pk_mov_b32 v[10:11], v[4:5], v[4:5] op_sel:[0,1]
	v_pk_mov_b32 v[12:13], v[4:5], v[4:5] op_sel:[0,1]
	s_cbranch_scc1 .LBB73_3
; %bb.1:
	s_mov_b64 s[10:11], src_shared_base
	s_and_b64 s[20:21], s[0:1], exec
	v_add_u32_e32 v1, 0x4900, v0
	s_cselect_b32 s10, s11, s17
	v_mov_b32_e32 v2, s16
	v_cndmask_b32_e64 v2, v2, v1, s[0:1]
	v_mov_b32_e32 v3, s10
	flat_load_dwordx2 v[10:11], v[2:3]
	s_and_b64 vcc, exec, s[2:3]
	v_pk_mov_b32 v[12:13], s[18:19], s[18:19] op_sel:[0,1]
	s_cbranch_vccnz .LBB73_3
; %bb.2:
	v_pk_mov_b32 v[2:3], s[16:17], s[16:17] op_sel:[0,1]
	flat_load_dwordx2 v[12:13], v[2:3] offset:8
.LBB73_3:
	s_load_dwordx4 s[28:31], s[6:7], 0xa0
	s_bitcmp1_b32 s9, 8
	s_cselect_b64 s[10:11], -1, 0
	s_bfe_u32 s9, s9, 0x10008
	s_cmp_eq_u32 s9, 0
	v_pk_mov_b32 v[6:7], v[4:5], v[4:5] op_sel:[0,1]
	s_cbranch_scc1 .LBB73_6
; %bb.4:
	s_mov_b64 s[16:17], src_shared_base
	s_and_b64 s[18:19], s[0:1], exec
	v_add_u32_e32 v0, 0x4100, v0
	s_cselect_b32 s9, s17, s13
	v_mov_b32_e32 v1, s12
	v_cndmask_b32_e64 v0, v1, v0, s[0:1]
	v_mov_b32_e32 v1, s9
	flat_load_dwordx2 v[6:7], v[0:1]
	s_and_b64 vcc, exec, s[2:3]
	v_pk_mov_b32 v[4:5], s[14:15], s[14:15] op_sel:[0,1]
	s_cbranch_vccnz .LBB73_6
; %bb.5:
	v_pk_mov_b32 v[0:1], s[12:13], s[12:13] op_sel:[0,1]
	flat_load_dwordx2 v[4:5], v[0:1] offset:8
.LBB73_6:
	s_load_dwordx4 s[44:47], s[6:7], 0x90
	s_load_dwordx8 s[20:27], s[6:7], 0x70
	s_load_dwordx4 s[48:51], s[6:7], 0x50
	s_load_dwordx8 s[12:19], s[6:7], 0x0
	s_load_dwordx8 s[36:43], s[6:7], 0x30
	v_and_b32_e32 v9, 63, v39
	v_and_b32_e32 v0, 0xc0, v39
	v_lshrrev_b32_e32 v37, 6, v39
	v_or_b32_e32 v36, 0x4000, v0
	v_cmp_gt_u32_e32 vcc, 16, v9
	s_and_saveexec_b64 s[0:1], vcc
	s_cbranch_execz .LBB73_8
; %bb.7:
	v_lshl_add_u32 v0, v9, 2, v36
	s_waitcnt lgkmcnt(0)
	v_mov_b32_e32 v1, s14
	ds_write_b32 v0, v1
.LBB73_8:
	s_or_b64 exec, exec, s[0:1]
	v_lshlrev_b32_e32 v38, 12, v37
	v_mov_b32_e32 v0, 0
	v_or_b32_e32 v8, 0xffffffc0, v9
	v_lshl_or_b32 v14, v9, 4, v38
	s_mov_b64 s[0:1], 0
	v_mov_b32_e32 v1, v0
	v_mov_b32_e32 v2, v0
	;; [unrolled: 1-line block ×3, first 2 shown]
	s_movk_i32 s2, 0xbf
.LBB73_9:                               ; =>This Inner Loop Header: Depth=1
	v_add_u32_e32 v8, 64, v8
	v_cmp_lt_u32_e32 vcc, s2, v8
	ds_write_b128 v14, v[0:3]
	s_or_b64 s[0:1], vcc, s[0:1]
	v_add_u32_e32 v14, 0x400, v14
	s_andn2_b64 exec, exec, s[0:1]
	s_cbranch_execnz .LBB73_9
; %bb.10:
	s_or_b64 exec, exec, s[0:1]
	v_lshl_or_b32 v8, s8, 2, v37
	s_waitcnt lgkmcnt(0)
	v_cmp_gt_i32_e32 vcc, s13, v8
	s_barrier
	s_and_saveexec_b64 s[0:1], vcc
	s_cbranch_execz .LBB73_66
; %bb.11:
	s_cmp_eq_u64 s[18:19], 0
	s_cbranch_scc1 .LBB73_13
; %bb.12:
	s_load_dword s0, s[16:17], 0x0
	v_mov_b32_e32 v2, s19
	s_waitcnt lgkmcnt(0)
	v_add_u32_e32 v0, s0, v8
	v_ashrrev_i32_e32 v1, 31, v0
	v_lshlrev_b64 v[0:1], 2, v[0:1]
	v_add_co_u32_e32 v0, vcc, s18, v0
	v_addc_co_u32_e32 v1, vcc, v2, v1, vcc
	global_load_dword v8, v[0:1], off
.LBB73_13:
	v_lshrrev_b32_e32 v1, 4, v9
	s_waitcnt vmcnt(0)
	v_ashrrev_i32_e32 v9, 31, v8
	v_and_b32_e32 v0, 3, v39
	v_bfe_u32 v2, v39, 2, 2
	s_andn2_b64 vcc, exec, s[4:5]
	v_lshlrev_b64 v[8:9], 2, v[8:9]
	s_cbranch_vccnz .LBB73_43
; %bb.14:
	v_mov_b32_e32 v3, s37
	v_add_co_u32_e32 v14, vcc, s36, v8
	v_addc_co_u32_e32 v15, vcc, v3, v9, vcc
	global_load_dwordx2 v[14:15], v[14:15], off
	v_subrev_u32_e32 v16, s28, v1
	s_waitcnt vmcnt(0)
	v_subrev_u32_e32 v3, s28, v15
	v_add_u32_e32 v14, v14, v16
	v_cmp_lt_i32_e32 vcc, v14, v3
	s_and_saveexec_b64 s[6:7], vcc
	s_cbranch_execz .LBB73_42
; %bb.15:
	s_cmp_lg_u32 s12, 0
	s_cselect_b64 s[2:3], -1, 0
	s_cmp_gt_i32 s15, 0
	s_cselect_b64 s[4:5], -1, 0
	s_mul_i32 s13, s15, s15
	s_add_u32 s33, s50, 8
	v_mad_u64_u32 v[18:19], s[8:9], s15, v14, v[2:3]
	v_max_i32_e32 v15, v0, v2
	s_addc_u32 s62, s51, 0
	s_lshl_b32 s63, s13, 2
	v_cndmask_b32_e64 v19, 0, 1, s[2:3]
	v_cmp_gt_i32_e64 s[0:1], s15, v15
	v_and_b32_e32 v15, 15, v39
	v_mad_u64_u32 v[16:17], s[8:9], s13, v14, v[2:3]
	s_add_u32 s64, s40, 8
	v_cmp_ne_u32_e64 s[2:3], 1, v19
	v_cndmask_b32_e64 v19, 0, 1, s[4:5]
	s_addc_u32 s65, s41, 0
	v_mul_lo_u32 v18, s15, v18
	s_mov_b64 s[8:9], 0
	v_mov_b32_e32 v17, s39
	v_mov_b32_e32 v40, s43
	v_cmp_ne_u32_e64 s[4:5], 1, v19
	v_mov_b32_e32 v41, s51
	v_lshlrev_b32_e32 v42, 4, v15
	s_branch .LBB73_17
.LBB73_16:                              ;   in Loop: Header=BB73_17 Depth=1
	s_or_b64 exec, exec, s[16:17]
	v_add_u32_e32 v14, 4, v14
	v_cmp_ge_i32_e32 vcc, v14, v3
	v_add_u32_e32 v16, s63, v16
	s_or_b64 s[8:9], vcc, s[8:9]
	v_add_u32_e32 v18, s63, v18
	s_andn2_b64 exec, exec, s[8:9]
	s_cbranch_execz .LBB73_42
.LBB73_17:                              ; =>This Loop Header: Depth=1
                                        ;     Child Loop BB73_20 Depth 2
                                        ;       Child Loop BB73_24 Depth 3
                                        ;       Child Loop BB73_29 Depth 3
	;; [unrolled: 1-line block ×3, first 2 shown]
	v_ashrrev_i32_e32 v15, 31, v14
	v_lshlrev_b64 v[20:21], 2, v[14:15]
	v_add_co_u32_e32 v20, vcc, s38, v20
	v_addc_co_u32_e32 v21, vcc, v17, v21, vcc
	global_load_dword v15, v[20:21], off
	s_waitcnt vmcnt(0)
	v_subrev_u32_e32 v20, s28, v15
	v_ashrrev_i32_e32 v21, 31, v20
	v_lshlrev_b64 v[20:21], 2, v[20:21]
	v_add_co_u32_e32 v20, vcc, s42, v20
	v_addc_co_u32_e32 v21, vcc, v40, v21, vcc
	global_load_dwordx2 v[22:23], v[20:21], off
	s_waitcnt vmcnt(0)
	v_cmp_lt_i32_e32 vcc, v22, v23
	s_and_saveexec_b64 s[16:17], vcc
	s_cbranch_execz .LBB73_16
; %bb.18:                               ;   in Loop: Header=BB73_17 Depth=1
	v_ashrrev_i32_e32 v19, 31, v18
	v_lshlrev_b64 v[20:21], 4, v[18:19]
	v_subrev_u32_e32 v22, s29, v22
	v_mov_b32_e32 v15, s65
	v_add_co_u32_e32 v20, vcc, s64, v20
	v_mad_u64_u32 v[24:25], s[18:19], s15, v22, v[0:1]
	v_mad_u64_u32 v[26:27], s[18:19], s13, v22, v[0:1]
	v_addc_co_u32_e32 v21, vcc, v15, v21, vcc
	v_subrev_u32_e32 v15, s29, v23
	v_mul_lo_u32 v24, s15, v24
	s_mov_b64 s[18:19], 0
	s_branch .LBB73_20
.LBB73_19:                              ;   in Loop: Header=BB73_20 Depth=2
	s_or_b64 exec, exec, s[34:35]
	v_add_u32_e32 v22, 1, v22
	v_cmp_ge_i32_e32 vcc, v22, v15
	v_add_u32_e32 v24, s13, v24
	s_or_b64 s[18:19], vcc, s[18:19]
	v_add_u32_e32 v26, s13, v26
	s_andn2_b64 exec, exec, s[18:19]
	s_cbranch_execz .LBB73_16
.LBB73_20:                              ;   Parent Loop BB73_17 Depth=1
                                        ; =>  This Loop Header: Depth=2
                                        ;       Child Loop BB73_24 Depth 3
                                        ;       Child Loop BB73_29 Depth 3
	;; [unrolled: 1-line block ×3, first 2 shown]
	s_and_saveexec_b64 s[34:35], s[0:1]
	s_cbranch_execz .LBB73_19
; %bb.21:                               ;   in Loop: Header=BB73_20 Depth=2
	v_ashrrev_i32_e32 v23, 31, v22
	v_lshlrev_b64 v[28:29], 2, v[22:23]
	v_mov_b32_e32 v19, s49
	v_add_co_u32_e32 v28, vcc, s48, v28
	v_addc_co_u32_e32 v29, vcc, v19, v29, vcc
	global_load_dword v19, v[28:29], off
	s_and_b64 vcc, exec, s[2:3]
	s_cbranch_vccnz .LBB73_26
; %bb.22:                               ;   in Loop: Header=BB73_20 Depth=2
	v_pk_mov_b32 v[28:29], 0, 0
	s_mov_b64 s[36:37], 0
	s_and_b64 vcc, exec, s[4:5]
	v_pk_mov_b32 v[30:31], v[28:29], v[28:29] op_sel:[0,1]
	s_cbranch_vccnz .LBB73_25
; %bb.23:                               ;   in Loop: Header=BB73_20 Depth=2
	v_ashrrev_i32_e32 v25, 31, v24
	v_lshlrev_b64 v[28:29], 4, v[24:25]
	v_mov_b32_e32 v23, s62
	v_add_co_u32_e32 v32, vcc, s33, v28
	v_addc_co_u32_e32 v33, vcc, v23, v29, vcc
	v_pk_mov_b32 v[28:29], 0, 0
	v_mov_b32_e32 v34, v16
	s_mov_b32 s39, s15
	v_pk_mov_b32 v[30:31], v[28:29], v[28:29] op_sel:[0,1]
.LBB73_24:                              ;   Parent Loop BB73_17 Depth=1
                                        ;     Parent Loop BB73_20 Depth=2
                                        ; =>    This Inner Loop Header: Depth=3
	v_ashrrev_i32_e32 v35, 31, v34
	v_lshlrev_b64 v[48:49], 4, v[34:35]
	v_mov_b32_e32 v23, s41
	v_add_co_u32_e32 v48, vcc, s40, v48
	v_addc_co_u32_e32 v49, vcc, v23, v49, vcc
	global_load_dwordx4 v[44:47], v[32:33], off offset:-8
	s_add_i32 s39, s39, -1
	global_load_dwordx4 v[48:51], v[48:49], off
	v_add_co_u32_e32 v32, vcc, 16, v32
	v_addc_co_u32_e32 v33, vcc, 0, v33, vcc
	v_add_u32_e32 v34, s15, v34
	s_cmp_lg_u32 s39, 0
	s_waitcnt vmcnt(0)
	v_fmac_f64_e32 v[28:29], v[48:49], v[44:45]
	v_fmac_f64_e32 v[30:31], v[50:51], v[44:45]
	v_fma_f64 v[28:29], -v[50:51], v[46:47], v[28:29]
	v_fmac_f64_e32 v[30:31], v[48:49], v[46:47]
	s_cbranch_scc1 .LBB73_24
.LBB73_25:                              ;   in Loop: Header=BB73_20 Depth=2
	s_andn2_b64 vcc, exec, s[36:37]
	s_cbranch_vccz .LBB73_27
	s_branch .LBB73_30
.LBB73_26:                              ;   in Loop: Header=BB73_20 Depth=2
                                        ; implicit-def: $vgpr28_vgpr29
                                        ; implicit-def: $vgpr30_vgpr31
.LBB73_27:                              ;   in Loop: Header=BB73_20 Depth=2
	v_pk_mov_b32 v[28:29], 0, 0
	s_and_b64 vcc, exec, s[4:5]
	v_pk_mov_b32 v[30:31], v[28:29], v[28:29] op_sel:[0,1]
	s_cbranch_vccnz .LBB73_30
; %bb.28:                               ;   in Loop: Header=BB73_20 Depth=2
	v_pk_mov_b32 v[28:29], 0, 0
	v_pk_mov_b32 v[32:33], v[20:21], v[20:21] op_sel:[0,1]
	v_mov_b32_e32 v34, v26
	s_mov_b32 s36, s15
	v_pk_mov_b32 v[30:31], v[28:29], v[28:29] op_sel:[0,1]
.LBB73_29:                              ;   Parent Loop BB73_17 Depth=1
                                        ;     Parent Loop BB73_20 Depth=2
                                        ; =>    This Inner Loop Header: Depth=3
	v_ashrrev_i32_e32 v35, 31, v34
	v_lshlrev_b64 v[48:49], 4, v[34:35]
	v_add_co_u32_e32 v48, vcc, s50, v48
	v_addc_co_u32_e32 v49, vcc, v41, v49, vcc
	global_load_dwordx4 v[44:47], v[32:33], off offset:-8
	s_add_i32 s36, s36, -1
	global_load_dwordx4 v[48:51], v[48:49], off
	v_add_co_u32_e32 v32, vcc, 16, v32
	v_addc_co_u32_e32 v33, vcc, 0, v33, vcc
	v_add_u32_e32 v34, s15, v34
	s_cmp_eq_u32 s36, 0
	s_waitcnt vmcnt(0)
	v_fmac_f64_e32 v[28:29], v[44:45], v[48:49]
	v_fmac_f64_e32 v[30:31], v[46:47], v[48:49]
	v_fma_f64 v[28:29], -v[46:47], v[50:51], v[28:29]
	v_fmac_f64_e32 v[30:31], v[44:45], v[50:51]
	s_cbranch_scc0 .LBB73_29
.LBB73_30:                              ;   in Loop: Header=BB73_20 Depth=2
	s_waitcnt vmcnt(0)
	v_subrev_u32_e32 v19, s29, v19
	v_mul_f64 v[32:33], v[30:31], -v[12:13]
	v_mul_f64 v[30:31], v[10:11], v[30:31]
	v_lshl_add_u32 v23, v19, 3, v19
	v_fmac_f64_e32 v[32:33], v[10:11], v[28:29]
	v_fmac_f64_e32 v[30:31], v[12:13], v[28:29]
	v_and_b32_e32 v23, 15, v23
	s_mov_b64 s[36:37], 0
	s_branch .LBB73_32
.LBB73_31:                              ;   in Loop: Header=BB73_32 Depth=3
	s_or_b64 exec, exec, s[52:53]
	s_xor_b64 s[52:53], s[54:55], -1
	s_and_b64 s[52:53], exec, s[52:53]
	s_or_b64 s[36:37], s[52:53], s[36:37]
	s_andn2_b64 exec, exec, s[36:37]
	s_cbranch_execz .LBB73_19
.LBB73_32:                              ;   Parent Loop BB73_17 Depth=1
                                        ;     Parent Loop BB73_20 Depth=2
                                        ; =>    This Inner Loop Header: Depth=3
	v_lshl_add_u32 v25, v23, 2, v36
	ds_read_b32 v27, v25
                                        ; implicit-def: $sgpr54_sgpr55
	s_waitcnt lgkmcnt(0)
	v_cmp_ne_u32_e32 vcc, v27, v19
	s_and_saveexec_b64 s[52:53], vcc
	s_xor_b64 s[52:53], exec, s[52:53]
	s_cbranch_execz .LBB73_40
; %bb.33:                               ;   in Loop: Header=BB73_32 Depth=3
	v_cmp_ne_u32_e32 vcc, s14, v27
                                        ; implicit-def: $sgpr54_sgpr55
	s_and_saveexec_b64 s[56:57], vcc
	s_xor_b64 s[56:57], exec, s[56:57]
; %bb.34:                               ;   in Loop: Header=BB73_32 Depth=3
	v_add_u32_e32 v23, 1, v23
	v_and_b32_e32 v23, 15, v23
	s_mov_b64 s[54:55], -1
                                        ; implicit-def: $vgpr25
; %bb.35:                               ;   in Loop: Header=BB73_32 Depth=3
	s_andn2_saveexec_b64 s[56:57], s[56:57]
	s_cbranch_execz .LBB73_39
; %bb.36:                               ;   in Loop: Header=BB73_32 Depth=3
	v_mov_b32_e32 v27, s14
	ds_cmpst_rtn_b32 v25, v25, v27, v19
	s_mov_b64 s[60:61], -1
	s_waitcnt lgkmcnt(0)
	v_cmp_eq_u32_e32 vcc, s14, v25
	s_and_saveexec_b64 s[58:59], vcc
	s_cbranch_execz .LBB73_38
; %bb.37:                               ;   in Loop: Header=BB73_32 Depth=3
	v_lshl_or_b32 v25, v23, 8, v42
	v_add_u32_e32 v25, v38, v25
	ds_add_f64 v25, v[32:33]
	ds_add_f64 v25, v[30:31] offset:8
	s_xor_b64 s[60:61], exec, -1
.LBB73_38:                              ;   in Loop: Header=BB73_32 Depth=3
	s_or_b64 exec, exec, s[58:59]
	s_andn2_b64 s[54:55], s[54:55], exec
	s_and_b64 s[58:59], s[60:61], exec
	s_or_b64 s[54:55], s[54:55], s[58:59]
.LBB73_39:                              ;   in Loop: Header=BB73_32 Depth=3
	s_or_b64 exec, exec, s[56:57]
	s_and_b64 s[54:55], s[54:55], exec
.LBB73_40:                              ;   in Loop: Header=BB73_32 Depth=3
	s_andn2_saveexec_b64 s[52:53], s[52:53]
	s_cbranch_execz .LBB73_31
; %bb.41:                               ;   in Loop: Header=BB73_32 Depth=3
	v_lshl_or_b32 v25, v23, 8, v42
	v_add_u32_e32 v25, v38, v25
	ds_add_f64 v25, v[32:33]
	ds_add_f64 v25, v[30:31] offset:8
	s_andn2_b64 s[54:55], s[54:55], exec
	s_branch .LBB73_31
.LBB73_42:
	s_or_b64 exec, exec, s[6:7]
.LBB73_43:
	s_andn2_b64 vcc, exec, s[10:11]
	s_waitcnt lgkmcnt(0)
	s_barrier
	s_cbranch_vccnz .LBB73_61
; %bb.44:
	v_mov_b32_e32 v3, s21
	v_add_co_u32_e32 v10, vcc, s20, v8
	v_addc_co_u32_e32 v11, vcc, v3, v9, vcc
	global_load_dwordx2 v[10:11], v[10:11], off
	v_subrev_u32_e32 v12, s31, v1
	s_waitcnt vmcnt(0)
	v_subrev_u32_e32 v3, s31, v11
	v_add_u32_e32 v10, v10, v12
	v_cmp_lt_i32_e32 vcc, v10, v3
	s_and_saveexec_b64 s[2:3], vcc
	s_cbranch_execz .LBB73_60
; %bb.45:
	v_max_i32_e32 v11, v0, v2
	s_cmp_eq_u32 s12, 0
	v_cmp_gt_i32_e32 vcc, s15, v11
	v_and_b32_e32 v11, 15, v39
	s_cselect_b64 s[0:1], -1, 0
	v_cndmask_b32_e64 v12, v0, v2, s[0:1]
	v_cndmask_b32_e64 v14, v2, v0, s[0:1]
	s_mov_b64 s[4:5], 0
	v_lshlrev_b32_e32 v13, 4, v11
	s_branch .LBB73_47
.LBB73_46:                              ;   in Loop: Header=BB73_47 Depth=1
	s_or_b64 exec, exec, s[6:7]
	v_add_u32_e32 v10, 4, v10
	v_cmp_ge_i32_e64 s[0:1], v10, v3
	s_or_b64 s[4:5], s[0:1], s[4:5]
	s_andn2_b64 exec, exec, s[4:5]
	s_cbranch_execz .LBB73_60
.LBB73_47:                              ; =>This Loop Header: Depth=1
                                        ;     Child Loop BB73_50 Depth 2
	s_and_saveexec_b64 s[6:7], vcc
	s_cbranch_execz .LBB73_46
; %bb.48:                               ;   in Loop: Header=BB73_47 Depth=1
	v_ashrrev_i32_e32 v11, 31, v10
	v_lshlrev_b64 v[16:17], 2, v[10:11]
	v_mov_b32_e32 v11, s23
	v_add_co_u32_e64 v16, s[0:1], s22, v16
	v_addc_co_u32_e64 v17, s[0:1], v11, v17, s[0:1]
	global_load_dword v11, v[16:17], off
	v_mad_u64_u32 v[16:17], s[0:1], v10, s15, v[12:13]
	v_mad_u64_u32 v[16:17], s[0:1], v16, s15, v[14:15]
	v_ashrrev_i32_e32 v17, 31, v16
	v_lshlrev_b64 v[16:17], 4, v[16:17]
	v_mov_b32_e32 v15, s25
	v_add_co_u32_e64 v16, s[0:1], s24, v16
	v_addc_co_u32_e64 v17, s[0:1], v15, v17, s[0:1]
	global_load_dwordx4 v[20:23], v[16:17], off
	s_mov_b64 s[8:9], 0
	s_waitcnt vmcnt(1)
	v_subrev_u32_e32 v11, s31, v11
	v_lshl_add_u32 v15, v11, 3, v11
	v_and_b32_e32 v15, 15, v15
	s_waitcnt vmcnt(0)
	v_mul_f64 v[16:17], v[22:23], -v[4:5]
	v_mul_f64 v[18:19], v[6:7], v[22:23]
	v_fmac_f64_e32 v[16:17], v[6:7], v[20:21]
	v_fmac_f64_e32 v[18:19], v[4:5], v[20:21]
	s_branch .LBB73_50
.LBB73_49:                              ;   in Loop: Header=BB73_50 Depth=2
	s_or_b64 exec, exec, s[0:1]
	s_xor_b64 s[0:1], s[16:17], -1
	s_and_b64 s[0:1], exec, s[0:1]
	s_or_b64 s[8:9], s[0:1], s[8:9]
	s_andn2_b64 exec, exec, s[8:9]
	s_cbranch_execz .LBB73_46
.LBB73_50:                              ;   Parent Loop BB73_47 Depth=1
                                        ; =>  This Inner Loop Header: Depth=2
	v_lshl_add_u32 v20, v15, 2, v36
	ds_read_b32 v21, v20
                                        ; implicit-def: $sgpr16_sgpr17
	s_waitcnt lgkmcnt(0)
	v_cmp_ne_u32_e64 s[0:1], v21, v11
	s_and_saveexec_b64 s[10:11], s[0:1]
	s_xor_b64 s[10:11], exec, s[10:11]
	s_cbranch_execz .LBB73_58
; %bb.51:                               ;   in Loop: Header=BB73_50 Depth=2
	v_cmp_ne_u32_e64 s[0:1], s14, v21
                                        ; implicit-def: $sgpr16_sgpr17
	s_and_saveexec_b64 s[18:19], s[0:1]
	s_xor_b64 s[0:1], exec, s[18:19]
; %bb.52:                               ;   in Loop: Header=BB73_50 Depth=2
	v_add_u32_e32 v15, 1, v15
	v_and_b32_e32 v15, 15, v15
	s_mov_b64 s[16:17], -1
                                        ; implicit-def: $vgpr20
; %bb.53:                               ;   in Loop: Header=BB73_50 Depth=2
	s_andn2_saveexec_b64 s[18:19], s[0:1]
	s_cbranch_execz .LBB73_57
; %bb.54:                               ;   in Loop: Header=BB73_50 Depth=2
	v_mov_b32_e32 v21, s14
	ds_cmpst_rtn_b32 v20, v20, v21, v11
	s_mov_b64 s[28:29], -1
	s_waitcnt lgkmcnt(0)
	v_cmp_eq_u32_e64 s[0:1], s14, v20
	s_and_saveexec_b64 s[20:21], s[0:1]
	s_cbranch_execz .LBB73_56
; %bb.55:                               ;   in Loop: Header=BB73_50 Depth=2
	v_lshl_or_b32 v20, v15, 8, v13
	v_add_u32_e32 v20, v38, v20
	ds_add_f64 v20, v[16:17]
	ds_add_f64 v20, v[18:19] offset:8
	s_xor_b64 s[28:29], exec, -1
.LBB73_56:                              ;   in Loop: Header=BB73_50 Depth=2
	s_or_b64 exec, exec, s[20:21]
	s_andn2_b64 s[0:1], s[16:17], exec
	s_and_b64 s[16:17], s[28:29], exec
	s_or_b64 s[16:17], s[0:1], s[16:17]
.LBB73_57:                              ;   in Loop: Header=BB73_50 Depth=2
	s_or_b64 exec, exec, s[18:19]
	s_and_b64 s[16:17], s[16:17], exec
.LBB73_58:                              ;   in Loop: Header=BB73_50 Depth=2
	s_andn2_saveexec_b64 s[0:1], s[10:11]
	s_cbranch_execz .LBB73_49
; %bb.59:                               ;   in Loop: Header=BB73_50 Depth=2
	v_lshl_or_b32 v20, v15, 8, v13
	v_add_u32_e32 v20, v38, v20
	ds_add_f64 v20, v[16:17]
	ds_add_f64 v20, v[18:19] offset:8
	s_andn2_b64 s[16:17], s[16:17], exec
	s_branch .LBB73_49
.LBB73_60:
	s_or_b64 exec, exec, s[2:3]
.LBB73_61:
	v_mov_b32_e32 v3, s27
	v_add_co_u32_e32 v4, vcc, s26, v8
	v_addc_co_u32_e32 v5, vcc, v3, v9, vcc
	s_waitcnt lgkmcnt(0)
	s_barrier
	global_load_dword v4, v[4:5], off
	s_cmp_eq_u32 s12, 0
	v_lshlrev_b32_e32 v6, 6, v37
	v_lshlrev_b32_e32 v7, 2, v1
	s_movk_i32 s2, 0x4000
	s_cselect_b64 s[0:1], -1, 0
	v_or3_b32 v6, v6, v7, s2
	v_cndmask_b32_e64 v7, v2, v0, s[0:1]
	v_max_i32_e32 v5, v0, v2
	v_lshlrev_b32_e32 v7, 4, v7
	v_or_b32_e32 v3, -4, v1
	v_cmp_gt_i32_e32 vcc, s15, v5
	v_cndmask_b32_e64 v5, v0, v2, s[0:1]
	v_lshl_or_b32 v1, v1, 8, v7
	v_lshl_or_b32 v1, v5, 6, v1
	v_add_u32_e32 v1, v38, v1
	s_mov_b64 s[2:3], 0
	s_waitcnt vmcnt(0)
	v_subrev_u32_e32 v7, s30, v4
	s_branch .LBB73_63
.LBB73_62:                              ;   in Loop: Header=BB73_63 Depth=1
	s_or_b64 exec, exec, s[4:5]
	v_add_u32_e32 v3, 4, v3
	v_cmp_lt_u32_e64 s[0:1], 11, v3
	v_add_u32_e32 v1, 0x400, v1
	s_or_b64 s[2:3], s[0:1], s[2:3]
	v_add_u32_e32 v6, 16, v6
	s_andn2_b64 exec, exec, s[2:3]
	s_cbranch_execz .LBB73_66
.LBB73_63:                              ; =>This Inner Loop Header: Depth=1
	ds_read_b32 v5, v6
	s_waitcnt lgkmcnt(0)
	v_cmp_gt_i32_e64 s[0:1], s14, v5
	s_and_saveexec_b64 s[4:5], s[0:1]
	s_cbranch_execz .LBB73_62
; %bb.64:                               ;   in Loop: Header=BB73_63 Depth=1
	ds_read_b128 v[8:11], v36
	ds_read_b128 v[12:15], v36 offset:16
	ds_read_b128 v[16:19], v36 offset:32
	;; [unrolled: 1-line block ×3, first 2 shown]
	s_waitcnt lgkmcnt(3)
	v_cmp_gt_i32_e64 s[0:1], v5, v8
	v_cndmask_b32_e64 v4, 0, 1, s[0:1]
	v_cmp_gt_i32_e64 s[0:1], v5, v9
	v_addc_co_u32_e64 v4, s[0:1], v7, v4, s[0:1]
	v_cmp_gt_i32_e64 s[0:1], v5, v10
	v_cndmask_b32_e64 v8, 0, 1, s[0:1]
	v_cmp_gt_i32_e64 s[0:1], v5, v11
	v_addc_co_u32_e64 v4, s[0:1], v4, v8, s[0:1]
	s_waitcnt lgkmcnt(2)
	v_cmp_gt_i32_e64 s[0:1], v5, v12
	v_cndmask_b32_e64 v8, 0, 1, s[0:1]
	v_cmp_gt_i32_e64 s[0:1], v5, v13
	v_addc_co_u32_e64 v4, s[0:1], v4, v8, s[0:1]
	v_cmp_gt_i32_e64 s[0:1], v5, v14
	v_cndmask_b32_e64 v8, 0, 1, s[0:1]
	v_cmp_gt_i32_e64 s[0:1], v5, v15
	v_addc_co_u32_e64 v4, s[0:1], v4, v8, s[0:1]
	s_waitcnt lgkmcnt(1)
	v_cmp_gt_i32_e64 s[0:1], v5, v16
	v_cndmask_b32_e64 v8, 0, 1, s[0:1]
	v_cmp_gt_i32_e64 s[0:1], v5, v17
	v_addc_co_u32_e64 v4, s[0:1], v4, v8, s[0:1]
	v_cmp_gt_i32_e64 s[0:1], v5, v18
	v_cndmask_b32_e64 v8, 0, 1, s[0:1]
	v_cmp_gt_i32_e64 s[0:1], v5, v19
	v_addc_co_u32_e64 v4, s[0:1], v4, v8, s[0:1]
	s_waitcnt lgkmcnt(0)
	v_cmp_gt_i32_e64 s[0:1], v5, v20
	v_cndmask_b32_e64 v8, 0, 1, s[0:1]
	v_cmp_gt_i32_e64 s[0:1], v5, v21
	v_addc_co_u32_e64 v4, s[0:1], v4, v8, s[0:1]
	v_cmp_gt_i32_e64 s[0:1], v5, v22
	v_cndmask_b32_e64 v8, 0, 1, s[0:1]
	v_cmp_gt_i32_e64 s[0:1], v5, v23
	v_addc_co_u32_e64 v4, s[0:1], v4, v8, s[0:1]
	v_add_u32_e32 v10, s30, v5
	v_ashrrev_i32_e32 v5, 31, v4
	v_lshlrev_b64 v[8:9], 2, v[4:5]
	v_mov_b32_e32 v5, s45
	v_add_co_u32_e64 v8, s[0:1], s44, v8
	v_addc_co_u32_e64 v9, s[0:1], v5, v9, s[0:1]
	global_store_dword v[8:9], v10, off
	s_and_b64 exec, exec, vcc
	s_cbranch_execz .LBB73_62
; %bb.65:                               ;   in Loop: Header=BB73_63 Depth=1
	v_mad_u64_u32 v[4:5], s[0:1], v4, s15, v[2:3]
	v_mad_u64_u32 v[4:5], s[0:1], v4, s15, v[0:1]
	ds_read2_b64 v[8:11], v1 offset1:1
	v_ashrrev_i32_e32 v5, 31, v4
	v_lshlrev_b64 v[4:5], 4, v[4:5]
	v_mov_b32_e32 v12, s47
	v_add_co_u32_e64 v4, s[0:1], s46, v4
	v_addc_co_u32_e64 v5, s[0:1], v12, v5, s[0:1]
	s_waitcnt lgkmcnt(0)
	global_store_dwordx4 v[4:5], v[8:11], off
	s_branch .LBB73_62
.LBB73_66:
	s_endpgm
	.section	.rodata,"a",@progbits
	.p2align	6, 0x0
	.amdhsa_kernel _ZN9rocsparseL23bsrgemm_fill_wf_per_rowILj256ELj64ELj16ELj137ELj4Eii21rocsparse_complex_numIdEEEv20rocsparse_direction_T5_S4_S4_PKS4_S6_NS_24const_host_device_scalarIT6_EEPKT4_S6_PKS8_SC_S6_SE_S9_SC_S6_SE_SC_PS4_PS8_21rocsparse_index_base_SH_SH_SH_bbb
		.amdhsa_group_segment_fixed_size 20736
		.amdhsa_private_segment_fixed_size 0
		.amdhsa_kernarg_size 180
		.amdhsa_user_sgpr_count 8
		.amdhsa_user_sgpr_private_segment_buffer 1
		.amdhsa_user_sgpr_dispatch_ptr 1
		.amdhsa_user_sgpr_queue_ptr 0
		.amdhsa_user_sgpr_kernarg_segment_ptr 1
		.amdhsa_user_sgpr_dispatch_id 0
		.amdhsa_user_sgpr_flat_scratch_init 0
		.amdhsa_user_sgpr_kernarg_preload_length 0
		.amdhsa_user_sgpr_kernarg_preload_offset 0
		.amdhsa_user_sgpr_private_segment_size 0
		.amdhsa_uses_dynamic_stack 0
		.amdhsa_system_sgpr_private_segment_wavefront_offset 0
		.amdhsa_system_sgpr_workgroup_id_x 1
		.amdhsa_system_sgpr_workgroup_id_y 0
		.amdhsa_system_sgpr_workgroup_id_z 0
		.amdhsa_system_sgpr_workgroup_info 0
		.amdhsa_system_vgpr_workitem_id 2
		.amdhsa_next_free_vgpr 52
		.amdhsa_next_free_sgpr 66
		.amdhsa_accum_offset 52
		.amdhsa_reserve_vcc 1
		.amdhsa_reserve_flat_scratch 0
		.amdhsa_float_round_mode_32 0
		.amdhsa_float_round_mode_16_64 0
		.amdhsa_float_denorm_mode_32 3
		.amdhsa_float_denorm_mode_16_64 3
		.amdhsa_dx10_clamp 1
		.amdhsa_ieee_mode 1
		.amdhsa_fp16_overflow 0
		.amdhsa_tg_split 0
		.amdhsa_exception_fp_ieee_invalid_op 0
		.amdhsa_exception_fp_denorm_src 0
		.amdhsa_exception_fp_ieee_div_zero 0
		.amdhsa_exception_fp_ieee_overflow 0
		.amdhsa_exception_fp_ieee_underflow 0
		.amdhsa_exception_fp_ieee_inexact 0
		.amdhsa_exception_int_div_zero 0
	.end_amdhsa_kernel
	.section	.text._ZN9rocsparseL23bsrgemm_fill_wf_per_rowILj256ELj64ELj16ELj137ELj4Eii21rocsparse_complex_numIdEEEv20rocsparse_direction_T5_S4_S4_PKS4_S6_NS_24const_host_device_scalarIT6_EEPKT4_S6_PKS8_SC_S6_SE_S9_SC_S6_SE_SC_PS4_PS8_21rocsparse_index_base_SH_SH_SH_bbb,"axG",@progbits,_ZN9rocsparseL23bsrgemm_fill_wf_per_rowILj256ELj64ELj16ELj137ELj4Eii21rocsparse_complex_numIdEEEv20rocsparse_direction_T5_S4_S4_PKS4_S6_NS_24const_host_device_scalarIT6_EEPKT4_S6_PKS8_SC_S6_SE_S9_SC_S6_SE_SC_PS4_PS8_21rocsparse_index_base_SH_SH_SH_bbb,comdat
.Lfunc_end73:
	.size	_ZN9rocsparseL23bsrgemm_fill_wf_per_rowILj256ELj64ELj16ELj137ELj4Eii21rocsparse_complex_numIdEEEv20rocsparse_direction_T5_S4_S4_PKS4_S6_NS_24const_host_device_scalarIT6_EEPKT4_S6_PKS8_SC_S6_SE_S9_SC_S6_SE_SC_PS4_PS8_21rocsparse_index_base_SH_SH_SH_bbb, .Lfunc_end73-_ZN9rocsparseL23bsrgemm_fill_wf_per_rowILj256ELj64ELj16ELj137ELj4Eii21rocsparse_complex_numIdEEEv20rocsparse_direction_T5_S4_S4_PKS4_S6_NS_24const_host_device_scalarIT6_EEPKT4_S6_PKS8_SC_S6_SE_S9_SC_S6_SE_SC_PS4_PS8_21rocsparse_index_base_SH_SH_SH_bbb
                                        ; -- End function
	.section	.AMDGPU.csdata,"",@progbits
; Kernel info:
; codeLenInByte = 2896
; NumSgprs: 70
; NumVgprs: 52
; NumAgprs: 0
; TotalNumVgprs: 52
; ScratchSize: 0
; MemoryBound: 0
; FloatMode: 240
; IeeeMode: 1
; LDSByteSize: 20736 bytes/workgroup (compile time only)
; SGPRBlocks: 8
; VGPRBlocks: 6
; NumSGPRsForWavesPerEU: 70
; NumVGPRsForWavesPerEU: 52
; AccumOffset: 52
; Occupancy: 3
; WaveLimiterHint : 1
; COMPUTE_PGM_RSRC2:SCRATCH_EN: 0
; COMPUTE_PGM_RSRC2:USER_SGPR: 8
; COMPUTE_PGM_RSRC2:TRAP_HANDLER: 0
; COMPUTE_PGM_RSRC2:TGID_X_EN: 1
; COMPUTE_PGM_RSRC2:TGID_Y_EN: 0
; COMPUTE_PGM_RSRC2:TGID_Z_EN: 0
; COMPUTE_PGM_RSRC2:TIDIG_COMP_CNT: 2
; COMPUTE_PGM_RSRC3_GFX90A:ACCUM_OFFSET: 12
; COMPUTE_PGM_RSRC3_GFX90A:TG_SPLIT: 0
	.section	.text._ZN9rocsparseL38bsrgemm_block_per_row_atomic_multipassILj256ELj32ELj4Eii21rocsparse_complex_numIdEEEv20rocsparse_direction_T3_S4_PKS4_S6_NS_24const_host_device_scalarIT4_EEPKT2_S6_PKS8_SC_S6_SE_S9_SC_S6_SE_SC_PS4_PS8_PSA_21rocsparse_index_base_SI_SI_SI_bbb,"axG",@progbits,_ZN9rocsparseL38bsrgemm_block_per_row_atomic_multipassILj256ELj32ELj4Eii21rocsparse_complex_numIdEEEv20rocsparse_direction_T3_S4_PKS4_S6_NS_24const_host_device_scalarIT4_EEPKT2_S6_PKS8_SC_S6_SE_S9_SC_S6_SE_SC_PS4_PS8_PSA_21rocsparse_index_base_SI_SI_SI_bbb,comdat
	.globl	_ZN9rocsparseL38bsrgemm_block_per_row_atomic_multipassILj256ELj32ELj4Eii21rocsparse_complex_numIdEEEv20rocsparse_direction_T3_S4_PKS4_S6_NS_24const_host_device_scalarIT4_EEPKT2_S6_PKS8_SC_S6_SE_S9_SC_S6_SE_SC_PS4_PS8_PSA_21rocsparse_index_base_SI_SI_SI_bbb ; -- Begin function _ZN9rocsparseL38bsrgemm_block_per_row_atomic_multipassILj256ELj32ELj4Eii21rocsparse_complex_numIdEEEv20rocsparse_direction_T3_S4_PKS4_S6_NS_24const_host_device_scalarIT4_EEPKT2_S6_PKS8_SC_S6_SE_S9_SC_S6_SE_SC_PS4_PS8_PSA_21rocsparse_index_base_SI_SI_SI_bbb
	.p2align	8
	.type	_ZN9rocsparseL38bsrgemm_block_per_row_atomic_multipassILj256ELj32ELj4Eii21rocsparse_complex_numIdEEEv20rocsparse_direction_T3_S4_PKS4_S6_NS_24const_host_device_scalarIT4_EEPKT2_S6_PKS8_SC_S6_SE_S9_SC_S6_SE_SC_PS4_PS8_PSA_21rocsparse_index_base_SI_SI_SI_bbb,@function
_ZN9rocsparseL38bsrgemm_block_per_row_atomic_multipassILj256ELj32ELj4Eii21rocsparse_complex_numIdEEEv20rocsparse_direction_T3_S4_PKS4_S6_NS_24const_host_device_scalarIT4_EEPKT2_S6_PKS8_SC_S6_SE_S9_SC_S6_SE_SC_PS4_PS8_PSA_21rocsparse_index_base_SI_SI_SI_bbb: ; @_ZN9rocsparseL38bsrgemm_block_per_row_atomic_multipassILj256ELj32ELj4Eii21rocsparse_complex_numIdEEEv20rocsparse_direction_T3_S4_PKS4_S6_NS_24const_host_device_scalarIT4_EEPKT2_S6_PKS8_SC_S6_SE_S9_SC_S6_SE_SC_PS4_PS8_PSA_21rocsparse_index_base_SI_SI_SI_bbb
; %bb.0:
	s_add_u32 flat_scratch_lo, s6, s9
	s_addc_u32 flat_scratch_hi, s7, 0
	s_load_dwordx4 s[16:19], s[4:5], 0x20
	s_load_dwordx4 s[12:15], s[4:5], 0x60
	s_add_u32 s0, s0, s9
	s_load_dword s9, s[4:5], 0xb8
	s_load_dwordx4 s[52:55], s[4:5], 0xa8
	s_addc_u32 s1, s1, 0
	s_waitcnt lgkmcnt(0)
	v_mov_b32_e32 v1, s17
	buffer_store_dword v1, off, s[0:3], 0 offset:4
	s_bitcmp1_b32 s9, 0
	s_cselect_b64 s[28:29], -1, 0
	s_bitcmp1_b32 s9, 16
	v_mov_b32_e32 v1, s16
	s_cselect_b64 s[6:7], -1, 0
	buffer_store_dword v1, off, s[0:3], 0
	v_mov_b32_e32 v1, s13
	buffer_store_dword v1, off, s[0:3], 0 offset:12
	v_mov_b32_e32 v1, s12
	s_xor_b64 s[10:11], s[6:7], -1
	buffer_store_dword v1, off, s[0:3], 0 offset:8
	v_pk_mov_b32 v[6:7], 0, 0
	v_cndmask_b32_e64 v1, 0, 1, s[10:11]
	s_bitcmp0_b32 s9, 0
	v_cmp_ne_u32_e64 s[10:11], 1, v1
	v_pk_mov_b32 v[4:5], v[6:7], v[6:7] op_sel:[0,1]
	v_pk_mov_b32 v[8:9], v[6:7], v[6:7] op_sel:[0,1]
	s_cbranch_scc1 .LBB74_3
; %bb.1:
	s_mov_b64 s[20:21], src_private_base
	s_and_b64 s[22:23], s[6:7], exec
	s_cselect_b32 s20, s21, s17
	v_mov_b32_e32 v1, 0
	v_mov_b32_e32 v2, s16
	v_cndmask_b32_e64 v2, v2, v1, s[6:7]
	v_mov_b32_e32 v3, s20
	flat_load_dwordx2 v[4:5], v[2:3]
	s_and_b64 vcc, exec, s[10:11]
	v_pk_mov_b32 v[8:9], s[18:19], s[18:19] op_sel:[0,1]
	s_cbranch_vccnz .LBB74_3
; %bb.2:
	v_pk_mov_b32 v[2:3], s[16:17], s[16:17] op_sel:[0,1]
	flat_load_dwordx2 v[8:9], v[2:3] offset:8
.LBB74_3:
	s_load_dwordx2 s[16:17], s[4:5], 0x18
	s_bitcmp1_b32 s9, 8
	s_cselect_b64 s[64:65], -1, 0
	s_bfe_u32 s9, s9, 0x10008
	s_cmp_eq_u32 s9, 0
	v_pk_mov_b32 v[10:11], v[6:7], v[6:7] op_sel:[0,1]
	s_cbranch_scc1 .LBB74_6
; %bb.4:
	s_mov_b64 s[18:19], src_private_base
	s_and_b64 s[20:21], s[6:7], exec
	s_cselect_b32 s9, s19, s13
	v_mov_b32_e32 v1, 8
	v_mov_b32_e32 v2, s12
	v_cndmask_b32_e64 v2, v2, v1, s[6:7]
	v_mov_b32_e32 v3, s9
	flat_load_dwordx2 v[10:11], v[2:3]
	s_and_b64 vcc, exec, s[10:11]
	v_pk_mov_b32 v[6:7], s[14:15], s[14:15] op_sel:[0,1]
	s_cbranch_vccnz .LBB74_6
; %bb.5:
	v_pk_mov_b32 v[2:3], s[12:13], s[12:13] op_sel:[0,1]
	flat_load_dwordx2 v[6:7], v[2:3] offset:8
.LBB74_6:
	s_load_dwordx2 s[10:11], s[4:5], 0x30
	s_waitcnt lgkmcnt(0)
	s_cmp_eq_u64 s[16:17], 0
	s_cbranch_scc1 .LBB74_8
; %bb.7:
	s_load_dwordx2 s[6:7], s[4:5], 0x10
	s_waitcnt lgkmcnt(0)
	s_load_dword s6, s[6:7], 0x0
	s_mov_b32 s7, 0
	s_waitcnt lgkmcnt(0)
	s_add_i32 s6, s6, s8
	s_lshl_b64 s[6:7], s[6:7], 2
	s_add_u32 s6, s16, s6
	s_addc_u32 s7, s17, s7
	s_load_dword s8, s[6:7], 0x0
.LBB74_8:
	v_cndmask_b32_e64 v1, 0, 1, s[28:29]
	s_mov_b32 s33, 0
	v_cmp_ne_u32_e64 s[6:7], 1, v1
	s_andn2_b64 vcc, exec, s[28:29]
	s_mov_b32 s88, 0
	s_cbranch_vccz .LBB74_11
; %bb.9:
	s_and_b64 vcc, exec, s[6:7]
	s_cbranch_vccz .LBB74_12
.LBB74_10:
	s_load_dwordx4 s[56:59], s[4:5], 0x0
	s_waitcnt lgkmcnt(0)
	s_cmp_lt_i32 s57, 1
	s_cbranch_scc0 .LBB74_13
	s_branch .LBB74_96
.LBB74_11:
	s_waitcnt lgkmcnt(0)
	s_ashr_i32 s9, s8, 31
	s_lshl_b64 s[12:13], s[8:9], 2
	s_add_u32 s12, s10, s12
	s_addc_u32 s13, s11, s13
	s_load_dword s9, s[12:13], 0x0
	s_waitcnt lgkmcnt(0)
	s_sub_i32 s88, s9, s52
	s_and_b64 vcc, exec, s[6:7]
	s_cbranch_vccnz .LBB74_10
.LBB74_12:
	s_waitcnt lgkmcnt(0)
	s_ashr_i32 s9, s8, 31
	s_lshl_b64 s[6:7], s[8:9], 2
	s_add_u32 s6, s10, s6
	s_addc_u32 s7, s11, s7
	s_load_dword s6, s[6:7], 0x4
	s_waitcnt lgkmcnt(0)
	s_sub_i32 s33, s6, s52
	s_load_dwordx4 s[56:59], s[4:5], 0x0
	s_waitcnt lgkmcnt(0)
	s_cmp_lt_i32 s57, 1
	s_cbranch_scc1 .LBB74_96
.LBB74_13:
	s_load_dwordx2 s[66:67], s[4:5], 0xa0
	s_load_dwordx4 s[60:63], s[4:5], 0x90
	s_load_dwordx8 s[36:43], s[4:5], 0x70
	s_load_dwordx2 s[68:69], s[4:5], 0x58
	s_load_dwordx8 s[44:51], s[4:5], 0x38
	s_ashr_i32 s9, s8, 31
	s_lshl_b64 s[14:15], s[8:9], 2
	s_waitcnt lgkmcnt(0)
	s_add_u32 s4, s42, s14
	s_addc_u32 s5, s43, s15
	s_load_dword s4, s[4:5], 0x0
	v_and_b32_e32 v1, 15, v0
	v_and_b32_e32 v12, 3, v0
	v_bfe_u32 v14, v0, 2, 2
	v_lshrrev_b32_e32 v13, 4, v0
	s_waitcnt lgkmcnt(0)
	s_sub_i32 s34, s4, s54
	s_cmp_lt_i32 s88, s33
	s_cselect_b64 s[30:31], -1, 0
	s_cmp_eq_u32 s56, 0
	s_cselect_b64 vcc, -1, 0
	s_cmp_lg_u32 s56, 0
	s_cselect_b64 s[42:43], -1, 0
	s_cmp_gt_i32 s58, 0
	s_cselect_b64 s[70:71], -1, 0
	s_add_u32 s36, s36, s14
	s_movk_i32 s6, 0x200
	v_max_i32_e32 v2, v12, v14
	s_addc_u32 s37, s37, s15
	v_cmp_eq_u32_e64 s[14:15], 15, v1
	v_and_b32_e32 v1, 31, v0
	v_mov_b32_e32 v20, 0x3000
	v_cmp_gt_u32_e64 s[4:5], 32, v0
	v_cmp_gt_u32_e64 s[6:7], s6, v0
	v_cmp_eq_u32_e64 s[8:9], 0, v0
	v_cmp_gt_i32_e64 s[10:11], s58, v2
	v_cmp_le_i32_e64 s[12:13], s58, v2
	v_lshlrev_b32_e32 v15, 4, v0
	s_movk_i32 s35, 0x2000
	v_and_b32_e32 v19, 12, v0
	v_lshlrev_b32_e32 v2, 2, v1
	v_add_co_u32_e64 v3, s[16:17], -1, v1
	v_lshl_or_b32 v33, v0, 2, v20
	v_cmp_ne_u32_e64 s[18:19], 0, v1
	v_cmp_lt_u32_e64 s[20:21], 1, v1
	v_cmp_lt_u32_e64 s[22:23], 3, v1
	;; [unrolled: 1-line block ×4, first 2 shown]
	s_and_b64 s[28:29], s[28:29], s[30:31]
	v_or_b32_e32 v38, 0xffffff00, v0
	v_lshlrev_b32_e32 v0, 8, v13
	v_lshlrev_b32_e32 v1, 4, v14
	s_add_u32 s56, s48, 4
	v_or3_b32 v39, v0, v1, s35
	s_mul_i32 s89, s58, s58
	v_and_b32_e32 v0, 0xfc0, v15
	v_cndmask_b32_e64 v1, 0, 1, s[28:29]
	s_mov_b32 s91, 0
	v_or_b32_e32 v17, 0x2000, v15
	v_subrev_u32_e32 v30, s55, v13
	v_or_b32_e32 v31, 0x3000, v2
	v_lshl_add_u32 v32, v3, 2, v20
	v_add_u32_e32 v34, 0x2ff8, v2
	v_add_u32_e32 v35, 0x2ff0, v2
	;; [unrolled: 1-line block ×4, first 2 shown]
	v_cndmask_b32_e32 v16, v12, v14, vcc
	v_cndmask_b32_e32 v18, v14, v12, vcc
	s_addc_u32 s59, s49, 0
	v_or_b32_e32 v40, 0x2000, v0
	s_lshl_b32 s90, s89, 4
	v_lshl_or_b32 v41, v13, 2, v20
	v_mov_b32_e32 v44, 32
	v_mov_b32_e32 v42, s34
	;; [unrolled: 1-line block ×3, first 2 shown]
	v_cmp_ne_u32_e64 s[28:29], 1, v1
	v_mov_b32_e32 v43, 1
	s_branch .LBB74_15
.LBB74_14:                              ;   in Loop: Header=BB74_15 Depth=1
	s_or_b64 exec, exec, s[30:31]
	s_barrier
	ds_read_b32 v1, v0 offset:12416
	v_add_u32_e32 v42, v20, v42
	s_waitcnt lgkmcnt(0)
	s_barrier
	v_cmp_le_i32_e32 vcc, s57, v1
	v_readfirstlane_b32 s91, v1
	v_add_u32_e32 v44, 32, v1
	s_cbranch_vccnz .LBB74_96
.LBB74_15:                              ; =>This Loop Header: Depth=1
                                        ;     Child Loop BB74_19 Depth 2
                                        ;     Child Loop BB74_25 Depth 2
                                        ;       Child Loop BB74_39 Depth 3
                                        ;         Child Loop BB74_48 Depth 4
                                        ;         Child Loop BB74_53 Depth 4
                                        ;     Child Loop BB74_64 Depth 2
                                        ;     Child Loop BB74_73 Depth 2
	;; [unrolled: 1-line block ×3, first 2 shown]
	s_and_saveexec_b64 s[30:31], s[4:5]
	s_cbranch_execz .LBB74_17
; %bb.16:                               ;   in Loop: Header=BB74_15 Depth=1
	ds_write_b32 v33, v0
.LBB74_17:                              ;   in Loop: Header=BB74_15 Depth=1
	s_or_b64 exec, exec, s[30:31]
	s_and_saveexec_b64 s[30:31], s[6:7]
	s_cbranch_execz .LBB74_20
; %bb.18:                               ;   in Loop: Header=BB74_15 Depth=1
	s_mov_b64 s[34:35], 0
	v_mov_b32_e32 v20, v15
	v_mov_b32_e32 v21, v38
.LBB74_19:                              ;   Parent Loop BB74_15 Depth=1
                                        ; =>  This Inner Loop Header: Depth=2
	v_add_co_u32_e32 v21, vcc, 0x100, v21
	s_xor_b64 s[72:73], vcc, -1
	v_mov_b32_e32 v1, v0
	v_mov_b32_e32 v2, v0
	;; [unrolled: 1-line block ×3, first 2 shown]
	s_and_b64 s[72:73], exec, s[72:73]
	ds_write_b128 v20, v[0:3]
	s_or_b64 s[34:35], s[72:73], s[34:35]
	v_add_u32_e32 v20, 0x1000, v20
	s_andn2_b64 exec, exec, s[34:35]
	s_cbranch_execnz .LBB74_19
.LBB74_20:                              ;   in Loop: Header=BB74_15 Depth=1
	s_or_b64 exec, exec, s[30:31]
	s_and_saveexec_b64 s[30:31], s[8:9]
	s_cbranch_execz .LBB74_22
; %bb.21:                               ;   in Loop: Header=BB74_15 Depth=1
	v_mov_b32_e32 v1, s57
	ds_write_b32 v0, v1 offset:12416
.LBB74_22:                              ;   in Loop: Header=BB74_15 Depth=1
	s_or_b64 exec, exec, s[30:31]
	s_and_b64 vcc, exec, s[28:29]
	v_mov_b32_e32 v45, s57
	s_waitcnt lgkmcnt(0)
	s_barrier
	s_cbranch_vccnz .LBB74_59
; %bb.23:                               ;   in Loop: Header=BB74_15 Depth=1
	s_cmp_lg_u32 s91, 0
	s_cselect_b64 s[72:73], -1, 0
	v_mov_b32_e32 v45, s57
	s_mov_b32 s92, s88
	s_branch .LBB74_25
.LBB74_24:                              ;   in Loop: Header=BB74_25 Depth=2
	s_or_b64 exec, exec, s[34:35]
	s_add_i32 s92, s92, 16
	s_cmp_lt_i32 s92, s33
	s_cbranch_scc0 .LBB74_59
.LBB74_25:                              ;   Parent Loop BB74_15 Depth=1
                                        ; =>  This Loop Header: Depth=2
                                        ;       Child Loop BB74_39 Depth 3
                                        ;         Child Loop BB74_48 Depth 4
                                        ;         Child Loop BB74_53 Depth 4
	v_add_u32_e32 v20, s92, v13
	v_cmp_gt_i32_e64 s[30:31], s33, v20
	s_barrier
	s_and_saveexec_b64 s[34:35], s[30:31]
	s_cbranch_execz .LBB74_30
; %bb.26:                               ;   in Loop: Header=BB74_25 Depth=2
	s_and_saveexec_b64 s[74:75], s[12:13]
	s_xor_b64 s[74:75], exec, s[74:75]
	s_cbranch_execz .LBB74_28
; %bb.27:                               ;   in Loop: Header=BB74_25 Depth=2
	v_mov_b32_e32 v1, v0
	v_mov_b32_e32 v2, v0
	;; [unrolled: 1-line block ×3, first 2 shown]
	ds_write_b128 v17, v[0:3]
.LBB74_28:                              ;   in Loop: Header=BB74_25 Depth=2
	s_andn2_saveexec_b64 s[74:75], s[74:75]
	s_cbranch_execz .LBB74_30
; %bb.29:                               ;   in Loop: Header=BB74_25 Depth=2
	v_mad_u64_u32 v[2:3], s[74:75], v20, s58, v[14:15]
	v_mad_u64_u32 v[2:3], s[74:75], v2, s58, v[12:13]
	v_ashrrev_i32_e32 v3, 31, v2
	v_lshlrev_b64 v[2:3], 4, v[2:3]
	v_mov_b32_e32 v1, s47
	v_add_co_u32_e32 v2, vcc, s46, v2
	v_addc_co_u32_e32 v3, vcc, v1, v3, vcc
	global_load_dwordx4 v[22:25], v[2:3], off
	s_waitcnt vmcnt(0)
	ds_write2_b64 v17, v[22:23], v[24:25] offset1:1
.LBB74_30:                              ;   in Loop: Header=BB74_25 Depth=2
	s_or_b64 exec, exec, s[34:35]
	v_mov_b32_e32 v1, 0
	s_waitcnt lgkmcnt(0)
	s_barrier
	s_and_saveexec_b64 s[74:75], s[30:31]
	s_cbranch_execz .LBB74_56
; %bb.31:                               ;   in Loop: Header=BB74_25 Depth=2
	v_ashrrev_i32_e32 v21, 31, v20
	v_lshlrev_b64 v[22:23], 2, v[20:21]
	v_mov_b32_e32 v1, s45
	v_add_co_u32_e32 v2, vcc, s44, v22
	v_addc_co_u32_e32 v3, vcc, v1, v23, vcc
	global_load_dword v1, v[2:3], off
	s_and_b64 vcc, exec, s[72:73]
	s_waitcnt vmcnt(0)
	v_subrev_u32_e32 v2, s52, v1
	v_ashrrev_i32_e32 v3, 31, v2
	s_cbranch_vccz .LBB74_58
; %bb.32:                               ;   in Loop: Header=BB74_25 Depth=2
	v_mov_b32_e32 v1, s67
	v_add_co_u32_e32 v22, vcc, s66, v22
	v_addc_co_u32_e32 v23, vcc, v1, v23, vcc
	global_load_dword v1, v[22:23], off
	s_cbranch_execnz .LBB74_34
.LBB74_33:                              ;   in Loop: Header=BB74_25 Depth=2
	v_lshlrev_b64 v[22:23], 2, v[2:3]
	s_waitcnt vmcnt(0)
	v_mov_b32_e32 v1, s49
	v_add_co_u32_e32 v22, vcc, s48, v22
	v_addc_co_u32_e32 v23, vcc, v1, v23, vcc
	global_load_dword v1, v[22:23], off
	s_waitcnt vmcnt(0)
	v_subrev_u32_e32 v1, s53, v1
.LBB74_34:                              ;   in Loop: Header=BB74_25 Depth=2
	v_lshlrev_b64 v[2:3], 2, v[2:3]
	v_mov_b32_e32 v21, s59
	v_add_co_u32_e32 v2, vcc, s56, v2
	v_addc_co_u32_e32 v3, vcc, v21, v3, vcc
	global_load_dword v2, v[2:3], off
	s_waitcnt vmcnt(0)
	v_subrev_u32_e32 v21, s53, v2
	v_cmp_lt_i32_e32 vcc, v1, v21
	s_and_saveexec_b64 s[76:77], vcc
	s_cbranch_execz .LBB74_55
; %bb.35:                               ;   in Loop: Header=BB74_25 Depth=2
	v_mad_u64_u32 v[2:3], s[34:35], s58, v1, v[12:13]
	v_mul_lo_u32 v46, s58, v2
	v_mad_u64_u32 v[2:3], s[34:35], s89, v1, v[12:13]
	s_mov_b64 s[78:79], 0
	v_mov_b32_e32 v22, v1
	s_branch .LBB74_39
.LBB74_36:                              ;   in Loop: Header=BB74_39 Depth=3
	v_lshlrev_b32_e32 v3, 4, v3
	v_or3_b32 v3, v3, v19, v12
	v_mul_f64 v[28:29], v[26:27], -v[8:9]
	v_lshlrev_b32_e32 v3, 4, v3
	v_fmac_f64_e32 v[28:29], v[4:5], v[24:25]
	v_mul_f64 v[26:27], v[4:5], v[26:27]
	v_fmac_f64_e32 v[26:27], v[8:9], v[24:25]
	ds_add_f64 v3, v[28:29]
	ds_add_f64 v3, v[26:27] offset:8
.LBB74_37:                              ;   in Loop: Header=BB74_39 Depth=3
	s_or_b64 exec, exec, s[84:85]
	s_or_b64 s[80:81], s[80:81], exec
.LBB74_38:                              ;   in Loop: Header=BB74_39 Depth=3
	s_or_b64 exec, exec, s[82:83]
	v_add_u32_e32 v22, 1, v22
	v_cmp_ge_i32_e32 vcc, v22, v21
	s_xor_b64 s[34:35], s[80:81], -1
	s_or_b64 s[34:35], s[34:35], vcc
	s_and_b64 s[34:35], exec, s[34:35]
	v_add_u32_e32 v46, s89, v46
	s_or_b64 s[78:79], s[34:35], s[78:79]
	v_add_u32_e32 v2, s89, v2
	s_andn2_b64 exec, exec, s[78:79]
	s_cbranch_execz .LBB74_54
.LBB74_39:                              ;   Parent Loop BB74_15 Depth=1
                                        ;     Parent Loop BB74_25 Depth=2
                                        ; =>    This Loop Header: Depth=3
                                        ;         Child Loop BB74_48 Depth 4
                                        ;         Child Loop BB74_53 Depth 4
	v_ashrrev_i32_e32 v23, 31, v22
	v_lshlrev_b64 v[24:25], 2, v[22:23]
	v_mov_b32_e32 v3, s51
	v_add_co_u32_e32 v24, vcc, s50, v24
	v_addc_co_u32_e32 v25, vcc, v3, v25, vcc
	global_load_dword v3, v[24:25], off
                                        ; implicit-def: $sgpr80_sgpr81
	s_waitcnt vmcnt(0)
	v_subrev_u32_e32 v3, s53, v3
	v_cmp_gt_i32_e64 s[34:35], s91, v3
	v_cmp_ge_i32_e32 vcc, v3, v44
	s_or_b64 s[34:35], s[34:35], vcc
	s_and_saveexec_b64 s[82:83], s[34:35]
	s_xor_b64 s[34:35], exec, s[82:83]
	s_cbranch_execz .LBB74_43
; %bb.40:                               ;   in Loop: Header=BB74_39 Depth=3
	s_mov_b64 s[80:81], -1
	s_and_saveexec_b64 s[82:83], vcc
; %bb.41:                               ;   in Loop: Header=BB74_39 Depth=3
	v_min_i32_e32 v45, v3, v45
	s_xor_b64 s[80:81], exec, -1
	v_mov_b32_e32 v1, v22
; %bb.42:                               ;   in Loop: Header=BB74_39 Depth=3
	s_or_b64 exec, exec, s[82:83]
	s_and_b64 s[80:81], s[80:81], exec
                                        ; implicit-def: $vgpr3
.LBB74_43:                              ;   in Loop: Header=BB74_39 Depth=3
	s_andn2_saveexec_b64 s[82:83], s[34:35]
	s_cbranch_execz .LBB74_38
; %bb.44:                               ;   in Loop: Header=BB74_39 Depth=3
	v_subrev_u32_e32 v3, s91, v3
	v_lshlrev_b32_e32 v23, 2, v3
	ds_write_b32 v23, v43 offset:12288
	s_and_saveexec_b64 s[84:85], s[10:11]
	s_cbranch_execz .LBB74_37
; %bb.45:                               ;   in Loop: Header=BB74_39 Depth=3
	v_cndmask_b32_e64 v23, 0, 1, s[70:71]
	s_andn2_b64 vcc, exec, s[42:43]
	v_cmp_ne_u32_e64 s[34:35], 1, v23
	s_cbranch_vccnz .LBB74_50
; %bb.46:                               ;   in Loop: Header=BB74_39 Depth=3
	v_pk_mov_b32 v[24:25], 0, 0
	s_mov_b64 s[86:87], 0
	s_and_b64 vcc, exec, s[34:35]
	v_pk_mov_b32 v[26:27], v[24:25], v[24:25] op_sel:[0,1]
	s_cbranch_vccnz .LBB74_49
; %bb.47:                               ;   in Loop: Header=BB74_39 Depth=3
	v_pk_mov_b32 v[24:25], 0, 0
	v_mov_b32_e32 v28, v46
	s_mov_b32 s93, s58
	v_mov_b32_e32 v23, v39
	v_pk_mov_b32 v[26:27], v[24:25], v[24:25] op_sel:[0,1]
.LBB74_48:                              ;   Parent Loop BB74_15 Depth=1
                                        ;     Parent Loop BB74_25 Depth=2
                                        ;       Parent Loop BB74_39 Depth=3
                                        ; =>      This Inner Loop Header: Depth=4
	v_ashrrev_i32_e32 v29, 31, v28
	v_lshlrev_b64 v[48:49], 4, v[28:29]
	v_mov_b32_e32 v47, s69
	v_add_co_u32_e32 v48, vcc, s68, v48
	v_addc_co_u32_e32 v49, vcc, v47, v49, vcc
	global_load_dwordx4 v[48:51], v[48:49], off
	ds_read_b128 v[52:55], v23
	s_add_i32 s93, s93, -1
	v_add_u32_e32 v23, 64, v23
	v_add_u32_e32 v28, 1, v28
	s_cmp_lg_u32 s93, 0
	s_waitcnt vmcnt(0) lgkmcnt(0)
	v_fmac_f64_e32 v[24:25], v[52:53], v[48:49]
	v_fmac_f64_e32 v[26:27], v[54:55], v[48:49]
	v_fma_f64 v[24:25], -v[54:55], v[50:51], v[24:25]
	v_fmac_f64_e32 v[26:27], v[52:53], v[50:51]
	s_cbranch_scc1 .LBB74_48
.LBB74_49:                              ;   in Loop: Header=BB74_39 Depth=3
	s_andn2_b64 vcc, exec, s[86:87]
	s_cbranch_vccnz .LBB74_36
	s_branch .LBB74_51
.LBB74_50:                              ;   in Loop: Header=BB74_39 Depth=3
                                        ; implicit-def: $vgpr24_vgpr25
                                        ; implicit-def: $vgpr26_vgpr27
.LBB74_51:                              ;   in Loop: Header=BB74_39 Depth=3
	v_pk_mov_b32 v[24:25], 0, 0
	s_and_b64 vcc, exec, s[34:35]
	v_pk_mov_b32 v[26:27], v[24:25], v[24:25] op_sel:[0,1]
	s_cbranch_vccnz .LBB74_36
; %bb.52:                               ;   in Loop: Header=BB74_39 Depth=3
	v_pk_mov_b32 v[24:25], 0, 0
	v_mov_b32_e32 v23, v40
	v_mov_b32_e32 v28, v2
	s_mov_b32 s34, s58
	v_pk_mov_b32 v[26:27], v[24:25], v[24:25] op_sel:[0,1]
.LBB74_53:                              ;   Parent Loop BB74_15 Depth=1
                                        ;     Parent Loop BB74_25 Depth=2
                                        ;       Parent Loop BB74_39 Depth=3
                                        ; =>      This Inner Loop Header: Depth=4
	v_ashrrev_i32_e32 v29, 31, v28
	v_lshlrev_b64 v[48:49], 4, v[28:29]
	v_mov_b32_e32 v47, s69
	v_add_co_u32_e32 v48, vcc, s68, v48
	v_addc_co_u32_e32 v49, vcc, v47, v49, vcc
	global_load_dwordx4 v[48:51], v[48:49], off
	ds_read_b128 v[52:55], v23
	s_add_i32 s34, s34, -1
	v_add_u32_e32 v23, 16, v23
	v_add_u32_e32 v28, s58, v28
	s_cmp_eq_u32 s34, 0
	s_waitcnt vmcnt(0) lgkmcnt(0)
	v_fmac_f64_e32 v[24:25], v[52:53], v[48:49]
	v_fmac_f64_e32 v[26:27], v[54:55], v[48:49]
	v_fma_f64 v[24:25], -v[54:55], v[50:51], v[24:25]
	v_fmac_f64_e32 v[26:27], v[52:53], v[50:51]
	s_cbranch_scc0 .LBB74_53
	s_branch .LBB74_36
.LBB74_54:                              ;   in Loop: Header=BB74_25 Depth=2
	s_or_b64 exec, exec, s[78:79]
.LBB74_55:                              ;   in Loop: Header=BB74_25 Depth=2
	s_or_b64 exec, exec, s[76:77]
.LBB74_56:                              ;   in Loop: Header=BB74_25 Depth=2
	s_or_b64 exec, exec, s[74:75]
	s_waitcnt lgkmcnt(0)
	s_barrier
	s_and_saveexec_b64 s[34:35], s[30:31]
	s_cbranch_execz .LBB74_24
; %bb.57:                               ;   in Loop: Header=BB74_25 Depth=2
	v_ashrrev_i32_e32 v21, 31, v20
	v_lshlrev_b64 v[2:3], 2, v[20:21]
	v_mov_b32_e32 v20, s67
	v_add_co_u32_e32 v2, vcc, s66, v2
	v_addc_co_u32_e32 v3, vcc, v20, v3, vcc
	global_store_dword v[2:3], v1, off
	s_branch .LBB74_24
.LBB74_58:                              ;   in Loop: Header=BB74_25 Depth=2
                                        ; implicit-def: $vgpr1
	s_branch .LBB74_33
.LBB74_59:                              ;   in Loop: Header=BB74_15 Depth=1
	s_andn2_b64 vcc, exec, s[64:65]
	s_cbranch_vccnz .LBB74_71
; %bb.60:                               ;   in Loop: Header=BB74_15 Depth=1
	s_load_dwordx2 s[30:31], s[36:37], 0x0
	s_waitcnt lgkmcnt(0)
	s_sub_i32 s78, s31, s55
	v_add_u32_e32 v2, s30, v30
	v_cmp_gt_i32_e32 vcc, s78, v2
	s_and_saveexec_b64 s[72:73], vcc
	s_cbranch_execz .LBB74_70
; %bb.61:                               ;   in Loop: Header=BB74_15 Depth=1
	v_mad_u64_u32 v[20:21], s[30:31], s58, v2, v[16:17]
	v_mad_u64_u32 v[20:21], s[30:31], s58, v20, v[18:19]
	s_mov_b64 s[74:75], 0
	s_branch .LBB74_64
.LBB74_62:                              ;   in Loop: Header=BB74_64 Depth=2
	s_or_b64 exec, exec, s[76:77]
	s_or_b64 s[30:31], s[30:31], exec
.LBB74_63:                              ;   in Loop: Header=BB74_64 Depth=2
	s_or_b64 exec, exec, s[34:35]
	v_add_u32_e32 v2, 16, v2
	v_cmp_le_i32_e32 vcc, s78, v2
	s_xor_b64 s[30:31], s[30:31], -1
	s_or_b64 s[30:31], vcc, s[30:31]
	s_and_b64 s[30:31], exec, s[30:31]
	s_or_b64 s[74:75], s[30:31], s[74:75]
	v_add_u32_e32 v20, s90, v20
	s_andn2_b64 exec, exec, s[74:75]
	s_cbranch_execz .LBB74_69
.LBB74_64:                              ;   Parent Loop BB74_15 Depth=1
                                        ; =>  This Inner Loop Header: Depth=2
	v_ashrrev_i32_e32 v3, 31, v2
	v_lshlrev_b64 v[22:23], 2, v[2:3]
	v_mov_b32_e32 v1, s39
	v_add_co_u32_e32 v22, vcc, s38, v22
	v_addc_co_u32_e32 v23, vcc, v1, v23, vcc
	global_load_dword v1, v[22:23], off
	s_waitcnt vmcnt(0)
	v_subrev_u32_e32 v1, s55, v1
	v_cmp_gt_i32_e64 s[30:31], s91, v1
	v_cmp_ge_i32_e64 s[34:35], v1, v44
	v_cmp_lt_i32_e32 vcc, v1, v44
	s_or_b64 s[34:35], s[30:31], s[34:35]
                                        ; implicit-def: $sgpr30_sgpr31
	s_and_saveexec_b64 s[76:77], s[34:35]
	s_xor_b64 s[34:35], exec, s[76:77]
; %bb.65:                               ;   in Loop: Header=BB74_64 Depth=2
	v_min_i32_e32 v1, v1, v45
	v_cndmask_b32_e32 v45, v1, v45, vcc
	s_and_b64 s[30:31], vcc, exec
                                        ; implicit-def: $vgpr1
; %bb.66:                               ;   in Loop: Header=BB74_64 Depth=2
	s_andn2_saveexec_b64 s[34:35], s[34:35]
	s_cbranch_execz .LBB74_63
; %bb.67:                               ;   in Loop: Header=BB74_64 Depth=2
	v_subrev_u32_e32 v1, s91, v1
	v_lshlrev_b32_e32 v3, 2, v1
	ds_write_b32 v3, v43 offset:12288
	s_and_saveexec_b64 s[76:77], s[10:11]
	s_cbranch_execz .LBB74_62
; %bb.68:                               ;   in Loop: Header=BB74_64 Depth=2
	v_ashrrev_i32_e32 v21, 31, v20
	v_lshlrev_b64 v[22:23], 4, v[20:21]
	v_mov_b32_e32 v3, s41
	v_add_co_u32_e32 v22, vcc, s40, v22
	v_addc_co_u32_e32 v23, vcc, v3, v23, vcc
	global_load_dwordx4 v[22:25], v[22:23], off
	v_lshlrev_b32_e32 v1, 4, v1
	v_or3_b32 v1, v1, v19, v12
	v_lshlrev_b32_e32 v1, 4, v1
	s_waitcnt vmcnt(0)
	v_mul_f64 v[26:27], v[24:25], -v[6:7]
	v_mul_f64 v[24:25], v[10:11], v[24:25]
	v_fmac_f64_e32 v[26:27], v[10:11], v[22:23]
	v_fmac_f64_e32 v[24:25], v[6:7], v[22:23]
	ds_add_f64 v1, v[26:27]
	ds_add_f64 v1, v[24:25] offset:8
	s_branch .LBB74_62
.LBB74_69:                              ;   in Loop: Header=BB74_15 Depth=1
	s_or_b64 exec, exec, s[74:75]
.LBB74_70:                              ;   in Loop: Header=BB74_15 Depth=1
	s_or_b64 exec, exec, s[72:73]
.LBB74_71:                              ;   in Loop: Header=BB74_15 Depth=1
	s_and_saveexec_b64 s[30:31], s[14:15]
	s_cbranch_execz .LBB74_76
; %bb.72:                               ;   in Loop: Header=BB74_15 Depth=1
	s_mov_b64 s[34:35], exec
	s_brev_b32 s72, -2
.LBB74_73:                              ;   Parent Loop BB74_15 Depth=1
                                        ; =>  This Inner Loop Header: Depth=2
	s_ff1_i32_b64 s73, s[34:35]
	v_readlane_b32 s76, v45, s73
	s_lshl_b64 s[74:75], 1, s73
	s_min_i32 s72, s72, s76
	s_andn2_b64 s[34:35], s[34:35], s[74:75]
	s_cmp_lg_u64 s[34:35], 0
	s_cbranch_scc1 .LBB74_73
; %bb.74:                               ;   in Loop: Header=BB74_15 Depth=1
	v_mbcnt_lo_u32_b32 v1, exec_lo, 0
	v_mbcnt_hi_u32_b32 v1, exec_hi, v1
	v_cmp_eq_u32_e32 vcc, 0, v1
	s_and_saveexec_b64 s[34:35], vcc
	s_xor_b64 s[34:35], exec, s[34:35]
	s_cbranch_execz .LBB74_76
; %bb.75:                               ;   in Loop: Header=BB74_15 Depth=1
	v_mov_b32_e32 v1, s72
	ds_min_i32 v0, v1 offset:12416
.LBB74_76:                              ;   in Loop: Header=BB74_15 Depth=1
	s_or_b64 exec, exec, s[30:31]
	s_waitcnt lgkmcnt(0)
	s_barrier
	ds_read_b32 v1, v31
	s_waitcnt lgkmcnt(0)
	s_barrier
	s_and_saveexec_b64 s[30:31], s[18:19]
	s_cbranch_execz .LBB74_78
; %bb.77:                               ;   in Loop: Header=BB74_15 Depth=1
	ds_read_b32 v2, v32
	s_waitcnt lgkmcnt(0)
	v_add_u32_e32 v1, v2, v1
.LBB74_78:                              ;   in Loop: Header=BB74_15 Depth=1
	s_or_b64 exec, exec, s[30:31]
	s_barrier
	ds_write_b32 v31, v1
	s_waitcnt lgkmcnt(0)
	s_barrier
	s_and_saveexec_b64 s[30:31], s[20:21]
	s_cbranch_execz .LBB74_80
; %bb.79:                               ;   in Loop: Header=BB74_15 Depth=1
	ds_read_b32 v2, v34
	s_waitcnt lgkmcnt(0)
	v_add_u32_e32 v1, v2, v1
.LBB74_80:                              ;   in Loop: Header=BB74_15 Depth=1
	s_or_b64 exec, exec, s[30:31]
	s_barrier
	ds_write_b32 v31, v1
	s_waitcnt lgkmcnt(0)
	s_barrier
	s_and_saveexec_b64 s[30:31], s[22:23]
	s_cbranch_execz .LBB74_82
; %bb.81:                               ;   in Loop: Header=BB74_15 Depth=1
	ds_read_b32 v2, v35
	s_waitcnt lgkmcnt(0)
	v_add_u32_e32 v1, v2, v1
.LBB74_82:                              ;   in Loop: Header=BB74_15 Depth=1
	s_or_b64 exec, exec, s[30:31]
	s_barrier
	ds_write_b32 v31, v1
	s_waitcnt lgkmcnt(0)
	s_barrier
	s_and_saveexec_b64 s[30:31], s[24:25]
	s_cbranch_execz .LBB74_84
; %bb.83:                               ;   in Loop: Header=BB74_15 Depth=1
	ds_read_b32 v2, v36
	s_waitcnt lgkmcnt(0)
	v_add_u32_e32 v1, v2, v1
.LBB74_84:                              ;   in Loop: Header=BB74_15 Depth=1
	s_or_b64 exec, exec, s[30:31]
	s_barrier
	ds_write_b32 v31, v1
	s_waitcnt lgkmcnt(0)
	s_barrier
	s_and_saveexec_b64 s[30:31], s[26:27]
	s_cbranch_execz .LBB74_86
; %bb.85:                               ;   in Loop: Header=BB74_15 Depth=1
	ds_read_b32 v2, v37
	s_waitcnt lgkmcnt(0)
	v_add_u32_e32 v1, v2, v1
.LBB74_86:                              ;   in Loop: Header=BB74_15 Depth=1
	s_or_b64 exec, exec, s[30:31]
	s_barrier
	ds_write_b32 v31, v1
	s_waitcnt lgkmcnt(0)
	s_barrier
	ds_read_b32 v20, v0 offset:12412
	v_mov_b32_e32 v2, 0
	s_and_saveexec_b64 s[30:31], s[16:17]
	s_cbranch_execz .LBB74_88
; %bb.87:                               ;   in Loop: Header=BB74_15 Depth=1
	ds_read_b32 v2, v32
.LBB74_88:                              ;   in Loop: Header=BB74_15 Depth=1
	s_or_b64 exec, exec, s[30:31]
	s_waitcnt lgkmcnt(0)
	v_cmp_eq_u32_e32 vcc, v1, v2
	s_and_b64 s[34:35], s[16:17], vcc
	s_barrier
	s_and_saveexec_b64 s[30:31], s[34:35]
	s_cbranch_execz .LBB74_90
; %bb.89:                               ;   in Loop: Header=BB74_15 Depth=1
	ds_write_b32 v31, v0
.LBB74_90:                              ;   in Loop: Header=BB74_15 Depth=1
	s_or_b64 exec, exec, s[30:31]
	s_waitcnt lgkmcnt(0)
	s_barrier
	s_and_saveexec_b64 s[30:31], s[6:7]
	s_cbranch_execz .LBB74_14
; %bb.91:                               ;   in Loop: Header=BB74_15 Depth=1
	v_add_u32_e32 v1, -1, v42
	s_add_i32 s74, s54, s91
	s_mov_b64 s[34:35], 0
	v_mov_b32_e32 v21, v41
	v_mov_b32_e32 v22, v15
	;; [unrolled: 1-line block ×3, first 2 shown]
	s_branch .LBB74_93
.LBB74_92:                              ;   in Loop: Header=BB74_93 Depth=2
	s_or_b64 exec, exec, s[72:73]
	v_add_u32_e32 v2, 16, v23
	v_cmp_lt_u32_e32 vcc, 15, v23
	v_add_u32_e32 v22, 0x1000, v22
	v_add_u32_e32 v21, 64, v21
	s_or_b64 s[34:35], vcc, s[34:35]
	v_mov_b32_e32 v23, v2
	s_andn2_b64 exec, exec, s[34:35]
	s_cbranch_execz .LBB74_14
.LBB74_93:                              ;   Parent Loop BB74_15 Depth=1
                                        ; =>  This Inner Loop Header: Depth=2
	ds_read_b32 v2, v21
	s_waitcnt lgkmcnt(0)
	v_cmp_ne_u32_e32 vcc, 0, v2
	s_and_saveexec_b64 s[72:73], vcc
	s_cbranch_execz .LBB74_92
; %bb.94:                               ;   in Loop: Header=BB74_93 Depth=2
	v_add_u32_e32 v2, v1, v2
	v_ashrrev_i32_e32 v3, 31, v2
	v_lshlrev_b64 v[24:25], 2, v[2:3]
	v_mov_b32_e32 v3, s61
	v_add_co_u32_e32 v24, vcc, s60, v24
	v_add_u32_e32 v26, s74, v23
	v_addc_co_u32_e32 v25, vcc, v3, v25, vcc
	global_store_dword v[24:25], v26, off
	s_and_b64 exec, exec, s[10:11]
	s_cbranch_execz .LBB74_92
; %bb.95:                               ;   in Loop: Header=BB74_93 Depth=2
	v_mad_u64_u32 v[2:3], s[76:77], v2, s58, v[16:17]
	v_mad_u64_u32 v[2:3], s[76:77], v2, s58, v[18:19]
	ds_read2_b64 v[24:27], v22 offset1:1
	v_ashrrev_i32_e32 v3, 31, v2
	v_lshlrev_b64 v[2:3], 4, v[2:3]
	v_mov_b32_e32 v28, s63
	v_add_co_u32_e32 v2, vcc, s62, v2
	v_addc_co_u32_e32 v3, vcc, v28, v3, vcc
	s_waitcnt lgkmcnt(0)
	global_store_dwordx4 v[2:3], v[24:27], off
	s_branch .LBB74_92
.LBB74_96:
	s_endpgm
	.section	.rodata,"a",@progbits
	.p2align	6, 0x0
	.amdhsa_kernel _ZN9rocsparseL38bsrgemm_block_per_row_atomic_multipassILj256ELj32ELj4Eii21rocsparse_complex_numIdEEEv20rocsparse_direction_T3_S4_PKS4_S6_NS_24const_host_device_scalarIT4_EEPKT2_S6_PKS8_SC_S6_SE_S9_SC_S6_SE_SC_PS4_PS8_PSA_21rocsparse_index_base_SI_SI_SI_bbb
		.amdhsa_group_segment_fixed_size 12424
		.amdhsa_private_segment_fixed_size 24
		.amdhsa_kernarg_size 188
		.amdhsa_user_sgpr_count 8
		.amdhsa_user_sgpr_private_segment_buffer 1
		.amdhsa_user_sgpr_dispatch_ptr 0
		.amdhsa_user_sgpr_queue_ptr 0
		.amdhsa_user_sgpr_kernarg_segment_ptr 1
		.amdhsa_user_sgpr_dispatch_id 0
		.amdhsa_user_sgpr_flat_scratch_init 1
		.amdhsa_user_sgpr_kernarg_preload_length 0
		.amdhsa_user_sgpr_kernarg_preload_offset 0
		.amdhsa_user_sgpr_private_segment_size 0
		.amdhsa_uses_dynamic_stack 0
		.amdhsa_system_sgpr_private_segment_wavefront_offset 1
		.amdhsa_system_sgpr_workgroup_id_x 1
		.amdhsa_system_sgpr_workgroup_id_y 0
		.amdhsa_system_sgpr_workgroup_id_z 0
		.amdhsa_system_sgpr_workgroup_info 0
		.amdhsa_system_vgpr_workitem_id 0
		.amdhsa_next_free_vgpr 56
		.amdhsa_next_free_sgpr 94
		.amdhsa_accum_offset 56
		.amdhsa_reserve_vcc 1
		.amdhsa_reserve_flat_scratch 1
		.amdhsa_float_round_mode_32 0
		.amdhsa_float_round_mode_16_64 0
		.amdhsa_float_denorm_mode_32 3
		.amdhsa_float_denorm_mode_16_64 3
		.amdhsa_dx10_clamp 1
		.amdhsa_ieee_mode 1
		.amdhsa_fp16_overflow 0
		.amdhsa_tg_split 0
		.amdhsa_exception_fp_ieee_invalid_op 0
		.amdhsa_exception_fp_denorm_src 0
		.amdhsa_exception_fp_ieee_div_zero 0
		.amdhsa_exception_fp_ieee_overflow 0
		.amdhsa_exception_fp_ieee_underflow 0
		.amdhsa_exception_fp_ieee_inexact 0
		.amdhsa_exception_int_div_zero 0
	.end_amdhsa_kernel
	.section	.text._ZN9rocsparseL38bsrgemm_block_per_row_atomic_multipassILj256ELj32ELj4Eii21rocsparse_complex_numIdEEEv20rocsparse_direction_T3_S4_PKS4_S6_NS_24const_host_device_scalarIT4_EEPKT2_S6_PKS8_SC_S6_SE_S9_SC_S6_SE_SC_PS4_PS8_PSA_21rocsparse_index_base_SI_SI_SI_bbb,"axG",@progbits,_ZN9rocsparseL38bsrgemm_block_per_row_atomic_multipassILj256ELj32ELj4Eii21rocsparse_complex_numIdEEEv20rocsparse_direction_T3_S4_PKS4_S6_NS_24const_host_device_scalarIT4_EEPKT2_S6_PKS8_SC_S6_SE_S9_SC_S6_SE_SC_PS4_PS8_PSA_21rocsparse_index_base_SI_SI_SI_bbb,comdat
.Lfunc_end74:
	.size	_ZN9rocsparseL38bsrgemm_block_per_row_atomic_multipassILj256ELj32ELj4Eii21rocsparse_complex_numIdEEEv20rocsparse_direction_T3_S4_PKS4_S6_NS_24const_host_device_scalarIT4_EEPKT2_S6_PKS8_SC_S6_SE_S9_SC_S6_SE_SC_PS4_PS8_PSA_21rocsparse_index_base_SI_SI_SI_bbb, .Lfunc_end74-_ZN9rocsparseL38bsrgemm_block_per_row_atomic_multipassILj256ELj32ELj4Eii21rocsparse_complex_numIdEEEv20rocsparse_direction_T3_S4_PKS4_S6_NS_24const_host_device_scalarIT4_EEPKT2_S6_PKS8_SC_S6_SE_S9_SC_S6_SE_SC_PS4_PS8_PSA_21rocsparse_index_base_SI_SI_SI_bbb
                                        ; -- End function
	.section	.AMDGPU.csdata,"",@progbits
; Kernel info:
; codeLenInByte = 3216
; NumSgprs: 100
; NumVgprs: 56
; NumAgprs: 0
; TotalNumVgprs: 56
; ScratchSize: 24
; MemoryBound: 0
; FloatMode: 240
; IeeeMode: 1
; LDSByteSize: 12424 bytes/workgroup (compile time only)
; SGPRBlocks: 12
; VGPRBlocks: 6
; NumSGPRsForWavesPerEU: 100
; NumVGPRsForWavesPerEU: 56
; AccumOffset: 56
; Occupancy: 5
; WaveLimiterHint : 1
; COMPUTE_PGM_RSRC2:SCRATCH_EN: 1
; COMPUTE_PGM_RSRC2:USER_SGPR: 8
; COMPUTE_PGM_RSRC2:TRAP_HANDLER: 0
; COMPUTE_PGM_RSRC2:TGID_X_EN: 1
; COMPUTE_PGM_RSRC2:TGID_Y_EN: 0
; COMPUTE_PGM_RSRC2:TGID_Z_EN: 0
; COMPUTE_PGM_RSRC2:TIDIG_COMP_CNT: 0
; COMPUTE_PGM_RSRC3_GFX90A:ACCUM_OFFSET: 13
; COMPUTE_PGM_RSRC3_GFX90A:TG_SPLIT: 0
	.section	.text._ZN9rocsparseL38bsrgemm_block_per_row_atomic_multipassILj256ELj64ELj4Eii21rocsparse_complex_numIdEEEv20rocsparse_direction_T3_S4_PKS4_S6_NS_24const_host_device_scalarIT4_EEPKT2_S6_PKS8_SC_S6_SE_S9_SC_S6_SE_SC_PS4_PS8_PSA_21rocsparse_index_base_SI_SI_SI_bbb,"axG",@progbits,_ZN9rocsparseL38bsrgemm_block_per_row_atomic_multipassILj256ELj64ELj4Eii21rocsparse_complex_numIdEEEv20rocsparse_direction_T3_S4_PKS4_S6_NS_24const_host_device_scalarIT4_EEPKT2_S6_PKS8_SC_S6_SE_S9_SC_S6_SE_SC_PS4_PS8_PSA_21rocsparse_index_base_SI_SI_SI_bbb,comdat
	.globl	_ZN9rocsparseL38bsrgemm_block_per_row_atomic_multipassILj256ELj64ELj4Eii21rocsparse_complex_numIdEEEv20rocsparse_direction_T3_S4_PKS4_S6_NS_24const_host_device_scalarIT4_EEPKT2_S6_PKS8_SC_S6_SE_S9_SC_S6_SE_SC_PS4_PS8_PSA_21rocsparse_index_base_SI_SI_SI_bbb ; -- Begin function _ZN9rocsparseL38bsrgemm_block_per_row_atomic_multipassILj256ELj64ELj4Eii21rocsparse_complex_numIdEEEv20rocsparse_direction_T3_S4_PKS4_S6_NS_24const_host_device_scalarIT4_EEPKT2_S6_PKS8_SC_S6_SE_S9_SC_S6_SE_SC_PS4_PS8_PSA_21rocsparse_index_base_SI_SI_SI_bbb
	.p2align	8
	.type	_ZN9rocsparseL38bsrgemm_block_per_row_atomic_multipassILj256ELj64ELj4Eii21rocsparse_complex_numIdEEEv20rocsparse_direction_T3_S4_PKS4_S6_NS_24const_host_device_scalarIT4_EEPKT2_S6_PKS8_SC_S6_SE_S9_SC_S6_SE_SC_PS4_PS8_PSA_21rocsparse_index_base_SI_SI_SI_bbb,@function
_ZN9rocsparseL38bsrgemm_block_per_row_atomic_multipassILj256ELj64ELj4Eii21rocsparse_complex_numIdEEEv20rocsparse_direction_T3_S4_PKS4_S6_NS_24const_host_device_scalarIT4_EEPKT2_S6_PKS8_SC_S6_SE_S9_SC_S6_SE_SC_PS4_PS8_PSA_21rocsparse_index_base_SI_SI_SI_bbb: ; @_ZN9rocsparseL38bsrgemm_block_per_row_atomic_multipassILj256ELj64ELj4Eii21rocsparse_complex_numIdEEEv20rocsparse_direction_T3_S4_PKS4_S6_NS_24const_host_device_scalarIT4_EEPKT2_S6_PKS8_SC_S6_SE_S9_SC_S6_SE_SC_PS4_PS8_PSA_21rocsparse_index_base_SI_SI_SI_bbb
; %bb.0:
	s_add_u32 flat_scratch_lo, s6, s9
	s_addc_u32 flat_scratch_hi, s7, 0
	s_load_dwordx4 s[16:19], s[4:5], 0x20
	s_load_dwordx4 s[12:15], s[4:5], 0x60
	s_add_u32 s0, s0, s9
	s_load_dword s9, s[4:5], 0xb8
	s_load_dwordx4 s[52:55], s[4:5], 0xa8
	s_addc_u32 s1, s1, 0
	s_waitcnt lgkmcnt(0)
	v_mov_b32_e32 v1, s17
	buffer_store_dword v1, off, s[0:3], 0 offset:4
	s_bitcmp1_b32 s9, 0
	s_cselect_b64 s[28:29], -1, 0
	s_bitcmp1_b32 s9, 16
	v_mov_b32_e32 v1, s16
	s_cselect_b64 s[6:7], -1, 0
	buffer_store_dword v1, off, s[0:3], 0
	v_mov_b32_e32 v1, s13
	buffer_store_dword v1, off, s[0:3], 0 offset:12
	v_mov_b32_e32 v1, s12
	s_xor_b64 s[10:11], s[6:7], -1
	buffer_store_dword v1, off, s[0:3], 0 offset:8
	v_pk_mov_b32 v[6:7], 0, 0
	v_cndmask_b32_e64 v1, 0, 1, s[10:11]
	s_bitcmp0_b32 s9, 0
	v_cmp_ne_u32_e64 s[10:11], 1, v1
	v_pk_mov_b32 v[4:5], v[6:7], v[6:7] op_sel:[0,1]
	v_pk_mov_b32 v[8:9], v[6:7], v[6:7] op_sel:[0,1]
	s_cbranch_scc1 .LBB75_3
; %bb.1:
	s_mov_b64 s[20:21], src_private_base
	s_and_b64 s[22:23], s[6:7], exec
	s_cselect_b32 s20, s21, s17
	v_mov_b32_e32 v1, 0
	v_mov_b32_e32 v2, s16
	v_cndmask_b32_e64 v2, v2, v1, s[6:7]
	v_mov_b32_e32 v3, s20
	flat_load_dwordx2 v[4:5], v[2:3]
	s_and_b64 vcc, exec, s[10:11]
	v_pk_mov_b32 v[8:9], s[18:19], s[18:19] op_sel:[0,1]
	s_cbranch_vccnz .LBB75_3
; %bb.2:
	v_pk_mov_b32 v[2:3], s[16:17], s[16:17] op_sel:[0,1]
	flat_load_dwordx2 v[8:9], v[2:3] offset:8
.LBB75_3:
	s_load_dwordx2 s[16:17], s[4:5], 0x18
	s_bitcmp1_b32 s9, 8
	s_cselect_b64 s[64:65], -1, 0
	s_bfe_u32 s9, s9, 0x10008
	s_cmp_eq_u32 s9, 0
	v_pk_mov_b32 v[10:11], v[6:7], v[6:7] op_sel:[0,1]
	s_cbranch_scc1 .LBB75_6
; %bb.4:
	s_mov_b64 s[18:19], src_private_base
	s_and_b64 s[20:21], s[6:7], exec
	s_cselect_b32 s9, s19, s13
	v_mov_b32_e32 v1, 8
	v_mov_b32_e32 v2, s12
	v_cndmask_b32_e64 v2, v2, v1, s[6:7]
	v_mov_b32_e32 v3, s9
	flat_load_dwordx2 v[10:11], v[2:3]
	s_and_b64 vcc, exec, s[10:11]
	v_pk_mov_b32 v[6:7], s[14:15], s[14:15] op_sel:[0,1]
	s_cbranch_vccnz .LBB75_6
; %bb.5:
	v_pk_mov_b32 v[2:3], s[12:13], s[12:13] op_sel:[0,1]
	flat_load_dwordx2 v[6:7], v[2:3] offset:8
.LBB75_6:
	s_load_dwordx2 s[10:11], s[4:5], 0x30
	s_waitcnt lgkmcnt(0)
	s_cmp_eq_u64 s[16:17], 0
	s_cbranch_scc1 .LBB75_8
; %bb.7:
	s_load_dwordx2 s[6:7], s[4:5], 0x10
	s_waitcnt lgkmcnt(0)
	s_load_dword s6, s[6:7], 0x0
	s_mov_b32 s7, 0
	s_waitcnt lgkmcnt(0)
	s_add_i32 s6, s6, s8
	s_lshl_b64 s[6:7], s[6:7], 2
	s_add_u32 s6, s16, s6
	s_addc_u32 s7, s17, s7
	s_load_dword s8, s[6:7], 0x0
.LBB75_8:
	v_cndmask_b32_e64 v1, 0, 1, s[28:29]
	s_mov_b32 s33, 0
	v_cmp_ne_u32_e64 s[6:7], 1, v1
	s_andn2_b64 vcc, exec, s[28:29]
	s_mov_b32 s86, 0
	s_cbranch_vccz .LBB75_11
; %bb.9:
	s_and_b64 vcc, exec, s[6:7]
	s_cbranch_vccz .LBB75_12
.LBB75_10:
	s_load_dwordx4 s[56:59], s[4:5], 0x0
	s_waitcnt lgkmcnt(0)
	s_cmp_lt_i32 s57, 1
	s_cbranch_scc0 .LBB75_13
	s_branch .LBB75_96
.LBB75_11:
	s_waitcnt lgkmcnt(0)
	s_ashr_i32 s9, s8, 31
	s_lshl_b64 s[12:13], s[8:9], 2
	s_add_u32 s12, s10, s12
	s_addc_u32 s13, s11, s13
	s_load_dword s9, s[12:13], 0x0
	s_waitcnt lgkmcnt(0)
	s_sub_i32 s86, s9, s52
	s_and_b64 vcc, exec, s[6:7]
	s_cbranch_vccnz .LBB75_10
.LBB75_12:
	s_waitcnt lgkmcnt(0)
	s_ashr_i32 s9, s8, 31
	s_lshl_b64 s[6:7], s[8:9], 2
	s_add_u32 s6, s10, s6
	s_addc_u32 s7, s11, s7
	s_load_dword s6, s[6:7], 0x4
	s_waitcnt lgkmcnt(0)
	s_sub_i32 s33, s6, s52
	s_load_dwordx4 s[56:59], s[4:5], 0x0
	s_waitcnt lgkmcnt(0)
	s_cmp_lt_i32 s57, 1
	s_cbranch_scc1 .LBB75_96
.LBB75_13:
	s_load_dwordx2 s[66:67], s[4:5], 0xa0
	s_load_dwordx4 s[60:63], s[4:5], 0x90
	s_load_dwordx8 s[36:43], s[4:5], 0x70
	s_load_dwordx2 s[68:69], s[4:5], 0x58
	s_load_dwordx8 s[44:51], s[4:5], 0x38
	s_ashr_i32 s9, s8, 31
	s_lshl_b64 s[12:13], s[8:9], 2
	s_waitcnt lgkmcnt(0)
	s_add_u32 s4, s42, s12
	s_addc_u32 s5, s43, s13
	s_load_dword s4, s[4:5], 0x0
	v_and_b32_e32 v1, 15, v0
	v_and_b32_e32 v12, 3, v0
	v_bfe_u32 v14, v0, 2, 2
	v_lshrrev_b32_e32 v13, 4, v0
	s_waitcnt lgkmcnt(0)
	s_sub_i32 s70, s4, s54
	s_cmp_lt_i32 s86, s33
	s_cselect_b64 s[30:31], -1, 0
	s_cmp_eq_u32 s56, 0
	s_cselect_b64 vcc, -1, 0
	s_cmp_lg_u32 s56, 0
	s_cselect_b64 s[42:43], -1, 0
	s_cmp_gt_i32 s58, 0
	s_cselect_b64 s[34:35], -1, 0
	s_add_u32 s36, s36, s12
	v_max_i32_e32 v2, v12, v14
	s_addc_u32 s37, s37, s13
	v_cmp_eq_u32_e64 s[12:13], 15, v1
	v_and_b32_e32 v1, 63, v0
	v_mov_b32_e32 v20, 0x5000
	v_cmp_gt_u32_e64 s[4:5], 64, v0
	v_cmp_eq_u32_e64 s[6:7], 0, v0
	v_cmp_gt_i32_e64 s[8:9], s58, v2
	v_cmp_le_i32_e64 s[10:11], s58, v2
	v_lshlrev_b32_e32 v15, 4, v0
	s_movk_i32 s71, 0x4000
	v_and_b32_e32 v19, 12, v0
	v_lshlrev_b32_e32 v2, 2, v1
	v_add_co_u32_e64 v3, s[14:15], -1, v1
	v_lshl_or_b32 v35, v0, 2, v20
	v_cmp_ne_u32_e64 s[16:17], 0, v1
	v_cmp_lt_u32_e64 s[18:19], 1, v1
	v_cmp_lt_u32_e64 s[20:21], 3, v1
	;; [unrolled: 1-line block ×5, first 2 shown]
	v_or_b32_e32 v41, 0xffffff00, v0
	v_lshlrev_b32_e32 v0, 8, v13
	v_lshlrev_b32_e32 v1, 4, v14
	s_and_b64 s[28:29], s[28:29], s[30:31]
	v_or3_b32 v42, v0, v1, s71
	v_and_b32_e32 v0, 0xfc0, v15
	v_lshl_add_u32 v34, v3, 2, v20
	s_add_u32 s56, s48, 4
	s_mul_i32 s87, s58, s58
	v_or_b32_e32 v43, 0x4000, v0
	v_lshl_or_b32 v44, v13, 2, v20
	v_mov_b32_e32 v0, 0
	v_cndmask_b32_e64 v20, 0, 1, s[28:29]
	s_mov_b32 s90, 0
	v_or_b32_e32 v17, 0x4000, v15
	v_subrev_u32_e32 v32, s55, v13
	v_or_b32_e32 v33, 0x5000, v2
	v_add_u32_e32 v36, 0x4ff8, v2
	v_add_u32_e32 v37, 0x4ff0, v2
	;; [unrolled: 1-line block ×5, first 2 shown]
	v_cndmask_b32_e32 v16, v12, v14, vcc
	v_cndmask_b32_e32 v18, v14, v12, vcc
	s_addc_u32 s59, s49, 0
	s_lshl_b32 s88, s87, 4
	v_mov_b32_e32 v49, 64
	v_mov_b32_e32 v45, s70
	;; [unrolled: 1-line block ×5, first 2 shown]
	s_movk_i32 s89, 0x2ff
	v_cmp_ne_u32_e64 s[28:29], 1, v20
	v_mov_b32_e32 v46, 1
	v_cndmask_b32_e64 v47, 0, 1, s[34:35]
	v_mov_b32_e32 v48, s69
	s_branch .LBB75_15
.LBB75_14:                              ;   in Loop: Header=BB75_15 Depth=1
	s_or_b64 exec, exec, s[30:31]
	s_barrier
	ds_read_b32 v20, v0 offset:20736
	v_add_u32_e32 v45, v22, v45
	s_waitcnt lgkmcnt(0)
	s_barrier
	v_cmp_le_i32_e32 vcc, s57, v20
	v_readfirstlane_b32 s90, v20
	v_add_u32_e32 v49, 64, v20
	s_cbranch_vccnz .LBB75_96
.LBB75_15:                              ; =>This Loop Header: Depth=1
                                        ;     Child Loop BB75_18 Depth 2
                                        ;     Child Loop BB75_24 Depth 2
                                        ;       Child Loop BB75_38 Depth 3
                                        ;         Child Loop BB75_47 Depth 4
                                        ;         Child Loop BB75_52 Depth 4
                                        ;     Child Loop BB75_63 Depth 2
                                        ;     Child Loop BB75_72 Depth 2
	;; [unrolled: 1-line block ×3, first 2 shown]
	s_and_saveexec_b64 s[30:31], s[4:5]
	s_cbranch_execz .LBB75_17
; %bb.16:                               ;   in Loop: Header=BB75_15 Depth=1
	ds_write_b32 v35, v0
.LBB75_17:                              ;   in Loop: Header=BB75_15 Depth=1
	s_or_b64 exec, exec, s[30:31]
	s_mov_b64 s[30:31], 0
	v_mov_b32_e32 v20, v15
	v_mov_b32_e32 v21, v41
.LBB75_18:                              ;   Parent Loop BB75_15 Depth=1
                                        ; =>  This Inner Loop Header: Depth=2
	v_add_u32_e32 v21, 0x100, v21
	v_cmp_lt_u32_e32 vcc, s89, v21
	ds_write_b128 v20, v[0:3]
	s_or_b64 s[30:31], vcc, s[30:31]
	v_add_u32_e32 v20, 0x1000, v20
	s_andn2_b64 exec, exec, s[30:31]
	s_cbranch_execnz .LBB75_18
; %bb.19:                               ;   in Loop: Header=BB75_15 Depth=1
	s_or_b64 exec, exec, s[30:31]
	s_and_saveexec_b64 s[30:31], s[6:7]
	s_cbranch_execz .LBB75_21
; %bb.20:                               ;   in Loop: Header=BB75_15 Depth=1
	v_mov_b32_e32 v20, s57
	ds_write_b32 v0, v20 offset:20736
.LBB75_21:                              ;   in Loop: Header=BB75_15 Depth=1
	s_or_b64 exec, exec, s[30:31]
	s_and_b64 vcc, exec, s[28:29]
	v_mov_b32_e32 v50, s57
	s_waitcnt lgkmcnt(0)
	s_barrier
	s_cbranch_vccnz .LBB75_58
; %bb.22:                               ;   in Loop: Header=BB75_15 Depth=1
	s_cmp_lg_u32 s90, 0
	s_cselect_b64 s[70:71], -1, 0
	v_mov_b32_e32 v50, s57
	s_mov_b32 s69, s86
	s_branch .LBB75_24
.LBB75_23:                              ;   in Loop: Header=BB75_24 Depth=2
	s_or_b64 exec, exec, s[34:35]
	s_add_i32 s69, s69, 16
	s_cmp_lt_i32 s69, s33
	s_cbranch_scc0 .LBB75_58
.LBB75_24:                              ;   Parent Loop BB75_15 Depth=1
                                        ; =>  This Loop Header: Depth=2
                                        ;       Child Loop BB75_38 Depth 3
                                        ;         Child Loop BB75_47 Depth 4
                                        ;         Child Loop BB75_52 Depth 4
	v_add_u32_e32 v20, s69, v13
	v_cmp_gt_i32_e64 s[30:31], s33, v20
	s_barrier
	s_and_saveexec_b64 s[34:35], s[30:31]
	s_cbranch_execz .LBB75_29
; %bb.25:                               ;   in Loop: Header=BB75_24 Depth=2
	s_and_saveexec_b64 s[72:73], s[10:11]
	s_xor_b64 s[72:73], exec, s[72:73]
	s_cbranch_execz .LBB75_27
; %bb.26:                               ;   in Loop: Header=BB75_24 Depth=2
	ds_write_b128 v17, v[0:3]
.LBB75_27:                              ;   in Loop: Header=BB75_24 Depth=2
	s_andn2_saveexec_b64 s[72:73], s[72:73]
	s_cbranch_execz .LBB75_29
; %bb.28:                               ;   in Loop: Header=BB75_24 Depth=2
	v_mad_u64_u32 v[22:23], s[72:73], v20, s58, v[14:15]
	v_mad_u64_u32 v[22:23], s[72:73], v22, s58, v[12:13]
	v_ashrrev_i32_e32 v23, 31, v22
	v_lshlrev_b64 v[22:23], 4, v[22:23]
	v_mov_b32_e32 v21, s47
	v_add_co_u32_e32 v22, vcc, s46, v22
	v_addc_co_u32_e32 v23, vcc, v21, v23, vcc
	global_load_dwordx4 v[22:25], v[22:23], off
	s_waitcnt vmcnt(0)
	ds_write2_b64 v17, v[22:23], v[24:25] offset1:1
.LBB75_29:                              ;   in Loop: Header=BB75_24 Depth=2
	s_or_b64 exec, exec, s[34:35]
	v_mov_b32_e32 v51, 0
	s_waitcnt lgkmcnt(0)
	s_barrier
	s_and_saveexec_b64 s[72:73], s[30:31]
	s_cbranch_execz .LBB75_55
; %bb.30:                               ;   in Loop: Header=BB75_24 Depth=2
	v_ashrrev_i32_e32 v21, 31, v20
	v_lshlrev_b64 v[24:25], 2, v[20:21]
	v_mov_b32_e32 v21, s45
	v_add_co_u32_e32 v22, vcc, s44, v24
	v_addc_co_u32_e32 v23, vcc, v21, v25, vcc
	global_load_dword v21, v[22:23], off
	s_and_b64 vcc, exec, s[70:71]
	s_waitcnt vmcnt(0)
	v_subrev_u32_e32 v22, s52, v21
	v_ashrrev_i32_e32 v23, 31, v22
	s_cbranch_vccz .LBB75_57
; %bb.31:                               ;   in Loop: Header=BB75_24 Depth=2
	v_mov_b32_e32 v21, s67
	v_add_co_u32_e32 v24, vcc, s66, v24
	v_addc_co_u32_e32 v25, vcc, v21, v25, vcc
	global_load_dword v51, v[24:25], off
	s_cbranch_execnz .LBB75_33
.LBB75_32:                              ;   in Loop: Header=BB75_24 Depth=2
	v_lshlrev_b64 v[24:25], 2, v[22:23]
	v_mov_b32_e32 v21, s49
	v_add_co_u32_e32 v24, vcc, s48, v24
	v_addc_co_u32_e32 v25, vcc, v21, v25, vcc
	global_load_dword v21, v[24:25], off
	s_waitcnt vmcnt(0)
	v_subrev_u32_e32 v51, s53, v21
.LBB75_33:                              ;   in Loop: Header=BB75_24 Depth=2
	v_lshlrev_b64 v[22:23], 2, v[22:23]
	v_mov_b32_e32 v21, s59
	v_add_co_u32_e32 v22, vcc, s56, v22
	v_addc_co_u32_e32 v23, vcc, v21, v23, vcc
	global_load_dword v21, v[22:23], off
	s_waitcnt vmcnt(0)
	v_subrev_u32_e32 v21, s53, v21
	v_cmp_lt_i32_e32 vcc, v51, v21
	s_and_saveexec_b64 s[74:75], vcc
	s_cbranch_execz .LBB75_54
; %bb.34:                               ;   in Loop: Header=BB75_24 Depth=2
	v_mad_u64_u32 v[22:23], s[34:35], s58, v51, v[12:13]
	v_mul_lo_u32 v52, s58, v22
	v_mad_u64_u32 v[22:23], s[34:35], s87, v51, v[12:13]
	s_mov_b64 s[76:77], 0
	v_mov_b32_e32 v24, v51
	s_branch .LBB75_38
.LBB75_35:                              ;   in Loop: Header=BB75_38 Depth=3
	v_lshlrev_b32_e32 v23, 4, v23
	v_or3_b32 v23, v23, v19, v12
	v_mul_f64 v[30:31], v[28:29], -v[8:9]
	v_lshlrev_b32_e32 v23, 4, v23
	v_fmac_f64_e32 v[30:31], v[4:5], v[26:27]
	v_mul_f64 v[28:29], v[4:5], v[28:29]
	v_fmac_f64_e32 v[28:29], v[8:9], v[26:27]
	ds_add_f64 v23, v[30:31]
	ds_add_f64 v23, v[28:29] offset:8
.LBB75_36:                              ;   in Loop: Header=BB75_38 Depth=3
	s_or_b64 exec, exec, s[82:83]
	s_or_b64 s[78:79], s[78:79], exec
.LBB75_37:                              ;   in Loop: Header=BB75_38 Depth=3
	s_or_b64 exec, exec, s[80:81]
	v_add_u32_e32 v24, 1, v24
	v_cmp_ge_i32_e32 vcc, v24, v21
	s_xor_b64 s[34:35], s[78:79], -1
	s_or_b64 s[34:35], s[34:35], vcc
	s_and_b64 s[34:35], exec, s[34:35]
	v_add_u32_e32 v52, s87, v52
	s_or_b64 s[76:77], s[34:35], s[76:77]
	v_add_u32_e32 v22, s87, v22
	s_andn2_b64 exec, exec, s[76:77]
	s_cbranch_execz .LBB75_53
.LBB75_38:                              ;   Parent Loop BB75_15 Depth=1
                                        ;     Parent Loop BB75_24 Depth=2
                                        ; =>    This Loop Header: Depth=3
                                        ;         Child Loop BB75_47 Depth 4
                                        ;         Child Loop BB75_52 Depth 4
	v_ashrrev_i32_e32 v25, 31, v24
	v_lshlrev_b64 v[26:27], 2, v[24:25]
	v_mov_b32_e32 v23, s51
	v_add_co_u32_e32 v26, vcc, s50, v26
	v_addc_co_u32_e32 v27, vcc, v23, v27, vcc
	global_load_dword v23, v[26:27], off
                                        ; implicit-def: $sgpr78_sgpr79
	s_waitcnt vmcnt(0)
	v_subrev_u32_e32 v23, s53, v23
	v_cmp_gt_i32_e64 s[34:35], s90, v23
	v_cmp_ge_i32_e32 vcc, v23, v49
	s_or_b64 s[34:35], s[34:35], vcc
	s_and_saveexec_b64 s[80:81], s[34:35]
	s_xor_b64 s[34:35], exec, s[80:81]
	s_cbranch_execz .LBB75_42
; %bb.39:                               ;   in Loop: Header=BB75_38 Depth=3
	s_mov_b64 s[78:79], -1
	s_and_saveexec_b64 s[80:81], vcc
; %bb.40:                               ;   in Loop: Header=BB75_38 Depth=3
	v_min_i32_e32 v50, v23, v50
	s_xor_b64 s[78:79], exec, -1
	v_mov_b32_e32 v51, v24
; %bb.41:                               ;   in Loop: Header=BB75_38 Depth=3
	s_or_b64 exec, exec, s[80:81]
	s_and_b64 s[78:79], s[78:79], exec
                                        ; implicit-def: $vgpr23
.LBB75_42:                              ;   in Loop: Header=BB75_38 Depth=3
	s_andn2_saveexec_b64 s[80:81], s[34:35]
	s_cbranch_execz .LBB75_37
; %bb.43:                               ;   in Loop: Header=BB75_38 Depth=3
	v_subrev_u32_e32 v23, s90, v23
	v_lshlrev_b32_e32 v25, 2, v23
	ds_write_b32 v25, v46 offset:20480
	s_and_saveexec_b64 s[82:83], s[8:9]
	s_cbranch_execz .LBB75_36
; %bb.44:                               ;   in Loop: Header=BB75_38 Depth=3
	s_andn2_b64 vcc, exec, s[42:43]
	v_cmp_ne_u32_e64 s[34:35], 1, v47
	s_cbranch_vccnz .LBB75_49
; %bb.45:                               ;   in Loop: Header=BB75_38 Depth=3
	v_pk_mov_b32 v[26:27], 0, 0
	s_mov_b64 s[84:85], 0
	s_and_b64 vcc, exec, s[34:35]
	v_pk_mov_b32 v[28:29], v[26:27], v[26:27] op_sel:[0,1]
	s_cbranch_vccnz .LBB75_48
; %bb.46:                               ;   in Loop: Header=BB75_38 Depth=3
	v_pk_mov_b32 v[26:27], 0, 0
	v_mov_b32_e32 v30, v52
	s_mov_b32 s91, s58
	v_mov_b32_e32 v25, v42
	v_pk_mov_b32 v[28:29], v[26:27], v[26:27] op_sel:[0,1]
.LBB75_47:                              ;   Parent Loop BB75_15 Depth=1
                                        ;     Parent Loop BB75_24 Depth=2
                                        ;       Parent Loop BB75_38 Depth=3
                                        ; =>      This Inner Loop Header: Depth=4
	v_ashrrev_i32_e32 v31, 31, v30
	v_lshlrev_b64 v[54:55], 4, v[30:31]
	v_add_co_u32_e32 v54, vcc, s68, v54
	v_addc_co_u32_e32 v55, vcc, v48, v55, vcc
	global_load_dwordx4 v[54:57], v[54:55], off
	ds_read_b128 v[58:61], v25
	s_add_i32 s91, s91, -1
	v_add_u32_e32 v25, 64, v25
	v_add_u32_e32 v30, 1, v30
	s_cmp_lg_u32 s91, 0
	s_waitcnt vmcnt(0) lgkmcnt(0)
	v_fmac_f64_e32 v[26:27], v[58:59], v[54:55]
	v_fmac_f64_e32 v[28:29], v[60:61], v[54:55]
	v_fma_f64 v[26:27], -v[60:61], v[56:57], v[26:27]
	v_fmac_f64_e32 v[28:29], v[58:59], v[56:57]
	s_cbranch_scc1 .LBB75_47
.LBB75_48:                              ;   in Loop: Header=BB75_38 Depth=3
	s_andn2_b64 vcc, exec, s[84:85]
	s_cbranch_vccnz .LBB75_35
	s_branch .LBB75_50
.LBB75_49:                              ;   in Loop: Header=BB75_38 Depth=3
                                        ; implicit-def: $vgpr26_vgpr27
                                        ; implicit-def: $vgpr28_vgpr29
.LBB75_50:                              ;   in Loop: Header=BB75_38 Depth=3
	v_pk_mov_b32 v[26:27], 0, 0
	s_and_b64 vcc, exec, s[34:35]
	v_pk_mov_b32 v[28:29], v[26:27], v[26:27] op_sel:[0,1]
	s_cbranch_vccnz .LBB75_35
; %bb.51:                               ;   in Loop: Header=BB75_38 Depth=3
	v_pk_mov_b32 v[26:27], 0, 0
	v_mov_b32_e32 v25, v43
	v_mov_b32_e32 v30, v22
	s_mov_b32 s34, s58
	v_pk_mov_b32 v[28:29], v[26:27], v[26:27] op_sel:[0,1]
.LBB75_52:                              ;   Parent Loop BB75_15 Depth=1
                                        ;     Parent Loop BB75_24 Depth=2
                                        ;       Parent Loop BB75_38 Depth=3
                                        ; =>      This Inner Loop Header: Depth=4
	v_ashrrev_i32_e32 v31, 31, v30
	v_lshlrev_b64 v[54:55], 4, v[30:31]
	v_add_co_u32_e32 v54, vcc, s68, v54
	v_addc_co_u32_e32 v55, vcc, v48, v55, vcc
	global_load_dwordx4 v[54:57], v[54:55], off
	ds_read_b128 v[58:61], v25
	s_add_i32 s34, s34, -1
	v_add_u32_e32 v25, 16, v25
	v_add_u32_e32 v30, s58, v30
	s_cmp_eq_u32 s34, 0
	s_waitcnt vmcnt(0) lgkmcnt(0)
	v_fmac_f64_e32 v[26:27], v[58:59], v[54:55]
	v_fmac_f64_e32 v[28:29], v[60:61], v[54:55]
	v_fma_f64 v[26:27], -v[60:61], v[56:57], v[26:27]
	v_fmac_f64_e32 v[28:29], v[58:59], v[56:57]
	s_cbranch_scc0 .LBB75_52
	s_branch .LBB75_35
.LBB75_53:                              ;   in Loop: Header=BB75_24 Depth=2
	s_or_b64 exec, exec, s[76:77]
.LBB75_54:                              ;   in Loop: Header=BB75_24 Depth=2
	s_or_b64 exec, exec, s[74:75]
.LBB75_55:                              ;   in Loop: Header=BB75_24 Depth=2
	s_or_b64 exec, exec, s[72:73]
	s_waitcnt lgkmcnt(0)
	s_barrier
	s_and_saveexec_b64 s[34:35], s[30:31]
	s_cbranch_execz .LBB75_23
; %bb.56:                               ;   in Loop: Header=BB75_24 Depth=2
	v_ashrrev_i32_e32 v21, 31, v20
	v_lshlrev_b64 v[20:21], 2, v[20:21]
	v_mov_b32_e32 v22, s67
	v_add_co_u32_e32 v20, vcc, s66, v20
	v_addc_co_u32_e32 v21, vcc, v22, v21, vcc
	global_store_dword v[20:21], v51, off
	s_branch .LBB75_23
.LBB75_57:                              ;   in Loop: Header=BB75_24 Depth=2
                                        ; implicit-def: $vgpr51
	s_branch .LBB75_32
.LBB75_58:                              ;   in Loop: Header=BB75_15 Depth=1
	s_andn2_b64 vcc, exec, s[64:65]
	s_cbranch_vccnz .LBB75_70
; %bb.59:                               ;   in Loop: Header=BB75_15 Depth=1
	s_load_dwordx2 s[30:31], s[36:37], 0x0
	s_waitcnt lgkmcnt(0)
	s_sub_i32 s69, s31, s55
	v_add_u32_e32 v20, s30, v32
	v_cmp_gt_i32_e32 vcc, s69, v20
	s_and_saveexec_b64 s[70:71], vcc
	s_cbranch_execz .LBB75_69
; %bb.60:                               ;   in Loop: Header=BB75_15 Depth=1
	v_mad_u64_u32 v[22:23], s[30:31], s58, v20, v[16:17]
	v_mad_u64_u32 v[22:23], s[30:31], s58, v22, v[18:19]
	s_mov_b64 s[72:73], 0
	s_branch .LBB75_63
.LBB75_61:                              ;   in Loop: Header=BB75_63 Depth=2
	s_or_b64 exec, exec, s[74:75]
	s_or_b64 s[30:31], s[30:31], exec
.LBB75_62:                              ;   in Loop: Header=BB75_63 Depth=2
	s_or_b64 exec, exec, s[34:35]
	v_add_u32_e32 v20, 16, v20
	v_cmp_le_i32_e32 vcc, s69, v20
	s_xor_b64 s[30:31], s[30:31], -1
	s_or_b64 s[30:31], vcc, s[30:31]
	s_and_b64 s[30:31], exec, s[30:31]
	s_or_b64 s[72:73], s[30:31], s[72:73]
	v_add_u32_e32 v22, s88, v22
	s_andn2_b64 exec, exec, s[72:73]
	s_cbranch_execz .LBB75_68
.LBB75_63:                              ;   Parent Loop BB75_15 Depth=1
                                        ; =>  This Inner Loop Header: Depth=2
	v_ashrrev_i32_e32 v21, 31, v20
	v_lshlrev_b64 v[24:25], 2, v[20:21]
	v_mov_b32_e32 v21, s39
	v_add_co_u32_e32 v24, vcc, s38, v24
	v_addc_co_u32_e32 v25, vcc, v21, v25, vcc
	global_load_dword v21, v[24:25], off
	s_waitcnt vmcnt(0)
	v_subrev_u32_e32 v21, s55, v21
	v_cmp_gt_i32_e64 s[30:31], s90, v21
	v_cmp_ge_i32_e64 s[34:35], v21, v49
	v_cmp_lt_i32_e32 vcc, v21, v49
	s_or_b64 s[34:35], s[30:31], s[34:35]
                                        ; implicit-def: $sgpr30_sgpr31
	s_and_saveexec_b64 s[74:75], s[34:35]
	s_xor_b64 s[34:35], exec, s[74:75]
; %bb.64:                               ;   in Loop: Header=BB75_63 Depth=2
	v_min_i32_e32 v21, v21, v50
	v_cndmask_b32_e32 v50, v21, v50, vcc
	s_and_b64 s[30:31], vcc, exec
                                        ; implicit-def: $vgpr21
; %bb.65:                               ;   in Loop: Header=BB75_63 Depth=2
	s_andn2_saveexec_b64 s[34:35], s[34:35]
	s_cbranch_execz .LBB75_62
; %bb.66:                               ;   in Loop: Header=BB75_63 Depth=2
	v_subrev_u32_e32 v21, s90, v21
	v_lshlrev_b32_e32 v23, 2, v21
	ds_write_b32 v23, v46 offset:20480
	s_and_saveexec_b64 s[74:75], s[8:9]
	s_cbranch_execz .LBB75_61
; %bb.67:                               ;   in Loop: Header=BB75_63 Depth=2
	v_ashrrev_i32_e32 v23, 31, v22
	v_lshlrev_b64 v[24:25], 4, v[22:23]
	v_mov_b32_e32 v23, s41
	v_add_co_u32_e32 v24, vcc, s40, v24
	v_addc_co_u32_e32 v25, vcc, v23, v25, vcc
	global_load_dwordx4 v[24:27], v[24:25], off
	v_lshlrev_b32_e32 v21, 4, v21
	v_or3_b32 v21, v21, v19, v12
	v_lshlrev_b32_e32 v21, 4, v21
	s_waitcnt vmcnt(0)
	v_mul_f64 v[28:29], v[26:27], -v[6:7]
	v_mul_f64 v[26:27], v[10:11], v[26:27]
	v_fmac_f64_e32 v[28:29], v[10:11], v[24:25]
	v_fmac_f64_e32 v[26:27], v[6:7], v[24:25]
	ds_add_f64 v21, v[28:29]
	ds_add_f64 v21, v[26:27] offset:8
	s_branch .LBB75_61
.LBB75_68:                              ;   in Loop: Header=BB75_15 Depth=1
	s_or_b64 exec, exec, s[72:73]
.LBB75_69:                              ;   in Loop: Header=BB75_15 Depth=1
	s_or_b64 exec, exec, s[70:71]
.LBB75_70:                              ;   in Loop: Header=BB75_15 Depth=1
	s_and_saveexec_b64 s[30:31], s[12:13]
	s_cbranch_execz .LBB75_75
; %bb.71:                               ;   in Loop: Header=BB75_15 Depth=1
	s_mov_b64 s[34:35], exec
	s_brev_b32 s69, -2
.LBB75_72:                              ;   Parent Loop BB75_15 Depth=1
                                        ; =>  This Inner Loop Header: Depth=2
	s_ff1_i32_b64 s70, s[34:35]
	v_readlane_b32 s72, v50, s70
	s_lshl_b64 s[70:71], 1, s70
	s_min_i32 s69, s69, s72
	s_andn2_b64 s[34:35], s[34:35], s[70:71]
	s_cmp_lg_u64 s[34:35], 0
	s_cbranch_scc1 .LBB75_72
; %bb.73:                               ;   in Loop: Header=BB75_15 Depth=1
	v_mbcnt_lo_u32_b32 v20, exec_lo, 0
	v_mbcnt_hi_u32_b32 v20, exec_hi, v20
	v_cmp_eq_u32_e32 vcc, 0, v20
	s_and_saveexec_b64 s[34:35], vcc
	s_xor_b64 s[34:35], exec, s[34:35]
	s_cbranch_execz .LBB75_75
; %bb.74:                               ;   in Loop: Header=BB75_15 Depth=1
	v_mov_b32_e32 v20, s69
	ds_min_i32 v0, v20 offset:20736
.LBB75_75:                              ;   in Loop: Header=BB75_15 Depth=1
	s_or_b64 exec, exec, s[30:31]
	s_waitcnt lgkmcnt(0)
	s_barrier
	ds_read_b32 v20, v33
	s_waitcnt lgkmcnt(0)
	s_barrier
	s_and_saveexec_b64 s[30:31], s[16:17]
	s_cbranch_execz .LBB75_77
; %bb.76:                               ;   in Loop: Header=BB75_15 Depth=1
	ds_read_b32 v21, v34
	s_waitcnt lgkmcnt(0)
	v_add_u32_e32 v20, v21, v20
.LBB75_77:                              ;   in Loop: Header=BB75_15 Depth=1
	s_or_b64 exec, exec, s[30:31]
	s_barrier
	ds_write_b32 v33, v20
	s_waitcnt lgkmcnt(0)
	s_barrier
	s_and_saveexec_b64 s[30:31], s[18:19]
	s_cbranch_execz .LBB75_79
; %bb.78:                               ;   in Loop: Header=BB75_15 Depth=1
	ds_read_b32 v21, v36
	s_waitcnt lgkmcnt(0)
	v_add_u32_e32 v20, v21, v20
.LBB75_79:                              ;   in Loop: Header=BB75_15 Depth=1
	s_or_b64 exec, exec, s[30:31]
	s_barrier
	ds_write_b32 v33, v20
	;; [unrolled: 12-line block ×6, first 2 shown]
	s_waitcnt lgkmcnt(0)
	s_barrier
	ds_read_b32 v22, v0 offset:20732
	v_mov_b32_e32 v21, 0
	s_and_saveexec_b64 s[30:31], s[14:15]
	s_cbranch_execz .LBB75_89
; %bb.88:                               ;   in Loop: Header=BB75_15 Depth=1
	ds_read_b32 v21, v34
.LBB75_89:                              ;   in Loop: Header=BB75_15 Depth=1
	s_or_b64 exec, exec, s[30:31]
	s_waitcnt lgkmcnt(0)
	v_cmp_eq_u32_e32 vcc, v20, v21
	s_and_b64 s[34:35], s[14:15], vcc
	s_barrier
	s_and_saveexec_b64 s[30:31], s[34:35]
	s_cbranch_execz .LBB75_91
; %bb.90:                               ;   in Loop: Header=BB75_15 Depth=1
	ds_write_b32 v33, v0
.LBB75_91:                              ;   in Loop: Header=BB75_15 Depth=1
	s_or_b64 exec, exec, s[30:31]
	v_add_u32_e32 v23, -1, v45
	s_add_i32 s69, s54, s90
	s_mov_b64 s[30:31], 0
	v_mov_b32_e32 v24, v44
	v_mov_b32_e32 v25, v15
	v_mov_b32_e32 v26, v13
	s_waitcnt lgkmcnt(0)
	s_barrier
	s_branch .LBB75_93
.LBB75_92:                              ;   in Loop: Header=BB75_93 Depth=2
	s_or_b64 exec, exec, s[34:35]
	v_add_u32_e32 v20, 16, v26
	v_cmp_lt_u32_e32 vcc, 47, v26
	v_add_u32_e32 v25, 0x1000, v25
	v_add_u32_e32 v24, 64, v24
	s_or_b64 s[30:31], vcc, s[30:31]
	v_mov_b32_e32 v26, v20
	s_andn2_b64 exec, exec, s[30:31]
	s_cbranch_execz .LBB75_14
.LBB75_93:                              ;   Parent Loop BB75_15 Depth=1
                                        ; =>  This Inner Loop Header: Depth=2
	ds_read_b32 v20, v24
	s_waitcnt lgkmcnt(0)
	v_cmp_ne_u32_e32 vcc, 0, v20
	s_and_saveexec_b64 s[34:35], vcc
	s_cbranch_execz .LBB75_92
; %bb.94:                               ;   in Loop: Header=BB75_93 Depth=2
	v_add_u32_e32 v20, v23, v20
	v_ashrrev_i32_e32 v21, 31, v20
	v_lshlrev_b64 v[28:29], 2, v[20:21]
	v_mov_b32_e32 v21, s61
	v_add_co_u32_e32 v28, vcc, s60, v28
	v_add_u32_e32 v27, s69, v26
	v_addc_co_u32_e32 v29, vcc, v21, v29, vcc
	global_store_dword v[28:29], v27, off
	s_and_b64 exec, exec, s[8:9]
	s_cbranch_execz .LBB75_92
; %bb.95:                               ;   in Loop: Header=BB75_93 Depth=2
	v_mad_u64_u32 v[20:21], s[70:71], v20, s58, v[16:17]
	v_mad_u64_u32 v[20:21], s[70:71], v20, s58, v[18:19]
	ds_read2_b64 v[28:31], v25 offset1:1
	v_ashrrev_i32_e32 v21, 31, v20
	v_lshlrev_b64 v[20:21], 4, v[20:21]
	v_mov_b32_e32 v27, s63
	v_add_co_u32_e32 v20, vcc, s62, v20
	v_addc_co_u32_e32 v21, vcc, v27, v21, vcc
	s_waitcnt lgkmcnt(0)
	global_store_dwordx4 v[20:21], v[28:31], off
	s_branch .LBB75_92
.LBB75_96:
	s_endpgm
	.section	.rodata,"a",@progbits
	.p2align	6, 0x0
	.amdhsa_kernel _ZN9rocsparseL38bsrgemm_block_per_row_atomic_multipassILj256ELj64ELj4Eii21rocsparse_complex_numIdEEEv20rocsparse_direction_T3_S4_PKS4_S6_NS_24const_host_device_scalarIT4_EEPKT2_S6_PKS8_SC_S6_SE_S9_SC_S6_SE_SC_PS4_PS8_PSA_21rocsparse_index_base_SI_SI_SI_bbb
		.amdhsa_group_segment_fixed_size 20744
		.amdhsa_private_segment_fixed_size 24
		.amdhsa_kernarg_size 188
		.amdhsa_user_sgpr_count 8
		.amdhsa_user_sgpr_private_segment_buffer 1
		.amdhsa_user_sgpr_dispatch_ptr 0
		.amdhsa_user_sgpr_queue_ptr 0
		.amdhsa_user_sgpr_kernarg_segment_ptr 1
		.amdhsa_user_sgpr_dispatch_id 0
		.amdhsa_user_sgpr_flat_scratch_init 1
		.amdhsa_user_sgpr_kernarg_preload_length 0
		.amdhsa_user_sgpr_kernarg_preload_offset 0
		.amdhsa_user_sgpr_private_segment_size 0
		.amdhsa_uses_dynamic_stack 0
		.amdhsa_system_sgpr_private_segment_wavefront_offset 1
		.amdhsa_system_sgpr_workgroup_id_x 1
		.amdhsa_system_sgpr_workgroup_id_y 0
		.amdhsa_system_sgpr_workgroup_id_z 0
		.amdhsa_system_sgpr_workgroup_info 0
		.amdhsa_system_vgpr_workitem_id 0
		.amdhsa_next_free_vgpr 62
		.amdhsa_next_free_sgpr 92
		.amdhsa_accum_offset 64
		.amdhsa_reserve_vcc 1
		.amdhsa_reserve_flat_scratch 1
		.amdhsa_float_round_mode_32 0
		.amdhsa_float_round_mode_16_64 0
		.amdhsa_float_denorm_mode_32 3
		.amdhsa_float_denorm_mode_16_64 3
		.amdhsa_dx10_clamp 1
		.amdhsa_ieee_mode 1
		.amdhsa_fp16_overflow 0
		.amdhsa_tg_split 0
		.amdhsa_exception_fp_ieee_invalid_op 0
		.amdhsa_exception_fp_denorm_src 0
		.amdhsa_exception_fp_ieee_div_zero 0
		.amdhsa_exception_fp_ieee_overflow 0
		.amdhsa_exception_fp_ieee_underflow 0
		.amdhsa_exception_fp_ieee_inexact 0
		.amdhsa_exception_int_div_zero 0
	.end_amdhsa_kernel
	.section	.text._ZN9rocsparseL38bsrgemm_block_per_row_atomic_multipassILj256ELj64ELj4Eii21rocsparse_complex_numIdEEEv20rocsparse_direction_T3_S4_PKS4_S6_NS_24const_host_device_scalarIT4_EEPKT2_S6_PKS8_SC_S6_SE_S9_SC_S6_SE_SC_PS4_PS8_PSA_21rocsparse_index_base_SI_SI_SI_bbb,"axG",@progbits,_ZN9rocsparseL38bsrgemm_block_per_row_atomic_multipassILj256ELj64ELj4Eii21rocsparse_complex_numIdEEEv20rocsparse_direction_T3_S4_PKS4_S6_NS_24const_host_device_scalarIT4_EEPKT2_S6_PKS8_SC_S6_SE_S9_SC_S6_SE_SC_PS4_PS8_PSA_21rocsparse_index_base_SI_SI_SI_bbb,comdat
.Lfunc_end75:
	.size	_ZN9rocsparseL38bsrgemm_block_per_row_atomic_multipassILj256ELj64ELj4Eii21rocsparse_complex_numIdEEEv20rocsparse_direction_T3_S4_PKS4_S6_NS_24const_host_device_scalarIT4_EEPKT2_S6_PKS8_SC_S6_SE_S9_SC_S6_SE_SC_PS4_PS8_PSA_21rocsparse_index_base_SI_SI_SI_bbb, .Lfunc_end75-_ZN9rocsparseL38bsrgemm_block_per_row_atomic_multipassILj256ELj64ELj4Eii21rocsparse_complex_numIdEEEv20rocsparse_direction_T3_S4_PKS4_S6_NS_24const_host_device_scalarIT4_EEPKT2_S6_PKS8_SC_S6_SE_S9_SC_S6_SE_SC_PS4_PS8_PSA_21rocsparse_index_base_SI_SI_SI_bbb
                                        ; -- End function
	.section	.AMDGPU.csdata,"",@progbits
; Kernel info:
; codeLenInByte = 3232
; NumSgprs: 98
; NumVgprs: 62
; NumAgprs: 0
; TotalNumVgprs: 62
; ScratchSize: 24
; MemoryBound: 0
; FloatMode: 240
; IeeeMode: 1
; LDSByteSize: 20744 bytes/workgroup (compile time only)
; SGPRBlocks: 12
; VGPRBlocks: 7
; NumSGPRsForWavesPerEU: 98
; NumVGPRsForWavesPerEU: 62
; AccumOffset: 64
; Occupancy: 3
; WaveLimiterHint : 1
; COMPUTE_PGM_RSRC2:SCRATCH_EN: 1
; COMPUTE_PGM_RSRC2:USER_SGPR: 8
; COMPUTE_PGM_RSRC2:TRAP_HANDLER: 0
; COMPUTE_PGM_RSRC2:TGID_X_EN: 1
; COMPUTE_PGM_RSRC2:TGID_Y_EN: 0
; COMPUTE_PGM_RSRC2:TGID_Z_EN: 0
; COMPUTE_PGM_RSRC2:TIDIG_COMP_CNT: 0
; COMPUTE_PGM_RSRC3_GFX90A:ACCUM_OFFSET: 15
; COMPUTE_PGM_RSRC3_GFX90A:TG_SPLIT: 0
	.section	.text._ZN9rocsparseL38bsrgemm_block_per_row_atomic_multipassILj256ELj128ELj4Eii21rocsparse_complex_numIdEEEv20rocsparse_direction_T3_S4_PKS4_S6_NS_24const_host_device_scalarIT4_EEPKT2_S6_PKS8_SC_S6_SE_S9_SC_S6_SE_SC_PS4_PS8_PSA_21rocsparse_index_base_SI_SI_SI_bbb,"axG",@progbits,_ZN9rocsparseL38bsrgemm_block_per_row_atomic_multipassILj256ELj128ELj4Eii21rocsparse_complex_numIdEEEv20rocsparse_direction_T3_S4_PKS4_S6_NS_24const_host_device_scalarIT4_EEPKT2_S6_PKS8_SC_S6_SE_S9_SC_S6_SE_SC_PS4_PS8_PSA_21rocsparse_index_base_SI_SI_SI_bbb,comdat
	.globl	_ZN9rocsparseL38bsrgemm_block_per_row_atomic_multipassILj256ELj128ELj4Eii21rocsparse_complex_numIdEEEv20rocsparse_direction_T3_S4_PKS4_S6_NS_24const_host_device_scalarIT4_EEPKT2_S6_PKS8_SC_S6_SE_S9_SC_S6_SE_SC_PS4_PS8_PSA_21rocsparse_index_base_SI_SI_SI_bbb ; -- Begin function _ZN9rocsparseL38bsrgemm_block_per_row_atomic_multipassILj256ELj128ELj4Eii21rocsparse_complex_numIdEEEv20rocsparse_direction_T3_S4_PKS4_S6_NS_24const_host_device_scalarIT4_EEPKT2_S6_PKS8_SC_S6_SE_S9_SC_S6_SE_SC_PS4_PS8_PSA_21rocsparse_index_base_SI_SI_SI_bbb
	.p2align	8
	.type	_ZN9rocsparseL38bsrgemm_block_per_row_atomic_multipassILj256ELj128ELj4Eii21rocsparse_complex_numIdEEEv20rocsparse_direction_T3_S4_PKS4_S6_NS_24const_host_device_scalarIT4_EEPKT2_S6_PKS8_SC_S6_SE_S9_SC_S6_SE_SC_PS4_PS8_PSA_21rocsparse_index_base_SI_SI_SI_bbb,@function
_ZN9rocsparseL38bsrgemm_block_per_row_atomic_multipassILj256ELj128ELj4Eii21rocsparse_complex_numIdEEEv20rocsparse_direction_T3_S4_PKS4_S6_NS_24const_host_device_scalarIT4_EEPKT2_S6_PKS8_SC_S6_SE_S9_SC_S6_SE_SC_PS4_PS8_PSA_21rocsparse_index_base_SI_SI_SI_bbb: ; @_ZN9rocsparseL38bsrgemm_block_per_row_atomic_multipassILj256ELj128ELj4Eii21rocsparse_complex_numIdEEEv20rocsparse_direction_T3_S4_PKS4_S6_NS_24const_host_device_scalarIT4_EEPKT2_S6_PKS8_SC_S6_SE_S9_SC_S6_SE_SC_PS4_PS8_PSA_21rocsparse_index_base_SI_SI_SI_bbb
; %bb.0:
	s_load_dword s9, s[6:7], 0xb8
	s_load_dwordx4 s[52:55], s[6:7], 0xa8
	s_load_dwordx2 s[2:3], s[4:5], 0x4
	s_load_dwordx4 s[16:19], s[6:7], 0x20
	s_load_dwordx4 s[12:15], s[6:7], 0x60
	v_and_b32_e32 v1, 0x3ff, v0
	s_waitcnt lgkmcnt(0)
	s_bitcmp1_b32 s9, 0
	s_cselect_b64 s[28:29], -1, 0
	s_bitcmp1_b32 s9, 16
	s_cselect_b64 s[0:1], -1, 0
	s_lshr_b32 s2, s2, 16
	s_mul_i32 s2, s2, s3
	v_mul_lo_u32 v2, s2, v1
	v_bfe_u32 v3, v0, 10, 10
	v_mad_u32_u24 v2, v3, s3, v2
	v_bfe_u32 v0, v0, 20, 10
	v_add_lshl_u32 v0, v2, v0, 3
	v_pk_mov_b32 v[2:3], s[16:17], s[16:17] op_sel:[0,1]
	v_pk_mov_b32 v[4:5], s[12:13], s[12:13] op_sel:[0,1]
	v_add_u32_e32 v6, 8, v0
	s_xor_b64 s[2:3], s[0:1], -1
	ds_write2st64_b64 v6, v[4:5], v[2:3] offset0:73 offset1:77
	v_pk_mov_b32 v[10:11], 0, 0
	v_cndmask_b32_e64 v2, 0, 1, s[2:3]
	s_bitcmp0_b32 s9, 0
	v_cmp_ne_u32_e64 s[2:3], 1, v2
	v_pk_mov_b32 v[8:9], v[10:11], v[10:11] op_sel:[0,1]
	v_pk_mov_b32 v[12:13], v[10:11], v[10:11] op_sel:[0,1]
	s_cbranch_scc1 .LBB76_3
; %bb.1:
	s_mov_b64 s[4:5], src_shared_base
	s_and_b64 s[10:11], s[0:1], exec
	v_add_u32_e32 v2, 0x9a08, v0
	s_cselect_b32 s4, s5, s17
	v_mov_b32_e32 v3, s16
	v_cndmask_b32_e64 v2, v3, v2, s[0:1]
	v_mov_b32_e32 v3, s4
	flat_load_dwordx2 v[8:9], v[2:3]
	s_and_b64 vcc, exec, s[2:3]
	v_pk_mov_b32 v[12:13], s[18:19], s[18:19] op_sel:[0,1]
	s_cbranch_vccnz .LBB76_3
; %bb.2:
	v_pk_mov_b32 v[2:3], s[16:17], s[16:17] op_sel:[0,1]
	flat_load_dwordx2 v[12:13], v[2:3] offset:8
.LBB76_3:
	s_load_dwordx2 s[4:5], s[6:7], 0x18
	s_bitcmp1_b32 s9, 8
	s_cselect_b64 s[68:69], -1, 0
	s_bfe_u32 s9, s9, 0x10008
	s_cmp_eq_u32 s9, 0
	v_pk_mov_b32 v[14:15], v[10:11], v[10:11] op_sel:[0,1]
	s_cbranch_scc1 .LBB76_6
; %bb.4:
	s_mov_b64 s[10:11], src_shared_base
	s_and_b64 s[16:17], s[0:1], exec
	v_add_u32_e32 v0, 0x9208, v0
	s_cselect_b32 s9, s11, s13
	v_mov_b32_e32 v2, s12
	v_cndmask_b32_e64 v2, v2, v0, s[0:1]
	v_mov_b32_e32 v3, s9
	flat_load_dwordx2 v[14:15], v[2:3]
	s_and_b64 vcc, exec, s[2:3]
	v_pk_mov_b32 v[10:11], s[14:15], s[14:15] op_sel:[0,1]
	s_cbranch_vccnz .LBB76_6
; %bb.5:
	v_pk_mov_b32 v[2:3], s[12:13], s[12:13] op_sel:[0,1]
	flat_load_dwordx2 v[10:11], v[2:3] offset:8
.LBB76_6:
	s_load_dwordx2 s[2:3], s[6:7], 0x30
	s_waitcnt lgkmcnt(0)
	s_cmp_eq_u64 s[4:5], 0
	s_cbranch_scc1 .LBB76_8
; %bb.7:
	s_load_dwordx2 s[0:1], s[6:7], 0x10
	s_waitcnt lgkmcnt(0)
	s_load_dword s0, s[0:1], 0x0
	s_mov_b32 s1, 0
	s_waitcnt lgkmcnt(0)
	s_add_i32 s0, s0, s8
	s_lshl_b64 s[0:1], s[0:1], 2
	s_add_u32 s0, s4, s0
	s_addc_u32 s1, s5, s1
	s_load_dword s8, s[0:1], 0x0
.LBB76_8:
	v_cndmask_b32_e64 v0, 0, 1, s[28:29]
	s_mov_b32 s33, 0
	v_cmp_ne_u32_e64 s[0:1], 1, v0
	s_andn2_b64 vcc, exec, s[28:29]
	s_mov_b32 s88, 0
	s_cbranch_vccz .LBB76_11
; %bb.9:
	s_and_b64 vcc, exec, s[0:1]
	s_cbranch_vccz .LBB76_12
.LBB76_10:
	s_load_dwordx4 s[56:59], s[6:7], 0x0
	s_waitcnt lgkmcnt(0)
	s_cmp_lt_i32 s57, 1
	s_cbranch_scc0 .LBB76_13
	s_branch .LBB76_98
.LBB76_11:
	s_waitcnt lgkmcnt(0)
	s_ashr_i32 s9, s8, 31
	s_lshl_b64 s[4:5], s[8:9], 2
	s_add_u32 s4, s2, s4
	s_addc_u32 s5, s3, s5
	s_load_dword s4, s[4:5], 0x0
	s_waitcnt lgkmcnt(0)
	s_sub_i32 s88, s4, s52
	s_and_b64 vcc, exec, s[0:1]
	s_cbranch_vccnz .LBB76_10
.LBB76_12:
	s_waitcnt lgkmcnt(0)
	s_ashr_i32 s9, s8, 31
	s_lshl_b64 s[0:1], s[8:9], 2
	s_add_u32 s0, s2, s0
	s_addc_u32 s1, s3, s1
	s_load_dword s0, s[0:1], 0x4
	s_waitcnt lgkmcnt(0)
	s_sub_i32 s33, s0, s52
	s_load_dwordx4 s[56:59], s[6:7], 0x0
	s_waitcnt lgkmcnt(0)
	s_cmp_lt_i32 s57, 1
	s_cbranch_scc1 .LBB76_98
.LBB76_13:
	s_load_dwordx2 s[70:71], s[6:7], 0xa0
	s_load_dwordx4 s[60:63], s[6:7], 0x90
	s_load_dwordx8 s[36:43], s[6:7], 0x70
	s_load_dwordx2 s[72:73], s[6:7], 0x58
	s_load_dwordx8 s[44:51], s[6:7], 0x38
	s_ashr_i32 s9, s8, 31
	s_lshl_b64 s[8:9], s[8:9], 2
	s_waitcnt lgkmcnt(0)
	s_add_u32 s0, s42, s8
	s_addc_u32 s1, s43, s9
	s_load_dword s0, s[0:1], 0x0
	v_and_b32_e32 v0, 15, v1
	v_and_b32_e32 v16, 3, v1
	v_bfe_u32 v18, v1, 2, 2
	v_max_i32_e32 v2, v16, v18
	s_waitcnt lgkmcnt(0)
	s_sub_i32 s65, s0, s54
	s_cmp_lt_i32 s88, s33
	s_cselect_b64 s[30:31], -1, 0
	s_cmp_eq_u32 s56, 0
	s_cselect_b64 vcc, -1, 0
	s_cmp_lg_u32 s56, 0
	s_cselect_b64 s[42:43], -1, 0
	s_cmp_gt_i32 s58, 0
	s_cselect_b64 s[34:35], -1, 0
	s_add_u32 s36, s36, s8
	s_addc_u32 s37, s37, s9
	v_cmp_eq_u32_e64 s[8:9], 15, v0
	v_and_b32_e32 v0, 0x7f, v1
	v_lshrrev_b32_e32 v17, 4, v1
	s_movk_i32 s0, 0x80
	s_mov_b32 s64, 0
	v_cmp_gt_i32_e64 s[4:5], s58, v2
	v_cmp_le_i32_e64 s[6:7], s58, v2
	v_lshlrev_b32_e32 v2, 2, v0
	v_add_co_u32_e64 v3, s[10:11], -1, v0
	v_mov_b32_e32 v4, 0x9000
	v_cmp_ne_u32_e64 s[12:13], 0, v0
	v_cmp_lt_u32_e64 s[14:15], 1, v0
	v_cmp_lt_u32_e64 s[16:17], 3, v0
	;; [unrolled: 1-line block ×6, first 2 shown]
	v_or_b32_e32 v0, 0x400, v1
	s_movk_i32 s26, 0x700
	v_cmp_gt_u32_e64 s[0:1], s0, v1
	v_cmp_eq_u32_e64 s[2:3], 0, v1
	v_lshlrev_b32_e32 v19, 4, v1
	s_mov_b32 s66, 0x8000
	v_and_b32_e32 v23, 12, v1
	v_lshl_or_b32 v37, v1, 2, v4
	v_cmp_gt_u32_e64 s[26:27], s26, v0
	s_and_b64 s[28:29], s[28:29], s[30:31]
	v_lshlrev_b32_e32 v0, 8, v17
	v_lshlrev_b32_e32 v1, 4, v18
	v_mov_b32_e32 v47, s65
	s_mov_b32 s65, s64
	v_lshl_add_u32 v36, v3, 2, v4
	s_add_u32 s56, s48, 4
	v_or3_b32 v44, v0, v1, s66
	s_mul_i32 s89, s58, s58
	v_and_b32_e32 v0, 0xfc0, v19
	v_lshl_or_b32 v46, v17, 2, v4
	s_mov_b32 s66, s64
	s_mov_b32 s67, s64
	v_pk_mov_b32 v[4:5], s[64:65], s[64:65] op_sel:[0,1]
	v_cndmask_b32_e64 v1, 0, 1, s[28:29]
	v_or_b32_e32 v21, 0x8000, v19
	v_subrev_u32_e32 v34, s55, v17
	v_or_b32_e32 v35, 0x9000, v2
	v_add_u32_e32 v38, 0x8ff8, v2
	v_add_u32_e32 v39, 0x8ff0, v2
	;; [unrolled: 1-line block ×6, first 2 shown]
	v_cndmask_b32_e32 v20, v16, v18, vcc
	v_cndmask_b32_e32 v22, v18, v16, vcc
	s_addc_u32 s59, s49, 0
	v_or_b32_e32 v45, 0x8000, v0
	s_lshl_b32 s90, s89, 4
	v_mov_b32_e32 v51, 0x80
	v_mov_b32_e32 v0, 0
	v_pk_mov_b32 v[6:7], s[66:67], s[66:67] op_sel:[0,1]
	v_cmp_ne_u32_e64 s[28:29], 1, v1
	v_mov_b32_e32 v48, 1
	v_cndmask_b32_e64 v49, 0, 1, s[34:35]
	v_mov_b32_e32 v50, s73
	s_movk_i32 s65, 0x6f
	s_branch .LBB76_15
.LBB76_14:                              ;   in Loop: Header=BB76_15 Depth=1
	s_or_b64 exec, exec, s[30:31]
	s_barrier
	ds_read_b32 v1, v0 offset:37376
	v_add_u32_e32 v47, v24, v47
	s_waitcnt lgkmcnt(0)
	s_barrier
	v_cmp_le_i32_e32 vcc, s57, v1
	v_readfirstlane_b32 s64, v1
	v_add_u32_e32 v51, 0x80, v1
	s_cbranch_vccnz .LBB76_98
.LBB76_15:                              ; =>This Loop Header: Depth=1
                                        ;     Child Loop BB76_24 Depth 2
                                        ;       Child Loop BB76_38 Depth 3
                                        ;         Child Loop BB76_47 Depth 4
                                        ;         Child Loop BB76_52 Depth 4
                                        ;     Child Loop BB76_63 Depth 2
                                        ;     Child Loop BB76_72 Depth 2
	;; [unrolled: 1-line block ×3, first 2 shown]
	s_and_saveexec_b64 s[30:31], s[0:1]
	s_cbranch_execz .LBB76_17
; %bb.16:                               ;   in Loop: Header=BB76_15 Depth=1
	ds_write_b32 v37, v0
.LBB76_17:                              ;   in Loop: Header=BB76_15 Depth=1
	s_or_b64 exec, exec, s[30:31]
	ds_write_b128 v19, v[4:7]
	ds_write_b128 v19, v[4:7] offset:4096
	ds_write_b128 v19, v[4:7] offset:8192
	ds_write_b128 v19, v[4:7] offset:12288
	ds_write_b128 v19, v[4:7] offset:16384
	s_and_saveexec_b64 s[30:31], s[26:27]
	s_xor_b64 s[30:31], exec, s[30:31]
	s_cbranch_execz .LBB76_19
; %bb.18:                               ;   in Loop: Header=BB76_15 Depth=1
	ds_write_b128 v19, v[4:7] offset:20480
	ds_write_b128 v19, v[4:7] offset:24576
	ds_write_b128 v19, v[4:7] offset:28672
.LBB76_19:                              ;   in Loop: Header=BB76_15 Depth=1
	s_or_b64 exec, exec, s[30:31]
	s_and_saveexec_b64 s[30:31], s[2:3]
	s_cbranch_execz .LBB76_21
; %bb.20:                               ;   in Loop: Header=BB76_15 Depth=1
	v_mov_b32_e32 v1, s57
	ds_write_b32 v0, v1 offset:37376
.LBB76_21:                              ;   in Loop: Header=BB76_15 Depth=1
	s_or_b64 exec, exec, s[30:31]
	s_and_b64 vcc, exec, s[28:29]
	v_mov_b32_e32 v52, s57
	s_waitcnt lgkmcnt(0)
	s_barrier
	s_cbranch_vccnz .LBB76_58
; %bb.22:                               ;   in Loop: Header=BB76_15 Depth=1
	s_cmp_lg_u32 s64, 0
	s_cselect_b64 s[66:67], -1, 0
	v_mov_b32_e32 v52, s57
	s_mov_b32 s73, s88
	s_branch .LBB76_24
.LBB76_23:                              ;   in Loop: Header=BB76_24 Depth=2
	s_or_b64 exec, exec, s[34:35]
	s_add_i32 s73, s73, 16
	s_cmp_lt_i32 s73, s33
	s_cbranch_scc0 .LBB76_58
.LBB76_24:                              ;   Parent Loop BB76_15 Depth=1
                                        ; =>  This Loop Header: Depth=2
                                        ;       Child Loop BB76_38 Depth 3
                                        ;         Child Loop BB76_47 Depth 4
                                        ;         Child Loop BB76_52 Depth 4
	v_add_u32_e32 v24, s73, v17
	v_cmp_gt_i32_e64 s[30:31], s33, v24
	s_barrier
	s_and_saveexec_b64 s[34:35], s[30:31]
	s_cbranch_execz .LBB76_29
; %bb.25:                               ;   in Loop: Header=BB76_24 Depth=2
	s_and_saveexec_b64 s[74:75], s[6:7]
	s_xor_b64 s[74:75], exec, s[74:75]
	s_cbranch_execz .LBB76_27
; %bb.26:                               ;   in Loop: Header=BB76_24 Depth=2
	v_mov_b32_e32 v1, v0
	v_mov_b32_e32 v2, v0
	;; [unrolled: 1-line block ×3, first 2 shown]
	ds_write_b128 v21, v[0:3]
.LBB76_27:                              ;   in Loop: Header=BB76_24 Depth=2
	s_andn2_saveexec_b64 s[74:75], s[74:75]
	s_cbranch_execz .LBB76_29
; %bb.28:                               ;   in Loop: Header=BB76_24 Depth=2
	v_mad_u64_u32 v[2:3], s[74:75], v24, s58, v[18:19]
	v_mad_u64_u32 v[2:3], s[74:75], v2, s58, v[16:17]
	v_ashrrev_i32_e32 v3, 31, v2
	v_lshlrev_b64 v[2:3], 4, v[2:3]
	v_mov_b32_e32 v1, s47
	v_add_co_u32_e32 v2, vcc, s46, v2
	v_addc_co_u32_e32 v3, vcc, v1, v3, vcc
	global_load_dwordx4 v[26:29], v[2:3], off
	s_waitcnt vmcnt(0)
	ds_write2_b64 v21, v[26:27], v[28:29] offset1:1
.LBB76_29:                              ;   in Loop: Header=BB76_24 Depth=2
	s_or_b64 exec, exec, s[34:35]
	v_mov_b32_e32 v1, 0
	s_waitcnt lgkmcnt(0)
	s_barrier
	s_and_saveexec_b64 s[74:75], s[30:31]
	s_cbranch_execz .LBB76_55
; %bb.30:                               ;   in Loop: Header=BB76_24 Depth=2
	v_ashrrev_i32_e32 v25, 31, v24
	v_lshlrev_b64 v[26:27], 2, v[24:25]
	v_mov_b32_e32 v1, s45
	v_add_co_u32_e32 v2, vcc, s44, v26
	v_addc_co_u32_e32 v3, vcc, v1, v27, vcc
	global_load_dword v1, v[2:3], off
	s_and_b64 vcc, exec, s[66:67]
	s_waitcnt vmcnt(0)
	v_subrev_u32_e32 v2, s52, v1
	v_ashrrev_i32_e32 v3, 31, v2
	s_cbranch_vccz .LBB76_57
; %bb.31:                               ;   in Loop: Header=BB76_24 Depth=2
	v_mov_b32_e32 v1, s71
	v_add_co_u32_e32 v26, vcc, s70, v26
	v_addc_co_u32_e32 v27, vcc, v1, v27, vcc
	global_load_dword v1, v[26:27], off
	s_cbranch_execnz .LBB76_33
.LBB76_32:                              ;   in Loop: Header=BB76_24 Depth=2
	v_lshlrev_b64 v[26:27], 2, v[2:3]
	s_waitcnt vmcnt(0)
	v_mov_b32_e32 v1, s49
	v_add_co_u32_e32 v26, vcc, s48, v26
	v_addc_co_u32_e32 v27, vcc, v1, v27, vcc
	global_load_dword v1, v[26:27], off
	s_waitcnt vmcnt(0)
	v_subrev_u32_e32 v1, s53, v1
.LBB76_33:                              ;   in Loop: Header=BB76_24 Depth=2
	v_lshlrev_b64 v[2:3], 2, v[2:3]
	v_mov_b32_e32 v25, s59
	v_add_co_u32_e32 v2, vcc, s56, v2
	v_addc_co_u32_e32 v3, vcc, v25, v3, vcc
	global_load_dword v2, v[2:3], off
	s_waitcnt vmcnt(0)
	v_subrev_u32_e32 v25, s53, v2
	v_cmp_lt_i32_e32 vcc, v1, v25
	s_and_saveexec_b64 s[76:77], vcc
	s_cbranch_execz .LBB76_54
; %bb.34:                               ;   in Loop: Header=BB76_24 Depth=2
	v_mad_u64_u32 v[2:3], s[34:35], s58, v1, v[16:17]
	v_mul_lo_u32 v53, s58, v2
	v_mad_u64_u32 v[2:3], s[34:35], s89, v1, v[16:17]
	s_mov_b64 s[78:79], 0
	v_mov_b32_e32 v26, v1
	s_branch .LBB76_38
.LBB76_35:                              ;   in Loop: Header=BB76_38 Depth=3
	v_lshlrev_b32_e32 v3, 4, v3
	v_or3_b32 v3, v3, v23, v16
	v_mul_f64 v[32:33], v[30:31], -v[12:13]
	v_lshlrev_b32_e32 v3, 4, v3
	v_fmac_f64_e32 v[32:33], v[8:9], v[28:29]
	v_mul_f64 v[30:31], v[8:9], v[30:31]
	v_fmac_f64_e32 v[30:31], v[12:13], v[28:29]
	ds_add_f64 v3, v[32:33]
	ds_add_f64 v3, v[30:31] offset:8
.LBB76_36:                              ;   in Loop: Header=BB76_38 Depth=3
	s_or_b64 exec, exec, s[84:85]
	s_or_b64 s[80:81], s[80:81], exec
.LBB76_37:                              ;   in Loop: Header=BB76_38 Depth=3
	s_or_b64 exec, exec, s[82:83]
	v_add_u32_e32 v26, 1, v26
	v_cmp_ge_i32_e32 vcc, v26, v25
	s_xor_b64 s[34:35], s[80:81], -1
	s_or_b64 s[34:35], s[34:35], vcc
	s_and_b64 s[34:35], exec, s[34:35]
	v_add_u32_e32 v53, s89, v53
	s_or_b64 s[78:79], s[34:35], s[78:79]
	v_add_u32_e32 v2, s89, v2
	s_andn2_b64 exec, exec, s[78:79]
	s_cbranch_execz .LBB76_53
.LBB76_38:                              ;   Parent Loop BB76_15 Depth=1
                                        ;     Parent Loop BB76_24 Depth=2
                                        ; =>    This Loop Header: Depth=3
                                        ;         Child Loop BB76_47 Depth 4
                                        ;         Child Loop BB76_52 Depth 4
	v_ashrrev_i32_e32 v27, 31, v26
	v_lshlrev_b64 v[28:29], 2, v[26:27]
	v_mov_b32_e32 v3, s51
	v_add_co_u32_e32 v28, vcc, s50, v28
	v_addc_co_u32_e32 v29, vcc, v3, v29, vcc
	global_load_dword v3, v[28:29], off
                                        ; implicit-def: $sgpr80_sgpr81
	s_waitcnt vmcnt(0)
	v_subrev_u32_e32 v3, s53, v3
	v_cmp_gt_i32_e64 s[34:35], s64, v3
	v_cmp_ge_i32_e32 vcc, v3, v51
	s_or_b64 s[34:35], s[34:35], vcc
	s_and_saveexec_b64 s[82:83], s[34:35]
	s_xor_b64 s[34:35], exec, s[82:83]
	s_cbranch_execz .LBB76_42
; %bb.39:                               ;   in Loop: Header=BB76_38 Depth=3
	s_mov_b64 s[80:81], -1
	s_and_saveexec_b64 s[82:83], vcc
; %bb.40:                               ;   in Loop: Header=BB76_38 Depth=3
	v_min_i32_e32 v52, v3, v52
	s_xor_b64 s[80:81], exec, -1
	v_mov_b32_e32 v1, v26
; %bb.41:                               ;   in Loop: Header=BB76_38 Depth=3
	s_or_b64 exec, exec, s[82:83]
	s_and_b64 s[80:81], s[80:81], exec
                                        ; implicit-def: $vgpr3
.LBB76_42:                              ;   in Loop: Header=BB76_38 Depth=3
	s_andn2_saveexec_b64 s[82:83], s[34:35]
	s_cbranch_execz .LBB76_37
; %bb.43:                               ;   in Loop: Header=BB76_38 Depth=3
	v_subrev_u32_e32 v3, s64, v3
	v_lshlrev_b32_e32 v27, 2, v3
	ds_write_b32 v27, v48 offset:36864
	s_and_saveexec_b64 s[84:85], s[4:5]
	s_cbranch_execz .LBB76_36
; %bb.44:                               ;   in Loop: Header=BB76_38 Depth=3
	s_andn2_b64 vcc, exec, s[42:43]
	v_cmp_ne_u32_e64 s[34:35], 1, v49
	s_cbranch_vccnz .LBB76_49
; %bb.45:                               ;   in Loop: Header=BB76_38 Depth=3
	v_pk_mov_b32 v[28:29], 0, 0
	s_mov_b64 s[86:87], 0
	s_and_b64 vcc, exec, s[34:35]
	v_pk_mov_b32 v[30:31], v[28:29], v[28:29] op_sel:[0,1]
	s_cbranch_vccnz .LBB76_48
; %bb.46:                               ;   in Loop: Header=BB76_38 Depth=3
	v_pk_mov_b32 v[28:29], 0, 0
	v_mov_b32_e32 v32, v53
	s_mov_b32 s91, s58
	v_mov_b32_e32 v27, v44
	v_pk_mov_b32 v[30:31], v[28:29], v[28:29] op_sel:[0,1]
.LBB76_47:                              ;   Parent Loop BB76_15 Depth=1
                                        ;     Parent Loop BB76_24 Depth=2
                                        ;       Parent Loop BB76_38 Depth=3
                                        ; =>      This Inner Loop Header: Depth=4
	v_ashrrev_i32_e32 v33, 31, v32
	v_lshlrev_b64 v[54:55], 4, v[32:33]
	v_add_co_u32_e32 v54, vcc, s72, v54
	v_addc_co_u32_e32 v55, vcc, v50, v55, vcc
	global_load_dwordx4 v[54:57], v[54:55], off
	ds_read_b128 v[58:61], v27
	s_add_i32 s91, s91, -1
	v_add_u32_e32 v27, 64, v27
	v_add_u32_e32 v32, 1, v32
	s_cmp_lg_u32 s91, 0
	s_waitcnt vmcnt(0) lgkmcnt(0)
	v_fmac_f64_e32 v[28:29], v[58:59], v[54:55]
	v_fmac_f64_e32 v[30:31], v[60:61], v[54:55]
	v_fma_f64 v[28:29], -v[60:61], v[56:57], v[28:29]
	v_fmac_f64_e32 v[30:31], v[58:59], v[56:57]
	s_cbranch_scc1 .LBB76_47
.LBB76_48:                              ;   in Loop: Header=BB76_38 Depth=3
	s_andn2_b64 vcc, exec, s[86:87]
	s_cbranch_vccnz .LBB76_35
	s_branch .LBB76_50
.LBB76_49:                              ;   in Loop: Header=BB76_38 Depth=3
                                        ; implicit-def: $vgpr28_vgpr29
                                        ; implicit-def: $vgpr30_vgpr31
.LBB76_50:                              ;   in Loop: Header=BB76_38 Depth=3
	v_pk_mov_b32 v[28:29], 0, 0
	s_and_b64 vcc, exec, s[34:35]
	v_pk_mov_b32 v[30:31], v[28:29], v[28:29] op_sel:[0,1]
	s_cbranch_vccnz .LBB76_35
; %bb.51:                               ;   in Loop: Header=BB76_38 Depth=3
	v_pk_mov_b32 v[28:29], 0, 0
	v_mov_b32_e32 v27, v45
	v_mov_b32_e32 v32, v2
	s_mov_b32 s34, s58
	v_pk_mov_b32 v[30:31], v[28:29], v[28:29] op_sel:[0,1]
.LBB76_52:                              ;   Parent Loop BB76_15 Depth=1
                                        ;     Parent Loop BB76_24 Depth=2
                                        ;       Parent Loop BB76_38 Depth=3
                                        ; =>      This Inner Loop Header: Depth=4
	v_ashrrev_i32_e32 v33, 31, v32
	v_lshlrev_b64 v[54:55], 4, v[32:33]
	v_add_co_u32_e32 v54, vcc, s72, v54
	v_addc_co_u32_e32 v55, vcc, v50, v55, vcc
	global_load_dwordx4 v[54:57], v[54:55], off
	ds_read_b128 v[58:61], v27
	s_add_i32 s34, s34, -1
	v_add_u32_e32 v27, 16, v27
	v_add_u32_e32 v32, s58, v32
	s_cmp_eq_u32 s34, 0
	s_waitcnt vmcnt(0) lgkmcnt(0)
	v_fmac_f64_e32 v[28:29], v[58:59], v[54:55]
	v_fmac_f64_e32 v[30:31], v[60:61], v[54:55]
	v_fma_f64 v[28:29], -v[60:61], v[56:57], v[28:29]
	v_fmac_f64_e32 v[30:31], v[58:59], v[56:57]
	s_cbranch_scc0 .LBB76_52
	s_branch .LBB76_35
.LBB76_53:                              ;   in Loop: Header=BB76_24 Depth=2
	s_or_b64 exec, exec, s[78:79]
.LBB76_54:                              ;   in Loop: Header=BB76_24 Depth=2
	s_or_b64 exec, exec, s[76:77]
.LBB76_55:                              ;   in Loop: Header=BB76_24 Depth=2
	s_or_b64 exec, exec, s[74:75]
	s_waitcnt lgkmcnt(0)
	s_barrier
	s_and_saveexec_b64 s[34:35], s[30:31]
	s_cbranch_execz .LBB76_23
; %bb.56:                               ;   in Loop: Header=BB76_24 Depth=2
	v_ashrrev_i32_e32 v25, 31, v24
	v_lshlrev_b64 v[2:3], 2, v[24:25]
	v_mov_b32_e32 v24, s71
	v_add_co_u32_e32 v2, vcc, s70, v2
	v_addc_co_u32_e32 v3, vcc, v24, v3, vcc
	global_store_dword v[2:3], v1, off
	s_branch .LBB76_23
.LBB76_57:                              ;   in Loop: Header=BB76_24 Depth=2
                                        ; implicit-def: $vgpr1
	s_branch .LBB76_32
.LBB76_58:                              ;   in Loop: Header=BB76_15 Depth=1
	s_andn2_b64 vcc, exec, s[68:69]
	s_cbranch_vccnz .LBB76_70
; %bb.59:                               ;   in Loop: Header=BB76_15 Depth=1
	s_load_dwordx2 s[30:31], s[36:37], 0x0
	s_waitcnt lgkmcnt(0)
	s_sub_i32 s73, s31, s55
	v_add_u32_e32 v2, s30, v34
	v_cmp_gt_i32_e32 vcc, s73, v2
	s_and_saveexec_b64 s[66:67], vcc
	s_cbranch_execz .LBB76_69
; %bb.60:                               ;   in Loop: Header=BB76_15 Depth=1
	v_mad_u64_u32 v[24:25], s[30:31], s58, v2, v[20:21]
	v_mad_u64_u32 v[24:25], s[30:31], s58, v24, v[22:23]
	s_mov_b64 s[74:75], 0
	s_branch .LBB76_63
.LBB76_61:                              ;   in Loop: Header=BB76_63 Depth=2
	s_or_b64 exec, exec, s[76:77]
	s_or_b64 s[30:31], s[30:31], exec
.LBB76_62:                              ;   in Loop: Header=BB76_63 Depth=2
	s_or_b64 exec, exec, s[34:35]
	v_add_u32_e32 v2, 16, v2
	v_cmp_le_i32_e32 vcc, s73, v2
	s_xor_b64 s[30:31], s[30:31], -1
	s_or_b64 s[30:31], vcc, s[30:31]
	s_and_b64 s[30:31], exec, s[30:31]
	s_or_b64 s[74:75], s[30:31], s[74:75]
	v_add_u32_e32 v24, s90, v24
	s_andn2_b64 exec, exec, s[74:75]
	s_cbranch_execz .LBB76_68
.LBB76_63:                              ;   Parent Loop BB76_15 Depth=1
                                        ; =>  This Inner Loop Header: Depth=2
	v_ashrrev_i32_e32 v3, 31, v2
	v_lshlrev_b64 v[26:27], 2, v[2:3]
	v_mov_b32_e32 v1, s39
	v_add_co_u32_e32 v26, vcc, s38, v26
	v_addc_co_u32_e32 v27, vcc, v1, v27, vcc
	global_load_dword v1, v[26:27], off
	s_waitcnt vmcnt(0)
	v_subrev_u32_e32 v1, s55, v1
	v_cmp_gt_i32_e64 s[30:31], s64, v1
	v_cmp_ge_i32_e64 s[34:35], v1, v51
	v_cmp_lt_i32_e32 vcc, v1, v51
	s_or_b64 s[34:35], s[30:31], s[34:35]
                                        ; implicit-def: $sgpr30_sgpr31
	s_and_saveexec_b64 s[76:77], s[34:35]
	s_xor_b64 s[34:35], exec, s[76:77]
; %bb.64:                               ;   in Loop: Header=BB76_63 Depth=2
	v_min_i32_e32 v1, v1, v52
	v_cndmask_b32_e32 v52, v1, v52, vcc
	s_and_b64 s[30:31], vcc, exec
                                        ; implicit-def: $vgpr1
; %bb.65:                               ;   in Loop: Header=BB76_63 Depth=2
	s_andn2_saveexec_b64 s[34:35], s[34:35]
	s_cbranch_execz .LBB76_62
; %bb.66:                               ;   in Loop: Header=BB76_63 Depth=2
	v_subrev_u32_e32 v1, s64, v1
	v_lshlrev_b32_e32 v3, 2, v1
	ds_write_b32 v3, v48 offset:36864
	s_and_saveexec_b64 s[76:77], s[4:5]
	s_cbranch_execz .LBB76_61
; %bb.67:                               ;   in Loop: Header=BB76_63 Depth=2
	v_ashrrev_i32_e32 v25, 31, v24
	v_lshlrev_b64 v[26:27], 4, v[24:25]
	v_mov_b32_e32 v3, s41
	v_add_co_u32_e32 v26, vcc, s40, v26
	v_addc_co_u32_e32 v27, vcc, v3, v27, vcc
	global_load_dwordx4 v[26:29], v[26:27], off
	v_lshlrev_b32_e32 v1, 4, v1
	v_or3_b32 v1, v1, v23, v16
	v_lshlrev_b32_e32 v1, 4, v1
	s_waitcnt vmcnt(0)
	v_mul_f64 v[30:31], v[28:29], -v[10:11]
	v_mul_f64 v[28:29], v[14:15], v[28:29]
	v_fmac_f64_e32 v[30:31], v[14:15], v[26:27]
	v_fmac_f64_e32 v[28:29], v[10:11], v[26:27]
	ds_add_f64 v1, v[30:31]
	ds_add_f64 v1, v[28:29] offset:8
	s_branch .LBB76_61
.LBB76_68:                              ;   in Loop: Header=BB76_15 Depth=1
	s_or_b64 exec, exec, s[74:75]
.LBB76_69:                              ;   in Loop: Header=BB76_15 Depth=1
	s_or_b64 exec, exec, s[66:67]
.LBB76_70:                              ;   in Loop: Header=BB76_15 Depth=1
	s_and_saveexec_b64 s[30:31], s[8:9]
	s_cbranch_execz .LBB76_75
; %bb.71:                               ;   in Loop: Header=BB76_15 Depth=1
	s_mov_b64 s[34:35], exec
	s_brev_b32 s66, -2
.LBB76_72:                              ;   Parent Loop BB76_15 Depth=1
                                        ; =>  This Inner Loop Header: Depth=2
	s_ff1_i32_b64 s67, s[34:35]
	v_readlane_b32 s73, v52, s67
	s_lshl_b64 s[74:75], 1, s67
	s_min_i32 s66, s66, s73
	s_andn2_b64 s[34:35], s[34:35], s[74:75]
	s_cmp_lg_u64 s[34:35], 0
	s_cbranch_scc1 .LBB76_72
; %bb.73:                               ;   in Loop: Header=BB76_15 Depth=1
	v_mbcnt_lo_u32_b32 v1, exec_lo, 0
	v_mbcnt_hi_u32_b32 v1, exec_hi, v1
	v_cmp_eq_u32_e32 vcc, 0, v1
	s_and_saveexec_b64 s[34:35], vcc
	s_xor_b64 s[34:35], exec, s[34:35]
	s_cbranch_execz .LBB76_75
; %bb.74:                               ;   in Loop: Header=BB76_15 Depth=1
	v_mov_b32_e32 v1, s66
	ds_min_i32 v0, v1 offset:37376
.LBB76_75:                              ;   in Loop: Header=BB76_15 Depth=1
	s_or_b64 exec, exec, s[30:31]
	s_waitcnt lgkmcnt(0)
	s_barrier
	ds_read_b32 v1, v35
	s_waitcnt lgkmcnt(0)
	s_barrier
	s_and_saveexec_b64 s[30:31], s[12:13]
	s_cbranch_execz .LBB76_77
; %bb.76:                               ;   in Loop: Header=BB76_15 Depth=1
	ds_read_b32 v2, v36
	s_waitcnt lgkmcnt(0)
	v_add_u32_e32 v1, v2, v1
.LBB76_77:                              ;   in Loop: Header=BB76_15 Depth=1
	s_or_b64 exec, exec, s[30:31]
	s_barrier
	ds_write_b32 v35, v1
	s_waitcnt lgkmcnt(0)
	s_barrier
	s_and_saveexec_b64 s[30:31], s[14:15]
	s_cbranch_execz .LBB76_79
; %bb.78:                               ;   in Loop: Header=BB76_15 Depth=1
	ds_read_b32 v2, v38
	s_waitcnt lgkmcnt(0)
	v_add_u32_e32 v1, v2, v1
.LBB76_79:                              ;   in Loop: Header=BB76_15 Depth=1
	s_or_b64 exec, exec, s[30:31]
	s_barrier
	ds_write_b32 v35, v1
	;; [unrolled: 12-line block ×7, first 2 shown]
	s_waitcnt lgkmcnt(0)
	s_barrier
	ds_read_b32 v24, v0 offset:37372
	v_mov_b32_e32 v2, 0
	s_and_saveexec_b64 s[30:31], s[10:11]
	s_cbranch_execz .LBB76_91
; %bb.90:                               ;   in Loop: Header=BB76_15 Depth=1
	ds_read_b32 v2, v36
.LBB76_91:                              ;   in Loop: Header=BB76_15 Depth=1
	s_or_b64 exec, exec, s[30:31]
	s_waitcnt lgkmcnt(0)
	v_cmp_eq_u32_e32 vcc, v1, v2
	s_and_b64 s[34:35], s[10:11], vcc
	s_barrier
	s_and_saveexec_b64 s[30:31], s[34:35]
	s_cbranch_execz .LBB76_93
; %bb.92:                               ;   in Loop: Header=BB76_15 Depth=1
	ds_write_b32 v35, v0
.LBB76_93:                              ;   in Loop: Header=BB76_15 Depth=1
	s_or_b64 exec, exec, s[30:31]
	v_add_u32_e32 v1, -1, v47
	s_add_i32 s64, s54, s64
	s_mov_b64 s[30:31], 0
	v_mov_b32_e32 v25, v46
	v_mov_b32_e32 v26, v19
	;; [unrolled: 1-line block ×3, first 2 shown]
	s_waitcnt lgkmcnt(0)
	s_barrier
	s_branch .LBB76_95
.LBB76_94:                              ;   in Loop: Header=BB76_95 Depth=2
	s_or_b64 exec, exec, s[34:35]
	v_add_u32_e32 v2, 16, v27
	v_cmp_lt_u32_e32 vcc, s65, v27
	v_add_u32_e32 v26, 0x1000, v26
	v_add_u32_e32 v25, 64, v25
	s_or_b64 s[30:31], vcc, s[30:31]
	v_mov_b32_e32 v27, v2
	s_andn2_b64 exec, exec, s[30:31]
	s_cbranch_execz .LBB76_14
.LBB76_95:                              ;   Parent Loop BB76_15 Depth=1
                                        ; =>  This Inner Loop Header: Depth=2
	ds_read_b32 v2, v25
	s_waitcnt lgkmcnt(0)
	v_cmp_ne_u32_e32 vcc, 0, v2
	s_and_saveexec_b64 s[34:35], vcc
	s_cbranch_execz .LBB76_94
; %bb.96:                               ;   in Loop: Header=BB76_95 Depth=2
	v_add_u32_e32 v2, v1, v2
	v_ashrrev_i32_e32 v3, 31, v2
	v_lshlrev_b64 v[28:29], 2, v[2:3]
	v_mov_b32_e32 v3, s61
	v_add_co_u32_e32 v28, vcc, s60, v28
	v_add_u32_e32 v30, s64, v27
	v_addc_co_u32_e32 v29, vcc, v3, v29, vcc
	global_store_dword v[28:29], v30, off
	s_and_b64 exec, exec, s[4:5]
	s_cbranch_execz .LBB76_94
; %bb.97:                               ;   in Loop: Header=BB76_95 Depth=2
	v_mad_u64_u32 v[2:3], s[66:67], v2, s58, v[20:21]
	v_mad_u64_u32 v[2:3], s[66:67], v2, s58, v[22:23]
	ds_read2_b64 v[28:31], v26 offset1:1
	v_ashrrev_i32_e32 v3, 31, v2
	v_lshlrev_b64 v[2:3], 4, v[2:3]
	v_mov_b32_e32 v32, s63
	v_add_co_u32_e32 v2, vcc, s62, v2
	v_addc_co_u32_e32 v3, vcc, v32, v3, vcc
	s_waitcnt lgkmcnt(0)
	global_store_dwordx4 v[2:3], v[28:31], off
	s_branch .LBB76_94
.LBB76_98:
	s_endpgm
	.section	.rodata,"a",@progbits
	.p2align	6, 0x0
	.amdhsa_kernel _ZN9rocsparseL38bsrgemm_block_per_row_atomic_multipassILj256ELj128ELj4Eii21rocsparse_complex_numIdEEEv20rocsparse_direction_T3_S4_PKS4_S6_NS_24const_host_device_scalarIT4_EEPKT2_S6_PKS8_SC_S6_SE_S9_SC_S6_SE_SC_PS4_PS8_PSA_21rocsparse_index_base_SI_SI_SI_bbb
		.amdhsa_group_segment_fixed_size 41480
		.amdhsa_private_segment_fixed_size 0
		.amdhsa_kernarg_size 188
		.amdhsa_user_sgpr_count 8
		.amdhsa_user_sgpr_private_segment_buffer 1
		.amdhsa_user_sgpr_dispatch_ptr 1
		.amdhsa_user_sgpr_queue_ptr 0
		.amdhsa_user_sgpr_kernarg_segment_ptr 1
		.amdhsa_user_sgpr_dispatch_id 0
		.amdhsa_user_sgpr_flat_scratch_init 0
		.amdhsa_user_sgpr_kernarg_preload_length 0
		.amdhsa_user_sgpr_kernarg_preload_offset 0
		.amdhsa_user_sgpr_private_segment_size 0
		.amdhsa_uses_dynamic_stack 0
		.amdhsa_system_sgpr_private_segment_wavefront_offset 0
		.amdhsa_system_sgpr_workgroup_id_x 1
		.amdhsa_system_sgpr_workgroup_id_y 0
		.amdhsa_system_sgpr_workgroup_id_z 0
		.amdhsa_system_sgpr_workgroup_info 0
		.amdhsa_system_vgpr_workitem_id 2
		.amdhsa_next_free_vgpr 62
		.amdhsa_next_free_sgpr 92
		.amdhsa_accum_offset 64
		.amdhsa_reserve_vcc 1
		.amdhsa_reserve_flat_scratch 0
		.amdhsa_float_round_mode_32 0
		.amdhsa_float_round_mode_16_64 0
		.amdhsa_float_denorm_mode_32 3
		.amdhsa_float_denorm_mode_16_64 3
		.amdhsa_dx10_clamp 1
		.amdhsa_ieee_mode 1
		.amdhsa_fp16_overflow 0
		.amdhsa_tg_split 0
		.amdhsa_exception_fp_ieee_invalid_op 0
		.amdhsa_exception_fp_denorm_src 0
		.amdhsa_exception_fp_ieee_div_zero 0
		.amdhsa_exception_fp_ieee_overflow 0
		.amdhsa_exception_fp_ieee_underflow 0
		.amdhsa_exception_fp_ieee_inexact 0
		.amdhsa_exception_int_div_zero 0
	.end_amdhsa_kernel
	.section	.text._ZN9rocsparseL38bsrgemm_block_per_row_atomic_multipassILj256ELj128ELj4Eii21rocsparse_complex_numIdEEEv20rocsparse_direction_T3_S4_PKS4_S6_NS_24const_host_device_scalarIT4_EEPKT2_S6_PKS8_SC_S6_SE_S9_SC_S6_SE_SC_PS4_PS8_PSA_21rocsparse_index_base_SI_SI_SI_bbb,"axG",@progbits,_ZN9rocsparseL38bsrgemm_block_per_row_atomic_multipassILj256ELj128ELj4Eii21rocsparse_complex_numIdEEEv20rocsparse_direction_T3_S4_PKS4_S6_NS_24const_host_device_scalarIT4_EEPKT2_S6_PKS8_SC_S6_SE_S9_SC_S6_SE_SC_PS4_PS8_PSA_21rocsparse_index_base_SI_SI_SI_bbb,comdat
.Lfunc_end76:
	.size	_ZN9rocsparseL38bsrgemm_block_per_row_atomic_multipassILj256ELj128ELj4Eii21rocsparse_complex_numIdEEEv20rocsparse_direction_T3_S4_PKS4_S6_NS_24const_host_device_scalarIT4_EEPKT2_S6_PKS8_SC_S6_SE_S9_SC_S6_SE_SC_PS4_PS8_PSA_21rocsparse_index_base_SI_SI_SI_bbb, .Lfunc_end76-_ZN9rocsparseL38bsrgemm_block_per_row_atomic_multipassILj256ELj128ELj4Eii21rocsparse_complex_numIdEEEv20rocsparse_direction_T3_S4_PKS4_S6_NS_24const_host_device_scalarIT4_EEPKT2_S6_PKS8_SC_S6_SE_S9_SC_S6_SE_SC_PS4_PS8_PSA_21rocsparse_index_base_SI_SI_SI_bbb
                                        ; -- End function
	.section	.AMDGPU.csdata,"",@progbits
; Kernel info:
; codeLenInByte = 3420
; NumSgprs: 96
; NumVgprs: 62
; NumAgprs: 0
; TotalNumVgprs: 62
; ScratchSize: 0
; MemoryBound: 0
; FloatMode: 240
; IeeeMode: 1
; LDSByteSize: 41480 bytes/workgroup (compile time only)
; SGPRBlocks: 11
; VGPRBlocks: 7
; NumSGPRsForWavesPerEU: 96
; NumVGPRsForWavesPerEU: 62
; AccumOffset: 64
; Occupancy: 1
; WaveLimiterHint : 1
; COMPUTE_PGM_RSRC2:SCRATCH_EN: 0
; COMPUTE_PGM_RSRC2:USER_SGPR: 8
; COMPUTE_PGM_RSRC2:TRAP_HANDLER: 0
; COMPUTE_PGM_RSRC2:TGID_X_EN: 1
; COMPUTE_PGM_RSRC2:TGID_Y_EN: 0
; COMPUTE_PGM_RSRC2:TGID_Z_EN: 0
; COMPUTE_PGM_RSRC2:TIDIG_COMP_CNT: 2
; COMPUTE_PGM_RSRC3_GFX90A:ACCUM_OFFSET: 15
; COMPUTE_PGM_RSRC3_GFX90A:TG_SPLIT: 0
	.section	.text._ZN9rocsparseL23bsrgemm_fill_wf_per_rowILj256ELj64ELj8ELj137ELj8Eii21rocsparse_complex_numIdEEEv20rocsparse_direction_T5_S4_S4_PKS4_S6_NS_24const_host_device_scalarIT6_EEPKT4_S6_PKS8_SC_S6_SE_S9_SC_S6_SE_SC_PS4_PS8_21rocsparse_index_base_SH_SH_SH_bbb,"axG",@progbits,_ZN9rocsparseL23bsrgemm_fill_wf_per_rowILj256ELj64ELj8ELj137ELj8Eii21rocsparse_complex_numIdEEEv20rocsparse_direction_T5_S4_S4_PKS4_S6_NS_24const_host_device_scalarIT6_EEPKT4_S6_PKS8_SC_S6_SE_S9_SC_S6_SE_SC_PS4_PS8_21rocsparse_index_base_SH_SH_SH_bbb,comdat
	.globl	_ZN9rocsparseL23bsrgemm_fill_wf_per_rowILj256ELj64ELj8ELj137ELj8Eii21rocsparse_complex_numIdEEEv20rocsparse_direction_T5_S4_S4_PKS4_S6_NS_24const_host_device_scalarIT6_EEPKT4_S6_PKS8_SC_S6_SE_S9_SC_S6_SE_SC_PS4_PS8_21rocsparse_index_base_SH_SH_SH_bbb ; -- Begin function _ZN9rocsparseL23bsrgemm_fill_wf_per_rowILj256ELj64ELj8ELj137ELj8Eii21rocsparse_complex_numIdEEEv20rocsparse_direction_T5_S4_S4_PKS4_S6_NS_24const_host_device_scalarIT6_EEPKT4_S6_PKS8_SC_S6_SE_S9_SC_S6_SE_SC_PS4_PS8_21rocsparse_index_base_SH_SH_SH_bbb
	.p2align	8
	.type	_ZN9rocsparseL23bsrgemm_fill_wf_per_rowILj256ELj64ELj8ELj137ELj8Eii21rocsparse_complex_numIdEEEv20rocsparse_direction_T5_S4_S4_PKS4_S6_NS_24const_host_device_scalarIT6_EEPKT4_S6_PKS8_SC_S6_SE_S9_SC_S6_SE_SC_PS4_PS8_21rocsparse_index_base_SH_SH_SH_bbb,@function
_ZN9rocsparseL23bsrgemm_fill_wf_per_rowILj256ELj64ELj8ELj137ELj8Eii21rocsparse_complex_numIdEEEv20rocsparse_direction_T5_S4_S4_PKS4_S6_NS_24const_host_device_scalarIT6_EEPKT4_S6_PKS8_SC_S6_SE_S9_SC_S6_SE_SC_PS4_PS8_21rocsparse_index_base_SH_SH_SH_bbb: ; @_ZN9rocsparseL23bsrgemm_fill_wf_per_rowILj256ELj64ELj8ELj137ELj8Eii21rocsparse_complex_numIdEEEv20rocsparse_direction_T5_S4_S4_PKS4_S6_NS_24const_host_device_scalarIT6_EEPKT4_S6_PKS8_SC_S6_SE_S9_SC_S6_SE_SC_PS4_PS8_21rocsparse_index_base_SH_SH_SH_bbb
; %bb.0:
	s_load_dword s9, s[6:7], 0xb0
	s_load_dwordx2 s[2:3], s[4:5], 0x4
	s_load_dwordx4 s[16:19], s[6:7], 0x20
	s_load_dwordx4 s[12:15], s[6:7], 0x60
	v_and_b32_e32 v11, 0x3ff, v0
	v_bfe_u32 v2, v0, 10, 10
	s_waitcnt lgkmcnt(0)
	s_bitcmp1_b32 s9, 0
	s_cselect_b64 s[4:5], -1, 0
	s_bitcmp1_b32 s9, 16
	s_cselect_b64 s[0:1], -1, 0
	s_lshr_b32 s2, s2, 16
	s_mul_i32 s2, s2, s3
	v_mul_lo_u32 v1, s2, v11
	v_mad_u32_u24 v1, v2, s3, v1
	v_bfe_u32 v0, v0, 20, 10
	v_add_lshl_u32 v0, v1, v0, 3
	v_pk_mov_b32 v[2:3], s[16:17], s[16:17] op_sel:[0,1]
	v_pk_mov_b32 v[4:5], s[12:13], s[12:13] op_sel:[0,1]
	v_add_u32_e32 v1, 0x80, v0
	s_xor_b64 s[2:3], s[0:1], -1
	ds_write2st64_b64 v1, v[4:5], v[2:3] offset0:64 offset1:68
	v_pk_mov_b32 v[4:5], 0, 0
	v_cndmask_b32_e64 v1, 0, 1, s[2:3]
	s_bitcmp0_b32 s9, 0
	v_cmp_ne_u32_e64 s[2:3], 1, v1
	v_pk_mov_b32 v[12:13], v[4:5], v[4:5] op_sel:[0,1]
	v_pk_mov_b32 v[14:15], v[4:5], v[4:5] op_sel:[0,1]
	s_cbranch_scc1 .LBB77_3
; %bb.1:
	s_mov_b64 s[10:11], src_shared_base
	s_and_b64 s[20:21], s[0:1], exec
	v_add_u32_e32 v1, 0x8880, v0
	s_cselect_b32 s10, s11, s17
	v_mov_b32_e32 v2, s16
	v_cndmask_b32_e64 v2, v2, v1, s[0:1]
	v_mov_b32_e32 v3, s10
	flat_load_dwordx2 v[12:13], v[2:3]
	s_and_b64 vcc, exec, s[2:3]
	v_pk_mov_b32 v[14:15], s[18:19], s[18:19] op_sel:[0,1]
	s_cbranch_vccnz .LBB77_3
; %bb.2:
	v_pk_mov_b32 v[2:3], s[16:17], s[16:17] op_sel:[0,1]
	flat_load_dwordx2 v[14:15], v[2:3] offset:8
.LBB77_3:
	s_load_dwordx4 s[28:31], s[6:7], 0xa0
	s_bitcmp1_b32 s9, 8
	s_cselect_b64 s[10:11], -1, 0
	s_bfe_u32 s9, s9, 0x10008
	s_cmp_eq_u32 s9, 0
	v_pk_mov_b32 v[6:7], v[4:5], v[4:5] op_sel:[0,1]
	s_cbranch_scc1 .LBB77_6
; %bb.4:
	s_mov_b64 s[16:17], src_shared_base
	s_and_b64 s[18:19], s[0:1], exec
	v_add_u32_e32 v0, 0x8080, v0
	s_cselect_b32 s9, s17, s13
	v_mov_b32_e32 v1, s12
	v_cndmask_b32_e64 v0, v1, v0, s[0:1]
	v_mov_b32_e32 v1, s9
	flat_load_dwordx2 v[6:7], v[0:1]
	s_and_b64 vcc, exec, s[2:3]
	v_pk_mov_b32 v[4:5], s[14:15], s[14:15] op_sel:[0,1]
	s_cbranch_vccnz .LBB77_6
; %bb.5:
	v_pk_mov_b32 v[0:1], s[12:13], s[12:13] op_sel:[0,1]
	flat_load_dwordx2 v[4:5], v[0:1] offset:8
.LBB77_6:
	s_load_dwordx4 s[44:47], s[6:7], 0x90
	s_load_dwordx8 s[20:27], s[6:7], 0x70
	s_load_dwordx4 s[48:51], s[6:7], 0x50
	s_load_dwordx8 s[12:19], s[6:7], 0x0
	s_load_dwordx8 s[36:43], s[6:7], 0x30
	v_and_b32_e32 v9, 63, v11
	v_lshrrev_b32_e32 v8, 6, v11
	v_mov_b32_e32 v0, 0x8000
	v_lshl_or_b32 v36, v8, 5, v0
	v_cmp_gt_u32_e32 vcc, 8, v9
	s_and_saveexec_b64 s[0:1], vcc
	s_cbranch_execz .LBB77_8
; %bb.7:
	v_lshl_add_u32 v0, v9, 2, v36
	s_waitcnt lgkmcnt(0)
	v_mov_b32_e32 v1, s14
	ds_write_b32 v0, v1
.LBB77_8:
	s_or_b64 exec, exec, s[0:1]
	v_lshlrev_b32_e32 v37, 4, v9
	v_mov_b32_e32 v0, 0
	v_or_b32_e32 v10, 0xffffffc0, v9
	v_lshl_or_b32 v16, v8, 13, v37
	s_mov_b64 s[0:1], 0
	v_mov_b32_e32 v1, v0
	v_mov_b32_e32 v2, v0
	;; [unrolled: 1-line block ×3, first 2 shown]
	s_movk_i32 s2, 0x1bf
.LBB77_9:                               ; =>This Inner Loop Header: Depth=1
	v_add_u32_e32 v10, 64, v10
	v_cmp_lt_u32_e32 vcc, s2, v10
	ds_write_b128 v16, v[0:3]
	s_or_b64 s[0:1], vcc, s[0:1]
	v_add_u32_e32 v16, 0x400, v16
	s_andn2_b64 exec, exec, s[0:1]
	s_cbranch_execnz .LBB77_9
; %bb.10:
	s_or_b64 exec, exec, s[0:1]
	v_lshl_or_b32 v0, s8, 2, v8
	s_waitcnt lgkmcnt(0)
	v_cmp_gt_i32_e32 vcc, s13, v0
	s_barrier
	s_and_saveexec_b64 s[0:1], vcc
	s_cbranch_execz .LBB77_85
; %bb.11:
	s_cmp_eq_u64 s[18:19], 0
	s_cbranch_scc1 .LBB77_13
; %bb.12:
	s_load_dword s0, s[16:17], 0x0
	v_mov_b32_e32 v2, s19
	s_waitcnt lgkmcnt(0)
	v_add_u32_e32 v0, s0, v0
	v_ashrrev_i32_e32 v1, 31, v0
	v_lshlrev_b64 v[0:1], 2, v[0:1]
	v_add_co_u32_e32 v0, vcc, s18, v0
	v_addc_co_u32_e32 v1, vcc, v2, v1, vcc
	global_load_dword v0, v[0:1], off
.LBB77_13:
	v_lshlrev_b32_e32 v1, 7, v11
	v_lshrrev_b32_e32 v10, 3, v9
	v_and_b32_e32 v9, 0x6000, v1
	s_waitcnt vmcnt(0)
	v_ashrrev_i32_e32 v1, 31, v0
	v_and_b32_e32 v8, 7, v11
	s_andn2_b64 vcc, exec, s[4:5]
	v_lshlrev_b64 v[0:1], 2, v[0:1]
	s_cbranch_vccnz .LBB77_43
; %bb.14:
	v_mov_b32_e32 v3, s37
	v_add_co_u32_e32 v2, vcc, s36, v0
	v_addc_co_u32_e32 v3, vcc, v3, v1, vcc
	global_load_dwordx2 v[2:3], v[2:3], off
	s_waitcnt vmcnt(0)
	v_cmp_lt_i32_e32 vcc, v2, v3
	s_and_saveexec_b64 s[6:7], vcc
	s_cbranch_execz .LBB77_42
; %bb.15:
	s_cmp_lg_u32 s12, 0
	s_cselect_b64 s[2:3], -1, 0
	s_cmp_gt_i32 s15, 0
	v_subrev_u32_e32 v38, s28, v3
	v_max_i32_e32 v3, v8, v10
	s_cselect_b64 s[4:5], -1, 0
	s_add_u32 s33, s50, 8
	v_subrev_u32_e32 v2, s28, v2
	v_cmp_gt_i32_e64 s[0:1], s15, v3
	s_mul_i32 s13, s15, s15
	s_addc_u32 s62, s51, 0
	v_cndmask_b32_e64 v3, 0, 1, s[2:3]
	v_mad_u64_u32 v[16:17], s[8:9], s13, v2, v[10:11]
	s_add_u32 s63, s40, 8
	v_mad_u64_u32 v[18:19], s[8:9], s15, v2, v[10:11]
	v_cmp_ne_u32_e64 s[2:3], 1, v3
	v_cndmask_b32_e64 v3, 0, 1, s[4:5]
	s_addc_u32 s64, s41, 0
	v_mul_lo_u32 v18, s15, v18
	s_mov_b64 s[8:9], 0
	v_mov_b32_e32 v17, s39
	v_mov_b32_e32 v39, s43
	v_cmp_ne_u32_e64 s[4:5], 1, v3
	v_mov_b32_e32 v40, s51
	s_branch .LBB77_17
.LBB77_16:                              ;   in Loop: Header=BB77_17 Depth=1
	s_or_b64 exec, exec, s[16:17]
	v_add_u32_e32 v2, 1, v2
	v_cmp_ge_i32_e32 vcc, v2, v38
	v_add_u32_e32 v16, s13, v16
	s_or_b64 s[8:9], vcc, s[8:9]
	v_add_u32_e32 v18, s13, v18
	s_andn2_b64 exec, exec, s[8:9]
	s_cbranch_execz .LBB77_42
.LBB77_17:                              ; =>This Loop Header: Depth=1
                                        ;     Child Loop BB77_20 Depth 2
                                        ;       Child Loop BB77_24 Depth 3
                                        ;       Child Loop BB77_29 Depth 3
	;; [unrolled: 1-line block ×3, first 2 shown]
	v_ashrrev_i32_e32 v3, 31, v2
	v_lshlrev_b64 v[20:21], 2, v[2:3]
	v_add_co_u32_e32 v20, vcc, s38, v20
	v_addc_co_u32_e32 v21, vcc, v17, v21, vcc
	global_load_dword v3, v[20:21], off
	s_waitcnt vmcnt(0)
	v_subrev_u32_e32 v20, s28, v3
	v_ashrrev_i32_e32 v21, 31, v20
	v_lshlrev_b64 v[20:21], 2, v[20:21]
	v_add_co_u32_e32 v20, vcc, s42, v20
	v_addc_co_u32_e32 v21, vcc, v39, v21, vcc
	global_load_dwordx2 v[22:23], v[20:21], off
	s_waitcnt vmcnt(0)
	v_cmp_lt_i32_e32 vcc, v22, v23
	s_and_saveexec_b64 s[16:17], vcc
	s_cbranch_execz .LBB77_16
; %bb.18:                               ;   in Loop: Header=BB77_17 Depth=1
	v_ashrrev_i32_e32 v19, 31, v18
	v_lshlrev_b64 v[20:21], 4, v[18:19]
	v_subrev_u32_e32 v22, s29, v22
	v_mov_b32_e32 v3, s64
	v_add_co_u32_e32 v20, vcc, s63, v20
	v_mad_u64_u32 v[24:25], s[18:19], s15, v22, v[8:9]
	v_mad_u64_u32 v[26:27], s[18:19], s13, v22, v[8:9]
	v_addc_co_u32_e32 v21, vcc, v3, v21, vcc
	v_subrev_u32_e32 v3, s29, v23
	v_mul_lo_u32 v24, s15, v24
	s_mov_b64 s[18:19], 0
	s_branch .LBB77_20
.LBB77_19:                              ;   in Loop: Header=BB77_20 Depth=2
	s_or_b64 exec, exec, s[34:35]
	v_add_u32_e32 v22, 1, v22
	v_cmp_ge_i32_e32 vcc, v22, v3
	v_add_u32_e32 v24, s13, v24
	s_or_b64 s[18:19], vcc, s[18:19]
	v_add_u32_e32 v26, s13, v26
	s_andn2_b64 exec, exec, s[18:19]
	s_cbranch_execz .LBB77_16
.LBB77_20:                              ;   Parent Loop BB77_17 Depth=1
                                        ; =>  This Loop Header: Depth=2
                                        ;       Child Loop BB77_24 Depth 3
                                        ;       Child Loop BB77_29 Depth 3
	;; [unrolled: 1-line block ×3, first 2 shown]
	s_and_saveexec_b64 s[34:35], s[0:1]
	s_cbranch_execz .LBB77_19
; %bb.21:                               ;   in Loop: Header=BB77_20 Depth=2
	v_ashrrev_i32_e32 v23, 31, v22
	v_lshlrev_b64 v[28:29], 2, v[22:23]
	v_mov_b32_e32 v19, s49
	v_add_co_u32_e32 v28, vcc, s48, v28
	v_addc_co_u32_e32 v29, vcc, v19, v29, vcc
	global_load_dword v19, v[28:29], off
	s_and_b64 vcc, exec, s[2:3]
	s_cbranch_vccnz .LBB77_26
; %bb.22:                               ;   in Loop: Header=BB77_20 Depth=2
	v_pk_mov_b32 v[28:29], 0, 0
	s_mov_b64 s[36:37], 0
	s_and_b64 vcc, exec, s[4:5]
	v_pk_mov_b32 v[30:31], v[28:29], v[28:29] op_sel:[0,1]
	s_cbranch_vccnz .LBB77_25
; %bb.23:                               ;   in Loop: Header=BB77_20 Depth=2
	v_ashrrev_i32_e32 v25, 31, v24
	v_lshlrev_b64 v[28:29], 4, v[24:25]
	v_mov_b32_e32 v23, s62
	v_add_co_u32_e32 v32, vcc, s33, v28
	v_addc_co_u32_e32 v33, vcc, v23, v29, vcc
	v_pk_mov_b32 v[28:29], 0, 0
	v_mov_b32_e32 v34, v16
	s_mov_b32 s39, s15
	v_pk_mov_b32 v[30:31], v[28:29], v[28:29] op_sel:[0,1]
.LBB77_24:                              ;   Parent Loop BB77_17 Depth=1
                                        ;     Parent Loop BB77_20 Depth=2
                                        ; =>    This Inner Loop Header: Depth=3
	v_ashrrev_i32_e32 v35, 31, v34
	v_lshlrev_b64 v[46:47], 4, v[34:35]
	v_mov_b32_e32 v23, s41
	v_add_co_u32_e32 v46, vcc, s40, v46
	v_addc_co_u32_e32 v47, vcc, v23, v47, vcc
	global_load_dwordx4 v[42:45], v[32:33], off offset:-8
	s_add_i32 s39, s39, -1
	global_load_dwordx4 v[46:49], v[46:47], off
	v_add_co_u32_e32 v32, vcc, 16, v32
	v_addc_co_u32_e32 v33, vcc, 0, v33, vcc
	v_add_u32_e32 v34, s15, v34
	s_cmp_lg_u32 s39, 0
	s_waitcnt vmcnt(0)
	v_fmac_f64_e32 v[28:29], v[46:47], v[42:43]
	v_fmac_f64_e32 v[30:31], v[48:49], v[42:43]
	v_fma_f64 v[28:29], -v[48:49], v[44:45], v[28:29]
	v_fmac_f64_e32 v[30:31], v[46:47], v[44:45]
	s_cbranch_scc1 .LBB77_24
.LBB77_25:                              ;   in Loop: Header=BB77_20 Depth=2
	s_andn2_b64 vcc, exec, s[36:37]
	s_cbranch_vccz .LBB77_27
	s_branch .LBB77_30
.LBB77_26:                              ;   in Loop: Header=BB77_20 Depth=2
                                        ; implicit-def: $vgpr28_vgpr29
                                        ; implicit-def: $vgpr30_vgpr31
.LBB77_27:                              ;   in Loop: Header=BB77_20 Depth=2
	v_pk_mov_b32 v[28:29], 0, 0
	s_and_b64 vcc, exec, s[4:5]
	v_pk_mov_b32 v[30:31], v[28:29], v[28:29] op_sel:[0,1]
	s_cbranch_vccnz .LBB77_30
; %bb.28:                               ;   in Loop: Header=BB77_20 Depth=2
	v_pk_mov_b32 v[28:29], 0, 0
	v_pk_mov_b32 v[32:33], v[20:21], v[20:21] op_sel:[0,1]
	v_mov_b32_e32 v34, v26
	s_mov_b32 s36, s15
	v_pk_mov_b32 v[30:31], v[28:29], v[28:29] op_sel:[0,1]
.LBB77_29:                              ;   Parent Loop BB77_17 Depth=1
                                        ;     Parent Loop BB77_20 Depth=2
                                        ; =>    This Inner Loop Header: Depth=3
	v_ashrrev_i32_e32 v35, 31, v34
	v_lshlrev_b64 v[46:47], 4, v[34:35]
	v_add_co_u32_e32 v46, vcc, s50, v46
	v_addc_co_u32_e32 v47, vcc, v40, v47, vcc
	global_load_dwordx4 v[42:45], v[32:33], off offset:-8
	s_add_i32 s36, s36, -1
	global_load_dwordx4 v[46:49], v[46:47], off
	v_add_co_u32_e32 v32, vcc, 16, v32
	v_addc_co_u32_e32 v33, vcc, 0, v33, vcc
	v_add_u32_e32 v34, s15, v34
	s_cmp_eq_u32 s36, 0
	s_waitcnt vmcnt(0)
	v_fmac_f64_e32 v[28:29], v[42:43], v[46:47]
	v_fmac_f64_e32 v[30:31], v[44:45], v[46:47]
	v_fma_f64 v[28:29], -v[44:45], v[48:49], v[28:29]
	v_fmac_f64_e32 v[30:31], v[42:43], v[48:49]
	s_cbranch_scc0 .LBB77_29
.LBB77_30:                              ;   in Loop: Header=BB77_20 Depth=2
	s_waitcnt vmcnt(0)
	v_subrev_u32_e32 v19, s29, v19
	v_mul_f64 v[32:33], v[30:31], -v[14:15]
	v_mul_f64 v[30:31], v[12:13], v[30:31]
	v_fmac_f64_e32 v[32:33], v[12:13], v[28:29]
	v_fmac_f64_e32 v[30:31], v[14:15], v[28:29]
	v_and_b32_e32 v23, 7, v19
	s_mov_b64 s[36:37], 0
	s_branch .LBB77_32
.LBB77_31:                              ;   in Loop: Header=BB77_32 Depth=3
	s_or_b64 exec, exec, s[52:53]
	s_xor_b64 s[52:53], s[54:55], -1
	s_and_b64 s[52:53], exec, s[52:53]
	s_or_b64 s[36:37], s[52:53], s[36:37]
	s_andn2_b64 exec, exec, s[36:37]
	s_cbranch_execz .LBB77_19
.LBB77_32:                              ;   Parent Loop BB77_17 Depth=1
                                        ;     Parent Loop BB77_20 Depth=2
                                        ; =>    This Inner Loop Header: Depth=3
	v_lshl_add_u32 v25, v23, 2, v36
	ds_read_b32 v27, v25
                                        ; implicit-def: $sgpr54_sgpr55
	s_waitcnt lgkmcnt(0)
	v_cmp_ne_u32_e32 vcc, v27, v19
	s_and_saveexec_b64 s[52:53], vcc
	s_xor_b64 s[52:53], exec, s[52:53]
	s_cbranch_execz .LBB77_40
; %bb.33:                               ;   in Loop: Header=BB77_32 Depth=3
	v_cmp_ne_u32_e32 vcc, s14, v27
                                        ; implicit-def: $sgpr54_sgpr55
	s_and_saveexec_b64 s[56:57], vcc
	s_xor_b64 s[56:57], exec, s[56:57]
; %bb.34:                               ;   in Loop: Header=BB77_32 Depth=3
	v_add_u32_e32 v23, 1, v23
	v_and_b32_e32 v23, 7, v23
	s_mov_b64 s[54:55], -1
                                        ; implicit-def: $vgpr25
; %bb.35:                               ;   in Loop: Header=BB77_32 Depth=3
	s_andn2_saveexec_b64 s[56:57], s[56:57]
	s_cbranch_execz .LBB77_39
; %bb.36:                               ;   in Loop: Header=BB77_32 Depth=3
	v_mov_b32_e32 v27, s14
	ds_cmpst_rtn_b32 v25, v25, v27, v19
	s_mov_b64 s[60:61], -1
	s_waitcnt lgkmcnt(0)
	v_cmp_eq_u32_e32 vcc, s14, v25
	s_and_saveexec_b64 s[58:59], vcc
	s_cbranch_execz .LBB77_38
; %bb.37:                               ;   in Loop: Header=BB77_32 Depth=3
	v_lshl_or_b32 v25, v23, 10, v37
	v_add_u32_e32 v25, v9, v25
	ds_add_f64 v25, v[32:33]
	ds_add_f64 v25, v[30:31] offset:8
	s_xor_b64 s[60:61], exec, -1
.LBB77_38:                              ;   in Loop: Header=BB77_32 Depth=3
	s_or_b64 exec, exec, s[58:59]
	s_andn2_b64 s[54:55], s[54:55], exec
	s_and_b64 s[58:59], s[60:61], exec
	s_or_b64 s[54:55], s[54:55], s[58:59]
.LBB77_39:                              ;   in Loop: Header=BB77_32 Depth=3
	s_or_b64 exec, exec, s[56:57]
	s_and_b64 s[54:55], s[54:55], exec
.LBB77_40:                              ;   in Loop: Header=BB77_32 Depth=3
	s_andn2_saveexec_b64 s[52:53], s[52:53]
	s_cbranch_execz .LBB77_31
; %bb.41:                               ;   in Loop: Header=BB77_32 Depth=3
	v_lshl_or_b32 v25, v23, 10, v37
	v_add_u32_e32 v25, v9, v25
	ds_add_f64 v25, v[32:33]
	ds_add_f64 v25, v[30:31] offset:8
	s_andn2_b64 s[54:55], s[54:55], exec
	s_branch .LBB77_31
.LBB77_42:
	s_or_b64 exec, exec, s[6:7]
.LBB77_43:
	s_andn2_b64 vcc, exec, s[10:11]
	s_waitcnt lgkmcnt(0)
	s_barrier
	s_cbranch_vccnz .LBB77_61
; %bb.44:
	v_mov_b32_e32 v3, s21
	v_add_co_u32_e32 v2, vcc, s20, v0
	v_addc_co_u32_e32 v3, vcc, v3, v1, vcc
	global_load_dwordx2 v[2:3], v[2:3], off
	s_waitcnt vmcnt(0)
	v_cmp_lt_i32_e32 vcc, v2, v3
	s_and_saveexec_b64 s[2:3], vcc
	s_cbranch_execz .LBB77_60
; %bb.45:
	s_cmp_eq_u32 s12, 0
	v_subrev_u32_e32 v13, s31, v3
	v_max_i32_e32 v3, v8, v10
	s_cselect_b64 s[0:1], -1, 0
	v_subrev_u32_e32 v2, s31, v2
	v_cmp_gt_i32_e32 vcc, s15, v3
	v_cndmask_b32_e64 v12, v8, v10, s[0:1]
	v_cndmask_b32_e64 v14, v10, v8, s[0:1]
	s_mov_b64 s[4:5], 0
	s_branch .LBB77_47
.LBB77_46:                              ;   in Loop: Header=BB77_47 Depth=1
	s_or_b64 exec, exec, s[6:7]
	v_add_u32_e32 v2, 1, v2
	v_cmp_ge_i32_e64 s[0:1], v2, v13
	s_or_b64 s[4:5], s[0:1], s[4:5]
	s_andn2_b64 exec, exec, s[4:5]
	s_cbranch_execz .LBB77_60
.LBB77_47:                              ; =>This Loop Header: Depth=1
                                        ;     Child Loop BB77_50 Depth 2
	s_and_saveexec_b64 s[6:7], vcc
	s_cbranch_execz .LBB77_46
; %bb.48:                               ;   in Loop: Header=BB77_47 Depth=1
	v_ashrrev_i32_e32 v3, 31, v2
	v_lshlrev_b64 v[16:17], 2, v[2:3]
	v_mov_b32_e32 v3, s23
	v_add_co_u32_e64 v16, s[0:1], s22, v16
	v_addc_co_u32_e64 v17, s[0:1], v3, v17, s[0:1]
	global_load_dword v3, v[16:17], off
	v_mad_u64_u32 v[16:17], s[0:1], v2, s15, v[12:13]
	v_mad_u64_u32 v[16:17], s[0:1], v16, s15, v[14:15]
	v_ashrrev_i32_e32 v17, 31, v16
	v_lshlrev_b64 v[16:17], 4, v[16:17]
	v_mov_b32_e32 v15, s25
	v_add_co_u32_e64 v16, s[0:1], s24, v16
	v_addc_co_u32_e64 v17, s[0:1], v15, v17, s[0:1]
	global_load_dwordx4 v[20:23], v[16:17], off
	s_mov_b64 s[8:9], 0
	s_waitcnt vmcnt(1)
	v_subrev_u32_e32 v3, s31, v3
	v_and_b32_e32 v15, 7, v3
	s_waitcnt vmcnt(0)
	v_mul_f64 v[16:17], v[22:23], -v[4:5]
	v_mul_f64 v[18:19], v[6:7], v[22:23]
	v_fmac_f64_e32 v[16:17], v[6:7], v[20:21]
	v_fmac_f64_e32 v[18:19], v[4:5], v[20:21]
	s_branch .LBB77_50
.LBB77_49:                              ;   in Loop: Header=BB77_50 Depth=2
	s_or_b64 exec, exec, s[0:1]
	s_xor_b64 s[0:1], s[16:17], -1
	s_and_b64 s[0:1], exec, s[0:1]
	s_or_b64 s[8:9], s[0:1], s[8:9]
	s_andn2_b64 exec, exec, s[8:9]
	s_cbranch_execz .LBB77_46
.LBB77_50:                              ;   Parent Loop BB77_47 Depth=1
                                        ; =>  This Inner Loop Header: Depth=2
	v_lshl_add_u32 v20, v15, 2, v36
	ds_read_b32 v21, v20
                                        ; implicit-def: $sgpr16_sgpr17
	s_waitcnt lgkmcnt(0)
	v_cmp_ne_u32_e64 s[0:1], v21, v3
	s_and_saveexec_b64 s[10:11], s[0:1]
	s_xor_b64 s[10:11], exec, s[10:11]
	s_cbranch_execz .LBB77_58
; %bb.51:                               ;   in Loop: Header=BB77_50 Depth=2
	v_cmp_ne_u32_e64 s[0:1], s14, v21
                                        ; implicit-def: $sgpr16_sgpr17
	s_and_saveexec_b64 s[18:19], s[0:1]
	s_xor_b64 s[0:1], exec, s[18:19]
; %bb.52:                               ;   in Loop: Header=BB77_50 Depth=2
	v_add_u32_e32 v15, 1, v15
	v_and_b32_e32 v15, 7, v15
	s_mov_b64 s[16:17], -1
                                        ; implicit-def: $vgpr20
; %bb.53:                               ;   in Loop: Header=BB77_50 Depth=2
	s_andn2_saveexec_b64 s[18:19], s[0:1]
	s_cbranch_execz .LBB77_57
; %bb.54:                               ;   in Loop: Header=BB77_50 Depth=2
	v_mov_b32_e32 v21, s14
	ds_cmpst_rtn_b32 v20, v20, v21, v3
	s_mov_b64 s[28:29], -1
	s_waitcnt lgkmcnt(0)
	v_cmp_eq_u32_e64 s[0:1], s14, v20
	s_and_saveexec_b64 s[20:21], s[0:1]
	s_cbranch_execz .LBB77_56
; %bb.55:                               ;   in Loop: Header=BB77_50 Depth=2
	v_lshl_or_b32 v20, v15, 10, v37
	v_add_u32_e32 v20, v9, v20
	ds_add_f64 v20, v[16:17]
	ds_add_f64 v20, v[18:19] offset:8
	s_xor_b64 s[28:29], exec, -1
.LBB77_56:                              ;   in Loop: Header=BB77_50 Depth=2
	s_or_b64 exec, exec, s[20:21]
	s_andn2_b64 s[0:1], s[16:17], exec
	s_and_b64 s[16:17], s[28:29], exec
	s_or_b64 s[16:17], s[0:1], s[16:17]
.LBB77_57:                              ;   in Loop: Header=BB77_50 Depth=2
	s_or_b64 exec, exec, s[18:19]
	s_and_b64 s[16:17], s[16:17], exec
.LBB77_58:                              ;   in Loop: Header=BB77_50 Depth=2
	s_andn2_saveexec_b64 s[0:1], s[10:11]
	s_cbranch_execz .LBB77_49
; %bb.59:                               ;   in Loop: Header=BB77_50 Depth=2
	v_lshl_or_b32 v20, v15, 10, v37
	v_add_u32_e32 v20, v9, v20
	ds_add_f64 v20, v[16:17]
	ds_add_f64 v20, v[18:19] offset:8
	s_andn2_b64 s[16:17], s[16:17], exec
	s_branch .LBB77_49
.LBB77_60:
	s_or_b64 exec, exec, s[2:3]
.LBB77_61:
	v_mov_b32_e32 v2, s27
	v_add_co_u32_e32 v0, vcc, s26, v0
	v_addc_co_u32_e32 v1, vcc, v2, v1, vcc
	s_waitcnt lgkmcnt(0)
	s_barrier
	global_load_dword v12, v[0:1], off
	ds_read_b128 v[4:7], v36
	ds_read_b128 v[0:3], v36 offset:16
	s_cmp_eq_u32 s12, 0
	v_max_i32_e32 v13, v8, v10
	v_lshlrev_b32_e32 v14, 3, v8
	v_and_b32_e32 v11, 56, v11
	s_cselect_b64 s[0:1], -1, 0
	v_cmp_gt_i32_e32 vcc, s15, v13
	v_cndmask_b32_e64 v11, v14, v11, s[0:1]
	v_cndmask_b32_e64 v14, v10, v8, s[0:1]
	s_waitcnt lgkmcnt(1)
	v_cmp_gt_i32_e64 s[0:1], s14, v4
	s_waitcnt vmcnt(0)
	v_subrev_u32_e32 v15, s30, v12
	s_and_saveexec_b64 s[2:3], s[0:1]
	s_cbranch_execz .LBB77_64
; %bb.62:
	v_cmp_gt_i32_e64 s[0:1], v4, v5
	v_addc_co_u32_e64 v12, s[0:1], 0, v15, s[0:1]
	v_cmp_gt_i32_e64 s[0:1], v4, v6
	v_cndmask_b32_e64 v13, 0, 1, s[0:1]
	v_cmp_gt_i32_e64 s[0:1], v4, v7
	v_addc_co_u32_e64 v12, s[0:1], v12, v13, s[0:1]
	s_waitcnt lgkmcnt(0)
	v_cmp_gt_i32_e64 s[0:1], v4, v0
	v_cndmask_b32_e64 v13, 0, 1, s[0:1]
	v_cmp_gt_i32_e64 s[0:1], v4, v1
	v_addc_co_u32_e64 v12, s[0:1], v12, v13, s[0:1]
	v_cmp_gt_i32_e64 s[0:1], v4, v2
	v_cndmask_b32_e64 v13, 0, 1, s[0:1]
	v_cmp_gt_i32_e64 s[0:1], v4, v3
	v_addc_co_u32_e64 v12, s[0:1], v12, v13, s[0:1]
	v_ashrrev_i32_e32 v13, 31, v12
	v_lshlrev_b64 v[16:17], 2, v[12:13]
	v_mov_b32_e32 v13, s45
	v_add_co_u32_e64 v16, s[0:1], s44, v16
	v_add_u32_e32 v18, s30, v4
	v_addc_co_u32_e64 v17, s[0:1], v13, v17, s[0:1]
	global_store_dword v[16:17], v18, off
	s_and_b64 exec, exec, vcc
	s_cbranch_execz .LBB77_64
; %bb.63:
	v_or_b32_e32 v16, v11, v14
	v_mad_u64_u32 v[12:13], s[0:1], v12, s15, v[10:11]
	v_lshl_add_u32 v16, v16, 4, v9
	v_mad_u64_u32 v[12:13], s[0:1], v12, s15, v[8:9]
	ds_read2_b64 v[16:19], v16 offset1:1
	v_ashrrev_i32_e32 v13, 31, v12
	v_lshlrev_b64 v[12:13], 4, v[12:13]
	v_mov_b32_e32 v20, s47
	v_add_co_u32_e64 v12, s[0:1], s46, v12
	v_addc_co_u32_e64 v13, s[0:1], v20, v13, s[0:1]
	s_waitcnt lgkmcnt(0)
	global_store_dwordx4 v[12:13], v[16:19], off
.LBB77_64:
	s_or_b64 exec, exec, s[2:3]
	v_cmp_gt_i32_e64 s[0:1], s14, v5
	s_and_saveexec_b64 s[2:3], s[0:1]
	s_cbranch_execz .LBB77_67
; %bb.65:
	v_cmp_gt_i32_e64 s[0:1], v5, v4
	v_addc_co_u32_e64 v12, s[0:1], 0, v15, s[0:1]
	v_cmp_gt_i32_e64 s[0:1], v5, v6
	v_cndmask_b32_e64 v13, 0, 1, s[0:1]
	v_cmp_gt_i32_e64 s[0:1], v5, v7
	v_addc_co_u32_e64 v12, s[0:1], v12, v13, s[0:1]
	s_waitcnt lgkmcnt(0)
	v_cmp_gt_i32_e64 s[0:1], v5, v0
	v_cndmask_b32_e64 v13, 0, 1, s[0:1]
	v_cmp_gt_i32_e64 s[0:1], v5, v1
	v_addc_co_u32_e64 v12, s[0:1], v12, v13, s[0:1]
	v_cmp_gt_i32_e64 s[0:1], v5, v2
	v_cndmask_b32_e64 v13, 0, 1, s[0:1]
	v_cmp_gt_i32_e64 s[0:1], v5, v3
	v_addc_co_u32_e64 v12, s[0:1], v12, v13, s[0:1]
	v_ashrrev_i32_e32 v13, 31, v12
	v_lshlrev_b64 v[16:17], 2, v[12:13]
	v_mov_b32_e32 v13, s45
	v_add_co_u32_e64 v16, s[0:1], s44, v16
	v_add_u32_e32 v18, s30, v5
	v_addc_co_u32_e64 v17, s[0:1], v13, v17, s[0:1]
	global_store_dword v[16:17], v18, off
	s_and_b64 exec, exec, vcc
	s_cbranch_execz .LBB77_67
; %bb.66:
	v_or_b32_e32 v16, v11, v14
	v_mad_u64_u32 v[12:13], s[0:1], v12, s15, v[10:11]
	v_lshl_add_u32 v16, v16, 4, v9
	v_mad_u64_u32 v[12:13], s[0:1], v12, s15, v[8:9]
	ds_read2_b64 v[16:19], v16 offset0:128 offset1:129
	v_ashrrev_i32_e32 v13, 31, v12
	v_lshlrev_b64 v[12:13], 4, v[12:13]
	v_mov_b32_e32 v20, s47
	v_add_co_u32_e64 v12, s[0:1], s46, v12
	v_addc_co_u32_e64 v13, s[0:1], v20, v13, s[0:1]
	s_waitcnt lgkmcnt(0)
	global_store_dwordx4 v[12:13], v[16:19], off
.LBB77_67:
	s_or_b64 exec, exec, s[2:3]
	v_cmp_gt_i32_e64 s[0:1], s14, v6
	s_and_saveexec_b64 s[2:3], s[0:1]
	s_cbranch_execz .LBB77_70
; %bb.68:
	v_cmp_gt_i32_e64 s[0:1], v6, v4
	v_addc_co_u32_e64 v12, s[0:1], 0, v15, s[0:1]
	v_cmp_gt_i32_e64 s[0:1], v6, v5
	v_cndmask_b32_e64 v13, 0, 1, s[0:1]
	v_cmp_gt_i32_e64 s[0:1], v6, v7
	v_addc_co_u32_e64 v12, s[0:1], v12, v13, s[0:1]
	s_waitcnt lgkmcnt(0)
	v_cmp_gt_i32_e64 s[0:1], v6, v0
	v_cndmask_b32_e64 v13, 0, 1, s[0:1]
	v_cmp_gt_i32_e64 s[0:1], v6, v1
	v_addc_co_u32_e64 v12, s[0:1], v12, v13, s[0:1]
	v_cmp_gt_i32_e64 s[0:1], v6, v2
	v_cndmask_b32_e64 v13, 0, 1, s[0:1]
	v_cmp_gt_i32_e64 s[0:1], v6, v3
	v_addc_co_u32_e64 v12, s[0:1], v12, v13, s[0:1]
	v_ashrrev_i32_e32 v13, 31, v12
	v_lshlrev_b64 v[16:17], 2, v[12:13]
	v_mov_b32_e32 v13, s45
	v_add_co_u32_e64 v16, s[0:1], s44, v16
	v_add_u32_e32 v18, s30, v6
	v_addc_co_u32_e64 v17, s[0:1], v13, v17, s[0:1]
	global_store_dword v[16:17], v18, off
	s_and_b64 exec, exec, vcc
	s_cbranch_execz .LBB77_70
; %bb.69:
	v_mad_u64_u32 v[12:13], s[0:1], v12, s15, v[10:11]
	v_mad_u64_u32 v[12:13], s[0:1], v12, s15, v[8:9]
	v_or_b32_e32 v16, v11, v14
	v_lshlrev_b32_e32 v16, 4, v16
	s_movk_i32 s0, 0x800
	v_add3_u32 v16, v9, v16, s0
	ds_read2_b64 v[16:19], v16 offset1:1
	v_ashrrev_i32_e32 v13, 31, v12
	v_lshlrev_b64 v[12:13], 4, v[12:13]
	v_mov_b32_e32 v20, s47
	v_add_co_u32_e64 v12, s[0:1], s46, v12
	v_addc_co_u32_e64 v13, s[0:1], v20, v13, s[0:1]
	s_waitcnt lgkmcnt(0)
	global_store_dwordx4 v[12:13], v[16:19], off
.LBB77_70:
	s_or_b64 exec, exec, s[2:3]
	v_cmp_gt_i32_e64 s[0:1], s14, v7
	s_and_saveexec_b64 s[2:3], s[0:1]
	s_cbranch_execz .LBB77_73
; %bb.71:
	v_cmp_gt_i32_e64 s[0:1], v7, v4
	v_addc_co_u32_e64 v12, s[0:1], 0, v15, s[0:1]
	v_cmp_gt_i32_e64 s[0:1], v7, v5
	v_cndmask_b32_e64 v13, 0, 1, s[0:1]
	v_cmp_gt_i32_e64 s[0:1], v7, v6
	v_addc_co_u32_e64 v12, s[0:1], v12, v13, s[0:1]
	s_waitcnt lgkmcnt(0)
	v_cmp_gt_i32_e64 s[0:1], v7, v0
	v_cndmask_b32_e64 v13, 0, 1, s[0:1]
	v_cmp_gt_i32_e64 s[0:1], v7, v1
	v_addc_co_u32_e64 v12, s[0:1], v12, v13, s[0:1]
	v_cmp_gt_i32_e64 s[0:1], v7, v2
	v_cndmask_b32_e64 v13, 0, 1, s[0:1]
	v_cmp_gt_i32_e64 s[0:1], v7, v3
	v_addc_co_u32_e64 v12, s[0:1], v12, v13, s[0:1]
	v_ashrrev_i32_e32 v13, 31, v12
	v_lshlrev_b64 v[16:17], 2, v[12:13]
	v_mov_b32_e32 v13, s45
	v_add_co_u32_e64 v16, s[0:1], s44, v16
	v_add_u32_e32 v18, s30, v7
	v_addc_co_u32_e64 v17, s[0:1], v13, v17, s[0:1]
	global_store_dword v[16:17], v18, off
	s_and_b64 exec, exec, vcc
	s_cbranch_execz .LBB77_73
; %bb.72:
	v_mad_u64_u32 v[12:13], s[0:1], v12, s15, v[10:11]
	v_mad_u64_u32 v[12:13], s[0:1], v12, s15, v[8:9]
	v_or_b32_e32 v16, v11, v14
	v_lshlrev_b32_e32 v16, 4, v16
	s_movk_i32 s0, 0xc00
	v_add3_u32 v16, v9, v16, s0
	ds_read2_b64 v[16:19], v16 offset1:1
	v_ashrrev_i32_e32 v13, 31, v12
	v_lshlrev_b64 v[12:13], 4, v[12:13]
	v_mov_b32_e32 v20, s47
	v_add_co_u32_e64 v12, s[0:1], s46, v12
	v_addc_co_u32_e64 v13, s[0:1], v20, v13, s[0:1]
	s_waitcnt lgkmcnt(0)
	global_store_dwordx4 v[12:13], v[16:19], off
.LBB77_73:
	s_or_b64 exec, exec, s[2:3]
	s_waitcnt lgkmcnt(0)
	v_cmp_gt_i32_e64 s[0:1], s14, v0
	s_and_saveexec_b64 s[2:3], s[0:1]
	s_cbranch_execz .LBB77_76
; %bb.74:
	v_cmp_gt_i32_e64 s[0:1], v0, v4
	v_addc_co_u32_e64 v12, s[0:1], 0, v15, s[0:1]
	v_cmp_gt_i32_e64 s[0:1], v0, v5
	v_cndmask_b32_e64 v13, 0, 1, s[0:1]
	v_cmp_gt_i32_e64 s[0:1], v0, v6
	v_addc_co_u32_e64 v12, s[0:1], v12, v13, s[0:1]
	v_cmp_gt_i32_e64 s[0:1], v0, v7
	v_cndmask_b32_e64 v13, 0, 1, s[0:1]
	v_cmp_gt_i32_e64 s[0:1], v0, v1
	v_addc_co_u32_e64 v12, s[0:1], v12, v13, s[0:1]
	v_cmp_gt_i32_e64 s[0:1], v0, v2
	v_cndmask_b32_e64 v13, 0, 1, s[0:1]
	v_cmp_gt_i32_e64 s[0:1], v0, v3
	v_addc_co_u32_e64 v12, s[0:1], v12, v13, s[0:1]
	v_ashrrev_i32_e32 v13, 31, v12
	v_lshlrev_b64 v[16:17], 2, v[12:13]
	v_mov_b32_e32 v13, s45
	v_add_co_u32_e64 v16, s[0:1], s44, v16
	v_add_u32_e32 v18, s30, v0
	v_addc_co_u32_e64 v17, s[0:1], v13, v17, s[0:1]
	global_store_dword v[16:17], v18, off
	s_and_b64 exec, exec, vcc
	s_cbranch_execz .LBB77_76
; %bb.75:
	v_mad_u64_u32 v[12:13], s[0:1], v12, s15, v[10:11]
	v_mad_u64_u32 v[12:13], s[0:1], v12, s15, v[8:9]
	v_or_b32_e32 v16, v11, v14
	v_lshlrev_b32_e32 v16, 4, v16
	s_movk_i32 s0, 0x1000
	v_add3_u32 v16, v9, v16, s0
	ds_read2_b64 v[16:19], v16 offset1:1
	v_ashrrev_i32_e32 v13, 31, v12
	v_lshlrev_b64 v[12:13], 4, v[12:13]
	v_mov_b32_e32 v20, s47
	v_add_co_u32_e64 v12, s[0:1], s46, v12
	v_addc_co_u32_e64 v13, s[0:1], v20, v13, s[0:1]
	s_waitcnt lgkmcnt(0)
	global_store_dwordx4 v[12:13], v[16:19], off
.LBB77_76:
	s_or_b64 exec, exec, s[2:3]
	v_cmp_gt_i32_e64 s[0:1], s14, v1
	s_and_saveexec_b64 s[2:3], s[0:1]
	s_cbranch_execz .LBB77_79
; %bb.77:
	v_cmp_gt_i32_e64 s[0:1], v1, v4
	v_addc_co_u32_e64 v12, s[0:1], 0, v15, s[0:1]
	v_cmp_gt_i32_e64 s[0:1], v1, v5
	v_cndmask_b32_e64 v13, 0, 1, s[0:1]
	v_cmp_gt_i32_e64 s[0:1], v1, v6
	v_addc_co_u32_e64 v12, s[0:1], v12, v13, s[0:1]
	v_cmp_gt_i32_e64 s[0:1], v1, v7
	v_cndmask_b32_e64 v13, 0, 1, s[0:1]
	v_cmp_gt_i32_e64 s[0:1], v1, v0
	v_addc_co_u32_e64 v12, s[0:1], v12, v13, s[0:1]
	v_cmp_gt_i32_e64 s[0:1], v1, v2
	v_cndmask_b32_e64 v13, 0, 1, s[0:1]
	v_cmp_gt_i32_e64 s[0:1], v1, v3
	v_addc_co_u32_e64 v12, s[0:1], v12, v13, s[0:1]
	v_ashrrev_i32_e32 v13, 31, v12
	v_lshlrev_b64 v[16:17], 2, v[12:13]
	v_mov_b32_e32 v13, s45
	v_add_co_u32_e64 v16, s[0:1], s44, v16
	v_add_u32_e32 v18, s30, v1
	v_addc_co_u32_e64 v17, s[0:1], v13, v17, s[0:1]
	global_store_dword v[16:17], v18, off
	s_and_b64 exec, exec, vcc
	s_cbranch_execz .LBB77_79
; %bb.78:
	v_mad_u64_u32 v[12:13], s[0:1], v12, s15, v[10:11]
	v_mad_u64_u32 v[12:13], s[0:1], v12, s15, v[8:9]
	v_or_b32_e32 v16, v11, v14
	v_lshlrev_b32_e32 v16, 4, v16
	s_movk_i32 s0, 0x1400
	v_add3_u32 v16, v9, v16, s0
	ds_read2_b64 v[16:19], v16 offset1:1
	v_ashrrev_i32_e32 v13, 31, v12
	v_lshlrev_b64 v[12:13], 4, v[12:13]
	v_mov_b32_e32 v20, s47
	v_add_co_u32_e64 v12, s[0:1], s46, v12
	v_addc_co_u32_e64 v13, s[0:1], v20, v13, s[0:1]
	s_waitcnt lgkmcnt(0)
	global_store_dwordx4 v[12:13], v[16:19], off
.LBB77_79:
	s_or_b64 exec, exec, s[2:3]
	;; [unrolled: 44-line block ×3, first 2 shown]
	v_cmp_gt_i32_e64 s[0:1], s14, v3
	s_and_b64 exec, exec, s[0:1]
	s_cbranch_execz .LBB77_85
; %bb.83:
	v_cmp_gt_i32_e64 s[0:1], v3, v4
	v_addc_co_u32_e64 v4, s[0:1], 0, v15, s[0:1]
	v_cmp_gt_i32_e64 s[0:1], v3, v5
	v_cndmask_b32_e64 v5, 0, 1, s[0:1]
	v_cmp_gt_i32_e64 s[0:1], v3, v6
	v_addc_co_u32_e64 v4, s[0:1], v4, v5, s[0:1]
	v_cmp_gt_i32_e64 s[0:1], v3, v7
	v_cndmask_b32_e64 v5, 0, 1, s[0:1]
	;; [unrolled: 4-line block ×3, first 2 shown]
	v_cmp_gt_i32_e64 s[0:1], v3, v2
	v_addc_co_u32_e64 v0, s[0:1], v0, v1, s[0:1]
	v_ashrrev_i32_e32 v1, 31, v0
	v_add_u32_e32 v4, s30, v3
	v_lshlrev_b64 v[2:3], 2, v[0:1]
	v_mov_b32_e32 v1, s45
	v_add_co_u32_e64 v2, s[0:1], s44, v2
	v_addc_co_u32_e64 v3, s[0:1], v1, v3, s[0:1]
	global_store_dword v[2:3], v4, off
	s_and_b64 exec, exec, vcc
	s_cbranch_execz .LBB77_85
; %bb.84:
	v_mad_u64_u32 v[0:1], s[0:1], v0, s15, v[10:11]
	v_mad_u64_u32 v[0:1], s[0:1], v0, s15, v[8:9]
	v_ashrrev_i32_e32 v1, 31, v0
	v_lshlrev_b64 v[4:5], 4, v[0:1]
	v_or_b32_e32 v0, v11, v14
	v_lshlrev_b32_e32 v0, 4, v0
	s_movk_i32 s0, 0x1c00
	v_add3_u32 v0, v9, v0, s0
	ds_read2_b64 v[0:3], v0 offset1:1
	v_mov_b32_e32 v6, s47
	v_add_co_u32_e32 v4, vcc, s46, v4
	v_addc_co_u32_e32 v5, vcc, v6, v5, vcc
	s_waitcnt lgkmcnt(0)
	global_store_dwordx4 v[4:5], v[0:3], off
.LBB77_85:
	s_endpgm
	.section	.rodata,"a",@progbits
	.p2align	6, 0x0
	.amdhsa_kernel _ZN9rocsparseL23bsrgemm_fill_wf_per_rowILj256ELj64ELj8ELj137ELj8Eii21rocsparse_complex_numIdEEEv20rocsparse_direction_T5_S4_S4_PKS4_S6_NS_24const_host_device_scalarIT6_EEPKT4_S6_PKS8_SC_S6_SE_S9_SC_S6_SE_SC_PS4_PS8_21rocsparse_index_base_SH_SH_SH_bbb
		.amdhsa_group_segment_fixed_size 36992
		.amdhsa_private_segment_fixed_size 0
		.amdhsa_kernarg_size 180
		.amdhsa_user_sgpr_count 8
		.amdhsa_user_sgpr_private_segment_buffer 1
		.amdhsa_user_sgpr_dispatch_ptr 1
		.amdhsa_user_sgpr_queue_ptr 0
		.amdhsa_user_sgpr_kernarg_segment_ptr 1
		.amdhsa_user_sgpr_dispatch_id 0
		.amdhsa_user_sgpr_flat_scratch_init 0
		.amdhsa_user_sgpr_kernarg_preload_length 0
		.amdhsa_user_sgpr_kernarg_preload_offset 0
		.amdhsa_user_sgpr_private_segment_size 0
		.amdhsa_uses_dynamic_stack 0
		.amdhsa_system_sgpr_private_segment_wavefront_offset 0
		.amdhsa_system_sgpr_workgroup_id_x 1
		.amdhsa_system_sgpr_workgroup_id_y 0
		.amdhsa_system_sgpr_workgroup_id_z 0
		.amdhsa_system_sgpr_workgroup_info 0
		.amdhsa_system_vgpr_workitem_id 2
		.amdhsa_next_free_vgpr 50
		.amdhsa_next_free_sgpr 65
		.amdhsa_accum_offset 52
		.amdhsa_reserve_vcc 1
		.amdhsa_reserve_flat_scratch 0
		.amdhsa_float_round_mode_32 0
		.amdhsa_float_round_mode_16_64 0
		.amdhsa_float_denorm_mode_32 3
		.amdhsa_float_denorm_mode_16_64 3
		.amdhsa_dx10_clamp 1
		.amdhsa_ieee_mode 1
		.amdhsa_fp16_overflow 0
		.amdhsa_tg_split 0
		.amdhsa_exception_fp_ieee_invalid_op 0
		.amdhsa_exception_fp_denorm_src 0
		.amdhsa_exception_fp_ieee_div_zero 0
		.amdhsa_exception_fp_ieee_overflow 0
		.amdhsa_exception_fp_ieee_underflow 0
		.amdhsa_exception_fp_ieee_inexact 0
		.amdhsa_exception_int_div_zero 0
	.end_amdhsa_kernel
	.section	.text._ZN9rocsparseL23bsrgemm_fill_wf_per_rowILj256ELj64ELj8ELj137ELj8Eii21rocsparse_complex_numIdEEEv20rocsparse_direction_T5_S4_S4_PKS4_S6_NS_24const_host_device_scalarIT6_EEPKT4_S6_PKS8_SC_S6_SE_S9_SC_S6_SE_SC_PS4_PS8_21rocsparse_index_base_SH_SH_SH_bbb,"axG",@progbits,_ZN9rocsparseL23bsrgemm_fill_wf_per_rowILj256ELj64ELj8ELj137ELj8Eii21rocsparse_complex_numIdEEEv20rocsparse_direction_T5_S4_S4_PKS4_S6_NS_24const_host_device_scalarIT6_EEPKT4_S6_PKS8_SC_S6_SE_S9_SC_S6_SE_SC_PS4_PS8_21rocsparse_index_base_SH_SH_SH_bbb,comdat
.Lfunc_end77:
	.size	_ZN9rocsparseL23bsrgemm_fill_wf_per_rowILj256ELj64ELj8ELj137ELj8Eii21rocsparse_complex_numIdEEEv20rocsparse_direction_T5_S4_S4_PKS4_S6_NS_24const_host_device_scalarIT6_EEPKT4_S6_PKS8_SC_S6_SE_S9_SC_S6_SE_SC_PS4_PS8_21rocsparse_index_base_SH_SH_SH_bbb, .Lfunc_end77-_ZN9rocsparseL23bsrgemm_fill_wf_per_rowILj256ELj64ELj8ELj137ELj8Eii21rocsparse_complex_numIdEEEv20rocsparse_direction_T5_S4_S4_PKS4_S6_NS_24const_host_device_scalarIT6_EEPKT4_S6_PKS8_SC_S6_SE_S9_SC_S6_SE_SC_PS4_PS8_21rocsparse_index_base_SH_SH_SH_bbb
                                        ; -- End function
	.section	.AMDGPU.csdata,"",@progbits
; Kernel info:
; codeLenInByte = 4500
; NumSgprs: 69
; NumVgprs: 50
; NumAgprs: 0
; TotalNumVgprs: 50
; ScratchSize: 0
; MemoryBound: 0
; FloatMode: 240
; IeeeMode: 1
; LDSByteSize: 36992 bytes/workgroup (compile time only)
; SGPRBlocks: 8
; VGPRBlocks: 6
; NumSGPRsForWavesPerEU: 69
; NumVGPRsForWavesPerEU: 50
; AccumOffset: 52
; Occupancy: 1
; WaveLimiterHint : 1
; COMPUTE_PGM_RSRC2:SCRATCH_EN: 0
; COMPUTE_PGM_RSRC2:USER_SGPR: 8
; COMPUTE_PGM_RSRC2:TRAP_HANDLER: 0
; COMPUTE_PGM_RSRC2:TGID_X_EN: 1
; COMPUTE_PGM_RSRC2:TGID_Y_EN: 0
; COMPUTE_PGM_RSRC2:TGID_Z_EN: 0
; COMPUTE_PGM_RSRC2:TIDIG_COMP_CNT: 2
; COMPUTE_PGM_RSRC3_GFX90A:ACCUM_OFFSET: 12
; COMPUTE_PGM_RSRC3_GFX90A:TG_SPLIT: 0
	.section	.text._ZN9rocsparseL38bsrgemm_block_per_row_atomic_multipassILj256ELj16ELj8Eii21rocsparse_complex_numIdEEEv20rocsparse_direction_T3_S4_PKS4_S6_NS_24const_host_device_scalarIT4_EEPKT2_S6_PKS8_SC_S6_SE_S9_SC_S6_SE_SC_PS4_PS8_PSA_21rocsparse_index_base_SI_SI_SI_bbb,"axG",@progbits,_ZN9rocsparseL38bsrgemm_block_per_row_atomic_multipassILj256ELj16ELj8Eii21rocsparse_complex_numIdEEEv20rocsparse_direction_T3_S4_PKS4_S6_NS_24const_host_device_scalarIT4_EEPKT2_S6_PKS8_SC_S6_SE_S9_SC_S6_SE_SC_PS4_PS8_PSA_21rocsparse_index_base_SI_SI_SI_bbb,comdat
	.globl	_ZN9rocsparseL38bsrgemm_block_per_row_atomic_multipassILj256ELj16ELj8Eii21rocsparse_complex_numIdEEEv20rocsparse_direction_T3_S4_PKS4_S6_NS_24const_host_device_scalarIT4_EEPKT2_S6_PKS8_SC_S6_SE_S9_SC_S6_SE_SC_PS4_PS8_PSA_21rocsparse_index_base_SI_SI_SI_bbb ; -- Begin function _ZN9rocsparseL38bsrgemm_block_per_row_atomic_multipassILj256ELj16ELj8Eii21rocsparse_complex_numIdEEEv20rocsparse_direction_T3_S4_PKS4_S6_NS_24const_host_device_scalarIT4_EEPKT2_S6_PKS8_SC_S6_SE_S9_SC_S6_SE_SC_PS4_PS8_PSA_21rocsparse_index_base_SI_SI_SI_bbb
	.p2align	8
	.type	_ZN9rocsparseL38bsrgemm_block_per_row_atomic_multipassILj256ELj16ELj8Eii21rocsparse_complex_numIdEEEv20rocsparse_direction_T3_S4_PKS4_S6_NS_24const_host_device_scalarIT4_EEPKT2_S6_PKS8_SC_S6_SE_S9_SC_S6_SE_SC_PS4_PS8_PSA_21rocsparse_index_base_SI_SI_SI_bbb,@function
_ZN9rocsparseL38bsrgemm_block_per_row_atomic_multipassILj256ELj16ELj8Eii21rocsparse_complex_numIdEEEv20rocsparse_direction_T3_S4_PKS4_S6_NS_24const_host_device_scalarIT4_EEPKT2_S6_PKS8_SC_S6_SE_S9_SC_S6_SE_SC_PS4_PS8_PSA_21rocsparse_index_base_SI_SI_SI_bbb: ; @_ZN9rocsparseL38bsrgemm_block_per_row_atomic_multipassILj256ELj16ELj8Eii21rocsparse_complex_numIdEEEv20rocsparse_direction_T3_S4_PKS4_S6_NS_24const_host_device_scalarIT4_EEPKT2_S6_PKS8_SC_S6_SE_S9_SC_S6_SE_SC_PS4_PS8_PSA_21rocsparse_index_base_SI_SI_SI_bbb
; %bb.0:
	s_add_u32 flat_scratch_lo, s6, s9
	s_addc_u32 flat_scratch_hi, s7, 0
	s_load_dwordx4 s[16:19], s[4:5], 0x20
	s_load_dwordx4 s[12:15], s[4:5], 0x60
	s_add_u32 s0, s0, s9
	s_load_dword s9, s[4:5], 0xb8
	s_load_dwordx4 s[52:55], s[4:5], 0xa8
	s_addc_u32 s1, s1, 0
	s_waitcnt lgkmcnt(0)
	v_mov_b32_e32 v1, s17
	buffer_store_dword v1, off, s[0:3], 0 offset:4
	s_bitcmp1_b32 s9, 0
	s_cselect_b64 s[24:25], -1, 0
	s_bitcmp1_b32 s9, 16
	v_mov_b32_e32 v1, s16
	s_cselect_b64 s[6:7], -1, 0
	buffer_store_dword v1, off, s[0:3], 0
	v_mov_b32_e32 v1, s13
	buffer_store_dword v1, off, s[0:3], 0 offset:12
	v_mov_b32_e32 v1, s12
	s_xor_b64 s[10:11], s[6:7], -1
	buffer_store_dword v1, off, s[0:3], 0 offset:8
	v_pk_mov_b32 v[6:7], 0, 0
	v_cndmask_b32_e64 v1, 0, 1, s[10:11]
	s_bitcmp0_b32 s9, 0
	v_cmp_ne_u32_e64 s[10:11], 1, v1
	v_pk_mov_b32 v[4:5], v[6:7], v[6:7] op_sel:[0,1]
	v_pk_mov_b32 v[8:9], v[6:7], v[6:7] op_sel:[0,1]
	s_cbranch_scc1 .LBB78_3
; %bb.1:
	s_mov_b64 s[20:21], src_private_base
	s_and_b64 s[22:23], s[6:7], exec
	s_cselect_b32 s20, s21, s17
	v_mov_b32_e32 v1, 0
	v_mov_b32_e32 v2, s16
	v_cndmask_b32_e64 v2, v2, v1, s[6:7]
	v_mov_b32_e32 v3, s20
	flat_load_dwordx2 v[4:5], v[2:3]
	s_and_b64 vcc, exec, s[10:11]
	v_pk_mov_b32 v[8:9], s[18:19], s[18:19] op_sel:[0,1]
	s_cbranch_vccnz .LBB78_3
; %bb.2:
	v_pk_mov_b32 v[2:3], s[16:17], s[16:17] op_sel:[0,1]
	flat_load_dwordx2 v[8:9], v[2:3] offset:8
.LBB78_3:
	s_load_dwordx2 s[16:17], s[4:5], 0x18
	s_bitcmp1_b32 s9, 8
	s_cselect_b64 s[30:31], -1, 0
	s_bfe_u32 s9, s9, 0x10008
	s_cmp_eq_u32 s9, 0
	v_pk_mov_b32 v[10:11], v[6:7], v[6:7] op_sel:[0,1]
	s_cbranch_scc1 .LBB78_6
; %bb.4:
	s_mov_b64 s[18:19], src_private_base
	s_and_b64 s[20:21], s[6:7], exec
	s_cselect_b32 s9, s19, s13
	v_mov_b32_e32 v1, 8
	v_mov_b32_e32 v2, s12
	v_cndmask_b32_e64 v2, v2, v1, s[6:7]
	v_mov_b32_e32 v3, s9
	flat_load_dwordx2 v[10:11], v[2:3]
	s_and_b64 vcc, exec, s[10:11]
	v_pk_mov_b32 v[6:7], s[14:15], s[14:15] op_sel:[0,1]
	s_cbranch_vccnz .LBB78_6
; %bb.5:
	v_pk_mov_b32 v[2:3], s[12:13], s[12:13] op_sel:[0,1]
	flat_load_dwordx2 v[6:7], v[2:3] offset:8
.LBB78_6:
	s_load_dwordx2 s[10:11], s[4:5], 0x30
	s_waitcnt lgkmcnt(0)
	s_cmp_eq_u64 s[16:17], 0
	s_cbranch_scc1 .LBB78_8
; %bb.7:
	s_load_dwordx2 s[6:7], s[4:5], 0x10
	s_waitcnt lgkmcnt(0)
	s_load_dword s6, s[6:7], 0x0
	s_mov_b32 s7, 0
	s_waitcnt lgkmcnt(0)
	s_add_i32 s6, s6, s8
	s_lshl_b64 s[6:7], s[6:7], 2
	s_add_u32 s6, s16, s6
	s_addc_u32 s7, s17, s7
	s_load_dword s8, s[6:7], 0x0
.LBB78_8:
	v_cndmask_b32_e64 v1, 0, 1, s[24:25]
	s_mov_b32 s33, 0
	v_cmp_ne_u32_e64 s[6:7], 1, v1
	s_andn2_b64 vcc, exec, s[24:25]
	s_mov_b32 s82, 0
	s_cbranch_vccz .LBB78_11
; %bb.9:
	s_and_b64 vcc, exec, s[6:7]
	s_cbranch_vccz .LBB78_12
.LBB78_10:
	s_load_dwordx4 s[56:59], s[4:5], 0x0
	s_waitcnt lgkmcnt(0)
	s_cmp_lt_i32 s57, 1
	s_cbranch_scc0 .LBB78_13
	s_branch .LBB78_92
.LBB78_11:
	s_waitcnt lgkmcnt(0)
	s_ashr_i32 s9, s8, 31
	s_lshl_b64 s[12:13], s[8:9], 2
	s_add_u32 s12, s10, s12
	s_addc_u32 s13, s11, s13
	s_load_dword s9, s[12:13], 0x0
	s_waitcnt lgkmcnt(0)
	s_sub_i32 s82, s9, s52
	s_and_b64 vcc, exec, s[6:7]
	s_cbranch_vccnz .LBB78_10
.LBB78_12:
	s_waitcnt lgkmcnt(0)
	s_ashr_i32 s9, s8, 31
	s_lshl_b64 s[6:7], s[8:9], 2
	s_add_u32 s6, s10, s6
	s_addc_u32 s7, s11, s7
	s_load_dword s6, s[6:7], 0x4
	s_waitcnt lgkmcnt(0)
	s_sub_i32 s33, s6, s52
	s_load_dwordx4 s[56:59], s[4:5], 0x0
	s_waitcnt lgkmcnt(0)
	s_cmp_lt_i32 s57, 1
	s_cbranch_scc1 .LBB78_92
.LBB78_13:
	s_load_dwordx2 s[34:35], s[4:5], 0xa0
	s_load_dwordx4 s[60:63], s[4:5], 0x90
	s_load_dwordx8 s[36:43], s[4:5], 0x70
	s_load_dwordx2 s[64:65], s[4:5], 0x58
	s_load_dwordx8 s[44:51], s[4:5], 0x38
	s_ashr_i32 s9, s8, 31
	s_lshl_b64 s[12:13], s[8:9], 2
	s_waitcnt lgkmcnt(0)
	s_add_u32 s4, s42, s12
	s_addc_u32 s5, s43, s13
	s_load_dword s4, s[4:5], 0x0
	v_and_b32_e32 v1, 63, v0
	v_and_b32_e32 v12, 7, v0
	v_bfe_u32 v14, v0, 3, 3
	v_lshrrev_b32_e32 v13, 6, v0
	s_waitcnt lgkmcnt(0)
	s_sub_i32 s66, s4, s54
	s_cmp_lt_i32 s82, s33
	s_cselect_b64 s[26:27], -1, 0
	s_cmp_eq_u32 s56, 0
	s_cselect_b64 vcc, -1, 0
	s_cmp_lg_u32 s56, 0
	s_cselect_b64 s[42:43], -1, 0
	s_cmp_gt_i32 s58, 0
	s_cselect_b64 s[28:29], -1, 0
	s_add_u32 s36, s36, s12
	v_max_i32_e32 v2, v12, v14
	s_addc_u32 s37, s37, s13
	v_cmp_eq_u32_e64 s[12:13], 63, v1
	v_and_b32_e32 v1, 15, v0
	v_mov_b32_e32 v20, 0x5000
	v_cmp_gt_u32_e64 s[4:5], 16, v0
	v_cmp_eq_u32_e64 s[6:7], 0, v0
	v_cmp_gt_i32_e64 s[8:9], s58, v2
	v_cmp_le_i32_e64 s[10:11], s58, v2
	v_lshlrev_b32_e32 v15, 4, v0
	s_movk_i32 s67, 0x4000
	v_and_b32_e32 v19, 56, v0
	v_lshlrev_b32_e32 v2, 2, v1
	v_add_co_u32_e64 v3, s[14:15], -1, v1
	v_lshl_or_b32 v35, v0, 2, v20
	v_cmp_ne_u32_e64 s[16:17], 0, v1
	v_cmp_lt_u32_e64 s[18:19], 1, v1
	v_cmp_lt_u32_e64 s[20:21], 3, v1
	;; [unrolled: 1-line block ×3, first 2 shown]
	v_or_b32_e32 v39, 0xffffff00, v0
	v_lshlrev_b32_e32 v0, 10, v13
	v_lshlrev_b32_e32 v1, 4, v14
	s_and_b64 s[24:25], s[24:25], s[26:27]
	v_or3_b32 v40, v0, v1, s67
	v_and_b32_e32 v0, 0xf80, v15
	v_lshl_add_u32 v34, v3, 2, v20
	s_add_u32 s56, s48, 4
	s_mul_i32 s83, s58, s58
	v_or_b32_e32 v41, 0x4000, v0
	v_lshl_or_b32 v42, v13, 2, v20
	v_mov_b32_e32 v0, 0
	v_cndmask_b32_e64 v20, 0, 1, s[24:25]
	s_mov_b32 s86, 0
	v_or_b32_e32 v17, 0x4000, v15
	v_subrev_u32_e32 v32, s55, v13
	v_or_b32_e32 v33, 0x5000, v2
	v_add_u32_e32 v36, 0x4ff8, v2
	v_add_u32_e32 v37, 0x4ff0, v2
	;; [unrolled: 1-line block ×3, first 2 shown]
	v_cndmask_b32_e32 v16, v12, v14, vcc
	v_cndmask_b32_e32 v18, v14, v12, vcc
	s_addc_u32 s59, s49, 0
	s_lshl_b32 s84, s83, 2
	v_mov_b32_e32 v47, 16
	v_mov_b32_e32 v43, s66
	;; [unrolled: 1-line block ×5, first 2 shown]
	s_movk_i32 s85, 0x2ff
	v_cmp_ne_u32_e64 s[24:25], 1, v20
	v_mov_b32_e32 v44, 1
	v_cndmask_b32_e64 v45, 0, 1, s[28:29]
	v_mov_b32_e32 v46, s65
	s_branch .LBB78_15
.LBB78_14:                              ;   in Loop: Header=BB78_15 Depth=1
	s_or_b64 exec, exec, s[26:27]
	s_barrier
	ds_read_b32 v20, v0 offset:20544
	v_add_u32_e32 v43, v22, v43
	s_waitcnt lgkmcnt(0)
	s_barrier
	v_cmp_le_i32_e32 vcc, s57, v20
	v_readfirstlane_b32 s86, v20
	v_add_u32_e32 v47, 16, v20
	s_cbranch_vccnz .LBB78_92
.LBB78_15:                              ; =>This Loop Header: Depth=1
                                        ;     Child Loop BB78_18 Depth 2
                                        ;     Child Loop BB78_24 Depth 2
                                        ;       Child Loop BB78_38 Depth 3
                                        ;         Child Loop BB78_47 Depth 4
                                        ;         Child Loop BB78_52 Depth 4
                                        ;     Child Loop BB78_63 Depth 2
                                        ;     Child Loop BB78_72 Depth 2
	;; [unrolled: 1-line block ×3, first 2 shown]
	s_and_saveexec_b64 s[26:27], s[4:5]
	s_cbranch_execz .LBB78_17
; %bb.16:                               ;   in Loop: Header=BB78_15 Depth=1
	ds_write_b32 v35, v0
.LBB78_17:                              ;   in Loop: Header=BB78_15 Depth=1
	s_or_b64 exec, exec, s[26:27]
	s_mov_b64 s[26:27], 0
	v_mov_b32_e32 v20, v15
	v_mov_b32_e32 v21, v39
.LBB78_18:                              ;   Parent Loop BB78_15 Depth=1
                                        ; =>  This Inner Loop Header: Depth=2
	v_add_u32_e32 v21, 0x100, v21
	v_cmp_lt_u32_e32 vcc, s85, v21
	ds_write_b128 v20, v[0:3]
	s_or_b64 s[26:27], vcc, s[26:27]
	v_add_u32_e32 v20, 0x1000, v20
	s_andn2_b64 exec, exec, s[26:27]
	s_cbranch_execnz .LBB78_18
; %bb.19:                               ;   in Loop: Header=BB78_15 Depth=1
	s_or_b64 exec, exec, s[26:27]
	s_and_saveexec_b64 s[26:27], s[6:7]
	s_cbranch_execz .LBB78_21
; %bb.20:                               ;   in Loop: Header=BB78_15 Depth=1
	v_mov_b32_e32 v20, s57
	ds_write_b32 v0, v20 offset:20544
.LBB78_21:                              ;   in Loop: Header=BB78_15 Depth=1
	s_or_b64 exec, exec, s[26:27]
	s_and_b64 vcc, exec, s[24:25]
	v_mov_b32_e32 v48, s57
	s_waitcnt lgkmcnt(0)
	s_barrier
	s_cbranch_vccnz .LBB78_58
; %bb.22:                               ;   in Loop: Header=BB78_15 Depth=1
	s_cmp_lg_u32 s86, 0
	s_cselect_b64 s[66:67], -1, 0
	v_mov_b32_e32 v48, s57
	s_mov_b32 s65, s82
	s_branch .LBB78_24
.LBB78_23:                              ;   in Loop: Header=BB78_24 Depth=2
	s_or_b64 exec, exec, s[28:29]
	s_add_i32 s65, s65, 4
	s_cmp_lt_i32 s65, s33
	s_cbranch_scc0 .LBB78_58
.LBB78_24:                              ;   Parent Loop BB78_15 Depth=1
                                        ; =>  This Loop Header: Depth=2
                                        ;       Child Loop BB78_38 Depth 3
                                        ;         Child Loop BB78_47 Depth 4
                                        ;         Child Loop BB78_52 Depth 4
	v_add_u32_e32 v20, s65, v13
	v_cmp_gt_i32_e64 s[26:27], s33, v20
	s_barrier
	s_and_saveexec_b64 s[28:29], s[26:27]
	s_cbranch_execz .LBB78_29
; %bb.25:                               ;   in Loop: Header=BB78_24 Depth=2
	s_and_saveexec_b64 s[68:69], s[10:11]
	s_xor_b64 s[68:69], exec, s[68:69]
	s_cbranch_execz .LBB78_27
; %bb.26:                               ;   in Loop: Header=BB78_24 Depth=2
	ds_write_b128 v17, v[0:3]
.LBB78_27:                              ;   in Loop: Header=BB78_24 Depth=2
	s_andn2_saveexec_b64 s[68:69], s[68:69]
	s_cbranch_execz .LBB78_29
; %bb.28:                               ;   in Loop: Header=BB78_24 Depth=2
	v_mad_u64_u32 v[22:23], s[68:69], v20, s58, v[14:15]
	v_mad_u64_u32 v[22:23], s[68:69], v22, s58, v[12:13]
	v_ashrrev_i32_e32 v23, 31, v22
	v_lshlrev_b64 v[22:23], 4, v[22:23]
	v_mov_b32_e32 v21, s47
	v_add_co_u32_e32 v22, vcc, s46, v22
	v_addc_co_u32_e32 v23, vcc, v21, v23, vcc
	global_load_dwordx4 v[22:25], v[22:23], off
	s_waitcnt vmcnt(0)
	ds_write2_b64 v17, v[22:23], v[24:25] offset1:1
.LBB78_29:                              ;   in Loop: Header=BB78_24 Depth=2
	s_or_b64 exec, exec, s[28:29]
	v_mov_b32_e32 v49, 0
	s_waitcnt lgkmcnt(0)
	s_barrier
	s_and_saveexec_b64 s[68:69], s[26:27]
	s_cbranch_execz .LBB78_55
; %bb.30:                               ;   in Loop: Header=BB78_24 Depth=2
	v_ashrrev_i32_e32 v21, 31, v20
	v_lshlrev_b64 v[24:25], 2, v[20:21]
	v_mov_b32_e32 v21, s45
	v_add_co_u32_e32 v22, vcc, s44, v24
	v_addc_co_u32_e32 v23, vcc, v21, v25, vcc
	global_load_dword v21, v[22:23], off
	s_and_b64 vcc, exec, s[66:67]
	s_waitcnt vmcnt(0)
	v_subrev_u32_e32 v22, s52, v21
	v_ashrrev_i32_e32 v23, 31, v22
	s_cbranch_vccz .LBB78_57
; %bb.31:                               ;   in Loop: Header=BB78_24 Depth=2
	v_mov_b32_e32 v21, s35
	v_add_co_u32_e32 v24, vcc, s34, v24
	v_addc_co_u32_e32 v25, vcc, v21, v25, vcc
	global_load_dword v49, v[24:25], off
	s_cbranch_execnz .LBB78_33
.LBB78_32:                              ;   in Loop: Header=BB78_24 Depth=2
	v_lshlrev_b64 v[24:25], 2, v[22:23]
	v_mov_b32_e32 v21, s49
	v_add_co_u32_e32 v24, vcc, s48, v24
	v_addc_co_u32_e32 v25, vcc, v21, v25, vcc
	global_load_dword v21, v[24:25], off
	s_waitcnt vmcnt(0)
	v_subrev_u32_e32 v49, s53, v21
.LBB78_33:                              ;   in Loop: Header=BB78_24 Depth=2
	v_lshlrev_b64 v[22:23], 2, v[22:23]
	v_mov_b32_e32 v21, s59
	v_add_co_u32_e32 v22, vcc, s56, v22
	v_addc_co_u32_e32 v23, vcc, v21, v23, vcc
	global_load_dword v21, v[22:23], off
	s_waitcnt vmcnt(0)
	v_subrev_u32_e32 v21, s53, v21
	v_cmp_lt_i32_e32 vcc, v49, v21
	s_and_saveexec_b64 s[70:71], vcc
	s_cbranch_execz .LBB78_54
; %bb.34:                               ;   in Loop: Header=BB78_24 Depth=2
	v_mad_u64_u32 v[22:23], s[28:29], s58, v49, v[12:13]
	v_mul_lo_u32 v50, s58, v22
	v_mad_u64_u32 v[22:23], s[28:29], s83, v49, v[12:13]
	s_mov_b64 s[72:73], 0
	v_mov_b32_e32 v24, v49
	s_branch .LBB78_38
.LBB78_35:                              ;   in Loop: Header=BB78_38 Depth=3
	v_lshlrev_b32_e32 v23, 6, v23
	v_or3_b32 v23, v23, v19, v12
	v_mul_f64 v[30:31], v[28:29], -v[8:9]
	v_lshlrev_b32_e32 v23, 4, v23
	v_fmac_f64_e32 v[30:31], v[4:5], v[26:27]
	v_mul_f64 v[28:29], v[4:5], v[28:29]
	v_fmac_f64_e32 v[28:29], v[8:9], v[26:27]
	ds_add_f64 v23, v[30:31]
	ds_add_f64 v23, v[28:29] offset:8
.LBB78_36:                              ;   in Loop: Header=BB78_38 Depth=3
	s_or_b64 exec, exec, s[78:79]
	s_or_b64 s[74:75], s[74:75], exec
.LBB78_37:                              ;   in Loop: Header=BB78_38 Depth=3
	s_or_b64 exec, exec, s[76:77]
	v_add_u32_e32 v24, 1, v24
	v_cmp_ge_i32_e32 vcc, v24, v21
	s_xor_b64 s[28:29], s[74:75], -1
	s_or_b64 s[28:29], s[28:29], vcc
	s_and_b64 s[28:29], exec, s[28:29]
	v_add_u32_e32 v50, s83, v50
	s_or_b64 s[72:73], s[28:29], s[72:73]
	v_add_u32_e32 v22, s83, v22
	s_andn2_b64 exec, exec, s[72:73]
	s_cbranch_execz .LBB78_53
.LBB78_38:                              ;   Parent Loop BB78_15 Depth=1
                                        ;     Parent Loop BB78_24 Depth=2
                                        ; =>    This Loop Header: Depth=3
                                        ;         Child Loop BB78_47 Depth 4
                                        ;         Child Loop BB78_52 Depth 4
	v_ashrrev_i32_e32 v25, 31, v24
	v_lshlrev_b64 v[26:27], 2, v[24:25]
	v_mov_b32_e32 v23, s51
	v_add_co_u32_e32 v26, vcc, s50, v26
	v_addc_co_u32_e32 v27, vcc, v23, v27, vcc
	global_load_dword v23, v[26:27], off
                                        ; implicit-def: $sgpr74_sgpr75
	s_waitcnt vmcnt(0)
	v_subrev_u32_e32 v23, s53, v23
	v_cmp_gt_i32_e64 s[28:29], s86, v23
	v_cmp_ge_i32_e32 vcc, v23, v47
	s_or_b64 s[28:29], s[28:29], vcc
	s_and_saveexec_b64 s[76:77], s[28:29]
	s_xor_b64 s[28:29], exec, s[76:77]
	s_cbranch_execz .LBB78_42
; %bb.39:                               ;   in Loop: Header=BB78_38 Depth=3
	s_mov_b64 s[74:75], -1
	s_and_saveexec_b64 s[76:77], vcc
; %bb.40:                               ;   in Loop: Header=BB78_38 Depth=3
	v_min_i32_e32 v48, v23, v48
	s_xor_b64 s[74:75], exec, -1
	v_mov_b32_e32 v49, v24
; %bb.41:                               ;   in Loop: Header=BB78_38 Depth=3
	s_or_b64 exec, exec, s[76:77]
	s_and_b64 s[74:75], s[74:75], exec
                                        ; implicit-def: $vgpr23
.LBB78_42:                              ;   in Loop: Header=BB78_38 Depth=3
	s_andn2_saveexec_b64 s[76:77], s[28:29]
	s_cbranch_execz .LBB78_37
; %bb.43:                               ;   in Loop: Header=BB78_38 Depth=3
	v_subrev_u32_e32 v23, s86, v23
	v_lshlrev_b32_e32 v25, 2, v23
	ds_write_b32 v25, v44 offset:20480
	s_and_saveexec_b64 s[78:79], s[8:9]
	s_cbranch_execz .LBB78_36
; %bb.44:                               ;   in Loop: Header=BB78_38 Depth=3
	s_andn2_b64 vcc, exec, s[42:43]
	v_cmp_ne_u32_e64 s[28:29], 1, v45
	s_cbranch_vccnz .LBB78_49
; %bb.45:                               ;   in Loop: Header=BB78_38 Depth=3
	v_pk_mov_b32 v[26:27], 0, 0
	s_mov_b64 s[80:81], 0
	s_and_b64 vcc, exec, s[28:29]
	v_pk_mov_b32 v[28:29], v[26:27], v[26:27] op_sel:[0,1]
	s_cbranch_vccnz .LBB78_48
; %bb.46:                               ;   in Loop: Header=BB78_38 Depth=3
	v_pk_mov_b32 v[26:27], 0, 0
	v_mov_b32_e32 v30, v50
	s_mov_b32 s87, s58
	v_mov_b32_e32 v25, v40
	v_pk_mov_b32 v[28:29], v[26:27], v[26:27] op_sel:[0,1]
.LBB78_47:                              ;   Parent Loop BB78_15 Depth=1
                                        ;     Parent Loop BB78_24 Depth=2
                                        ;       Parent Loop BB78_38 Depth=3
                                        ; =>      This Inner Loop Header: Depth=4
	v_ashrrev_i32_e32 v31, 31, v30
	v_lshlrev_b64 v[52:53], 4, v[30:31]
	v_add_co_u32_e32 v52, vcc, s64, v52
	v_addc_co_u32_e32 v53, vcc, v46, v53, vcc
	global_load_dwordx4 v[52:55], v[52:53], off
	ds_read_b128 v[56:59], v25
	s_add_i32 s87, s87, -1
	v_add_u32_e32 v25, 0x80, v25
	v_add_u32_e32 v30, 1, v30
	s_cmp_lg_u32 s87, 0
	s_waitcnt vmcnt(0) lgkmcnt(0)
	v_fmac_f64_e32 v[26:27], v[56:57], v[52:53]
	v_fmac_f64_e32 v[28:29], v[58:59], v[52:53]
	v_fma_f64 v[26:27], -v[58:59], v[54:55], v[26:27]
	v_fmac_f64_e32 v[28:29], v[56:57], v[54:55]
	s_cbranch_scc1 .LBB78_47
.LBB78_48:                              ;   in Loop: Header=BB78_38 Depth=3
	s_andn2_b64 vcc, exec, s[80:81]
	s_cbranch_vccnz .LBB78_35
	s_branch .LBB78_50
.LBB78_49:                              ;   in Loop: Header=BB78_38 Depth=3
                                        ; implicit-def: $vgpr26_vgpr27
                                        ; implicit-def: $vgpr28_vgpr29
.LBB78_50:                              ;   in Loop: Header=BB78_38 Depth=3
	v_pk_mov_b32 v[26:27], 0, 0
	s_and_b64 vcc, exec, s[28:29]
	v_pk_mov_b32 v[28:29], v[26:27], v[26:27] op_sel:[0,1]
	s_cbranch_vccnz .LBB78_35
; %bb.51:                               ;   in Loop: Header=BB78_38 Depth=3
	v_pk_mov_b32 v[26:27], 0, 0
	v_mov_b32_e32 v25, v41
	v_mov_b32_e32 v30, v22
	s_mov_b32 s28, s58
	v_pk_mov_b32 v[28:29], v[26:27], v[26:27] op_sel:[0,1]
.LBB78_52:                              ;   Parent Loop BB78_15 Depth=1
                                        ;     Parent Loop BB78_24 Depth=2
                                        ;       Parent Loop BB78_38 Depth=3
                                        ; =>      This Inner Loop Header: Depth=4
	v_ashrrev_i32_e32 v31, 31, v30
	v_lshlrev_b64 v[52:53], 4, v[30:31]
	v_add_co_u32_e32 v52, vcc, s64, v52
	v_addc_co_u32_e32 v53, vcc, v46, v53, vcc
	global_load_dwordx4 v[52:55], v[52:53], off
	ds_read_b128 v[56:59], v25
	s_add_i32 s28, s28, -1
	v_add_u32_e32 v25, 16, v25
	v_add_u32_e32 v30, s58, v30
	s_cmp_eq_u32 s28, 0
	s_waitcnt vmcnt(0) lgkmcnt(0)
	v_fmac_f64_e32 v[26:27], v[56:57], v[52:53]
	v_fmac_f64_e32 v[28:29], v[58:59], v[52:53]
	v_fma_f64 v[26:27], -v[58:59], v[54:55], v[26:27]
	v_fmac_f64_e32 v[28:29], v[56:57], v[54:55]
	s_cbranch_scc0 .LBB78_52
	s_branch .LBB78_35
.LBB78_53:                              ;   in Loop: Header=BB78_24 Depth=2
	s_or_b64 exec, exec, s[72:73]
.LBB78_54:                              ;   in Loop: Header=BB78_24 Depth=2
	s_or_b64 exec, exec, s[70:71]
.LBB78_55:                              ;   in Loop: Header=BB78_24 Depth=2
	s_or_b64 exec, exec, s[68:69]
	s_waitcnt lgkmcnt(0)
	s_barrier
	s_and_saveexec_b64 s[28:29], s[26:27]
	s_cbranch_execz .LBB78_23
; %bb.56:                               ;   in Loop: Header=BB78_24 Depth=2
	v_ashrrev_i32_e32 v21, 31, v20
	v_lshlrev_b64 v[20:21], 2, v[20:21]
	v_mov_b32_e32 v22, s35
	v_add_co_u32_e32 v20, vcc, s34, v20
	v_addc_co_u32_e32 v21, vcc, v22, v21, vcc
	global_store_dword v[20:21], v49, off
	s_branch .LBB78_23
.LBB78_57:                              ;   in Loop: Header=BB78_24 Depth=2
                                        ; implicit-def: $vgpr49
	s_branch .LBB78_32
.LBB78_58:                              ;   in Loop: Header=BB78_15 Depth=1
	s_andn2_b64 vcc, exec, s[30:31]
	s_cbranch_vccnz .LBB78_70
; %bb.59:                               ;   in Loop: Header=BB78_15 Depth=1
	s_load_dwordx2 s[26:27], s[36:37], 0x0
	s_waitcnt lgkmcnt(0)
	s_sub_i32 s65, s27, s55
	v_add_u32_e32 v20, s26, v32
	v_cmp_gt_i32_e32 vcc, s65, v20
	s_and_saveexec_b64 s[66:67], vcc
	s_cbranch_execz .LBB78_69
; %bb.60:                               ;   in Loop: Header=BB78_15 Depth=1
	v_mad_u64_u32 v[22:23], s[26:27], s58, v20, v[16:17]
	v_mad_u64_u32 v[22:23], s[26:27], s58, v22, v[18:19]
	s_mov_b64 s[68:69], 0
	s_branch .LBB78_63
.LBB78_61:                              ;   in Loop: Header=BB78_63 Depth=2
	s_or_b64 exec, exec, s[70:71]
	s_or_b64 s[26:27], s[26:27], exec
.LBB78_62:                              ;   in Loop: Header=BB78_63 Depth=2
	s_or_b64 exec, exec, s[28:29]
	v_add_u32_e32 v20, 4, v20
	v_cmp_le_i32_e32 vcc, s65, v20
	s_xor_b64 s[26:27], s[26:27], -1
	s_or_b64 s[26:27], vcc, s[26:27]
	s_and_b64 s[26:27], exec, s[26:27]
	s_or_b64 s[68:69], s[26:27], s[68:69]
	v_add_u32_e32 v22, s84, v22
	s_andn2_b64 exec, exec, s[68:69]
	s_cbranch_execz .LBB78_68
.LBB78_63:                              ;   Parent Loop BB78_15 Depth=1
                                        ; =>  This Inner Loop Header: Depth=2
	v_ashrrev_i32_e32 v21, 31, v20
	v_lshlrev_b64 v[24:25], 2, v[20:21]
	v_mov_b32_e32 v21, s39
	v_add_co_u32_e32 v24, vcc, s38, v24
	v_addc_co_u32_e32 v25, vcc, v21, v25, vcc
	global_load_dword v21, v[24:25], off
	s_waitcnt vmcnt(0)
	v_subrev_u32_e32 v21, s55, v21
	v_cmp_gt_i32_e64 s[26:27], s86, v21
	v_cmp_ge_i32_e64 s[28:29], v21, v47
	v_cmp_lt_i32_e32 vcc, v21, v47
	s_or_b64 s[28:29], s[26:27], s[28:29]
                                        ; implicit-def: $sgpr26_sgpr27
	s_and_saveexec_b64 s[70:71], s[28:29]
	s_xor_b64 s[28:29], exec, s[70:71]
; %bb.64:                               ;   in Loop: Header=BB78_63 Depth=2
	v_min_i32_e32 v21, v21, v48
	v_cndmask_b32_e32 v48, v21, v48, vcc
	s_and_b64 s[26:27], vcc, exec
                                        ; implicit-def: $vgpr21
; %bb.65:                               ;   in Loop: Header=BB78_63 Depth=2
	s_andn2_saveexec_b64 s[28:29], s[28:29]
	s_cbranch_execz .LBB78_62
; %bb.66:                               ;   in Loop: Header=BB78_63 Depth=2
	v_subrev_u32_e32 v21, s86, v21
	v_lshlrev_b32_e32 v23, 2, v21
	ds_write_b32 v23, v44 offset:20480
	s_and_saveexec_b64 s[70:71], s[8:9]
	s_cbranch_execz .LBB78_61
; %bb.67:                               ;   in Loop: Header=BB78_63 Depth=2
	v_ashrrev_i32_e32 v23, 31, v22
	v_lshlrev_b64 v[24:25], 4, v[22:23]
	v_mov_b32_e32 v23, s41
	v_add_co_u32_e32 v24, vcc, s40, v24
	v_addc_co_u32_e32 v25, vcc, v23, v25, vcc
	global_load_dwordx4 v[24:27], v[24:25], off
	v_lshlrev_b32_e32 v21, 6, v21
	v_or3_b32 v21, v21, v19, v12
	v_lshlrev_b32_e32 v21, 4, v21
	s_waitcnt vmcnt(0)
	v_mul_f64 v[28:29], v[26:27], -v[6:7]
	v_mul_f64 v[26:27], v[10:11], v[26:27]
	v_fmac_f64_e32 v[28:29], v[10:11], v[24:25]
	v_fmac_f64_e32 v[26:27], v[6:7], v[24:25]
	ds_add_f64 v21, v[28:29]
	ds_add_f64 v21, v[26:27] offset:8
	s_branch .LBB78_61
.LBB78_68:                              ;   in Loop: Header=BB78_15 Depth=1
	s_or_b64 exec, exec, s[68:69]
.LBB78_69:                              ;   in Loop: Header=BB78_15 Depth=1
	s_or_b64 exec, exec, s[66:67]
.LBB78_70:                              ;   in Loop: Header=BB78_15 Depth=1
	s_and_saveexec_b64 s[26:27], s[12:13]
	s_cbranch_execz .LBB78_75
; %bb.71:                               ;   in Loop: Header=BB78_15 Depth=1
	s_mov_b64 s[28:29], exec
	s_brev_b32 s65, -2
.LBB78_72:                              ;   Parent Loop BB78_15 Depth=1
                                        ; =>  This Inner Loop Header: Depth=2
	s_ff1_i32_b64 s66, s[28:29]
	v_readlane_b32 s68, v48, s66
	s_lshl_b64 s[66:67], 1, s66
	s_min_i32 s65, s65, s68
	s_andn2_b64 s[28:29], s[28:29], s[66:67]
	s_cmp_lg_u64 s[28:29], 0
	s_cbranch_scc1 .LBB78_72
; %bb.73:                               ;   in Loop: Header=BB78_15 Depth=1
	v_mbcnt_lo_u32_b32 v20, exec_lo, 0
	v_mbcnt_hi_u32_b32 v20, exec_hi, v20
	v_cmp_eq_u32_e32 vcc, 0, v20
	s_and_saveexec_b64 s[28:29], vcc
	s_xor_b64 s[28:29], exec, s[28:29]
	s_cbranch_execz .LBB78_75
; %bb.74:                               ;   in Loop: Header=BB78_15 Depth=1
	v_mov_b32_e32 v20, s65
	ds_min_i32 v0, v20 offset:20544
.LBB78_75:                              ;   in Loop: Header=BB78_15 Depth=1
	s_or_b64 exec, exec, s[26:27]
	s_waitcnt lgkmcnt(0)
	s_barrier
	ds_read_b32 v20, v33
	s_waitcnt lgkmcnt(0)
	s_barrier
	s_and_saveexec_b64 s[26:27], s[16:17]
	s_cbranch_execz .LBB78_77
; %bb.76:                               ;   in Loop: Header=BB78_15 Depth=1
	ds_read_b32 v21, v34
	s_waitcnt lgkmcnt(0)
	v_add_u32_e32 v20, v21, v20
.LBB78_77:                              ;   in Loop: Header=BB78_15 Depth=1
	s_or_b64 exec, exec, s[26:27]
	s_barrier
	ds_write_b32 v33, v20
	s_waitcnt lgkmcnt(0)
	s_barrier
	s_and_saveexec_b64 s[26:27], s[18:19]
	s_cbranch_execz .LBB78_79
; %bb.78:                               ;   in Loop: Header=BB78_15 Depth=1
	ds_read_b32 v21, v36
	s_waitcnt lgkmcnt(0)
	v_add_u32_e32 v20, v21, v20
.LBB78_79:                              ;   in Loop: Header=BB78_15 Depth=1
	s_or_b64 exec, exec, s[26:27]
	s_barrier
	ds_write_b32 v33, v20
	;; [unrolled: 12-line block ×4, first 2 shown]
	s_waitcnt lgkmcnt(0)
	s_barrier
	ds_read_b32 v22, v0 offset:20540
	v_mov_b32_e32 v21, 0
	s_and_saveexec_b64 s[26:27], s[14:15]
	s_cbranch_execz .LBB78_85
; %bb.84:                               ;   in Loop: Header=BB78_15 Depth=1
	ds_read_b32 v21, v34
.LBB78_85:                              ;   in Loop: Header=BB78_15 Depth=1
	s_or_b64 exec, exec, s[26:27]
	s_waitcnt lgkmcnt(0)
	v_cmp_eq_u32_e32 vcc, v20, v21
	s_and_b64 s[28:29], s[14:15], vcc
	s_barrier
	s_and_saveexec_b64 s[26:27], s[28:29]
	s_cbranch_execz .LBB78_87
; %bb.86:                               ;   in Loop: Header=BB78_15 Depth=1
	ds_write_b32 v33, v0
.LBB78_87:                              ;   in Loop: Header=BB78_15 Depth=1
	s_or_b64 exec, exec, s[26:27]
	v_add_u32_e32 v23, -1, v43
	s_add_i32 s65, s54, s86
	s_mov_b64 s[26:27], 0
	v_mov_b32_e32 v24, v42
	v_mov_b32_e32 v25, v15
	;; [unrolled: 1-line block ×3, first 2 shown]
	s_waitcnt lgkmcnt(0)
	s_barrier
	s_branch .LBB78_89
.LBB78_88:                              ;   in Loop: Header=BB78_89 Depth=2
	s_or_b64 exec, exec, s[28:29]
	v_add_u32_e32 v20, 4, v26
	v_cmp_lt_u32_e32 vcc, 11, v26
	v_add_u32_e32 v25, 0x1000, v25
	v_add_u32_e32 v24, 16, v24
	s_or_b64 s[26:27], vcc, s[26:27]
	v_mov_b32_e32 v26, v20
	s_andn2_b64 exec, exec, s[26:27]
	s_cbranch_execz .LBB78_14
.LBB78_89:                              ;   Parent Loop BB78_15 Depth=1
                                        ; =>  This Inner Loop Header: Depth=2
	ds_read_b32 v20, v24
	s_waitcnt lgkmcnt(0)
	v_cmp_ne_u32_e32 vcc, 0, v20
	s_and_saveexec_b64 s[28:29], vcc
	s_cbranch_execz .LBB78_88
; %bb.90:                               ;   in Loop: Header=BB78_89 Depth=2
	v_add_u32_e32 v20, v23, v20
	v_ashrrev_i32_e32 v21, 31, v20
	v_lshlrev_b64 v[28:29], 2, v[20:21]
	v_mov_b32_e32 v21, s61
	v_add_co_u32_e32 v28, vcc, s60, v28
	v_add_u32_e32 v27, s65, v26
	v_addc_co_u32_e32 v29, vcc, v21, v29, vcc
	global_store_dword v[28:29], v27, off
	s_and_b64 exec, exec, s[8:9]
	s_cbranch_execz .LBB78_88
; %bb.91:                               ;   in Loop: Header=BB78_89 Depth=2
	v_mad_u64_u32 v[20:21], s[66:67], v20, s58, v[16:17]
	v_mad_u64_u32 v[20:21], s[66:67], v20, s58, v[18:19]
	ds_read2_b64 v[28:31], v25 offset1:1
	v_ashrrev_i32_e32 v21, 31, v20
	v_lshlrev_b64 v[20:21], 4, v[20:21]
	v_mov_b32_e32 v27, s63
	v_add_co_u32_e32 v20, vcc, s62, v20
	v_addc_co_u32_e32 v21, vcc, v27, v21, vcc
	s_waitcnt lgkmcnt(0)
	global_store_dwordx4 v[20:21], v[28:31], off
	s_branch .LBB78_88
.LBB78_92:
	s_endpgm
	.section	.rodata,"a",@progbits
	.p2align	6, 0x0
	.amdhsa_kernel _ZN9rocsparseL38bsrgemm_block_per_row_atomic_multipassILj256ELj16ELj8Eii21rocsparse_complex_numIdEEEv20rocsparse_direction_T3_S4_PKS4_S6_NS_24const_host_device_scalarIT4_EEPKT2_S6_PKS8_SC_S6_SE_S9_SC_S6_SE_SC_PS4_PS8_PSA_21rocsparse_index_base_SI_SI_SI_bbb
		.amdhsa_group_segment_fixed_size 20552
		.amdhsa_private_segment_fixed_size 24
		.amdhsa_kernarg_size 188
		.amdhsa_user_sgpr_count 8
		.amdhsa_user_sgpr_private_segment_buffer 1
		.amdhsa_user_sgpr_dispatch_ptr 0
		.amdhsa_user_sgpr_queue_ptr 0
		.amdhsa_user_sgpr_kernarg_segment_ptr 1
		.amdhsa_user_sgpr_dispatch_id 0
		.amdhsa_user_sgpr_flat_scratch_init 1
		.amdhsa_user_sgpr_kernarg_preload_length 0
		.amdhsa_user_sgpr_kernarg_preload_offset 0
		.amdhsa_user_sgpr_private_segment_size 0
		.amdhsa_uses_dynamic_stack 0
		.amdhsa_system_sgpr_private_segment_wavefront_offset 1
		.amdhsa_system_sgpr_workgroup_id_x 1
		.amdhsa_system_sgpr_workgroup_id_y 0
		.amdhsa_system_sgpr_workgroup_id_z 0
		.amdhsa_system_sgpr_workgroup_info 0
		.amdhsa_system_vgpr_workitem_id 0
		.amdhsa_next_free_vgpr 60
		.amdhsa_next_free_sgpr 88
		.amdhsa_accum_offset 60
		.amdhsa_reserve_vcc 1
		.amdhsa_reserve_flat_scratch 1
		.amdhsa_float_round_mode_32 0
		.amdhsa_float_round_mode_16_64 0
		.amdhsa_float_denorm_mode_32 3
		.amdhsa_float_denorm_mode_16_64 3
		.amdhsa_dx10_clamp 1
		.amdhsa_ieee_mode 1
		.amdhsa_fp16_overflow 0
		.amdhsa_tg_split 0
		.amdhsa_exception_fp_ieee_invalid_op 0
		.amdhsa_exception_fp_denorm_src 0
		.amdhsa_exception_fp_ieee_div_zero 0
		.amdhsa_exception_fp_ieee_overflow 0
		.amdhsa_exception_fp_ieee_underflow 0
		.amdhsa_exception_fp_ieee_inexact 0
		.amdhsa_exception_int_div_zero 0
	.end_amdhsa_kernel
	.section	.text._ZN9rocsparseL38bsrgemm_block_per_row_atomic_multipassILj256ELj16ELj8Eii21rocsparse_complex_numIdEEEv20rocsparse_direction_T3_S4_PKS4_S6_NS_24const_host_device_scalarIT4_EEPKT2_S6_PKS8_SC_S6_SE_S9_SC_S6_SE_SC_PS4_PS8_PSA_21rocsparse_index_base_SI_SI_SI_bbb,"axG",@progbits,_ZN9rocsparseL38bsrgemm_block_per_row_atomic_multipassILj256ELj16ELj8Eii21rocsparse_complex_numIdEEEv20rocsparse_direction_T3_S4_PKS4_S6_NS_24const_host_device_scalarIT4_EEPKT2_S6_PKS8_SC_S6_SE_S9_SC_S6_SE_SC_PS4_PS8_PSA_21rocsparse_index_base_SI_SI_SI_bbb,comdat
.Lfunc_end78:
	.size	_ZN9rocsparseL38bsrgemm_block_per_row_atomic_multipassILj256ELj16ELj8Eii21rocsparse_complex_numIdEEEv20rocsparse_direction_T3_S4_PKS4_S6_NS_24const_host_device_scalarIT4_EEPKT2_S6_PKS8_SC_S6_SE_S9_SC_S6_SE_SC_PS4_PS8_PSA_21rocsparse_index_base_SI_SI_SI_bbb, .Lfunc_end78-_ZN9rocsparseL38bsrgemm_block_per_row_atomic_multipassILj256ELj16ELj8Eii21rocsparse_complex_numIdEEEv20rocsparse_direction_T3_S4_PKS4_S6_NS_24const_host_device_scalarIT4_EEPKT2_S6_PKS8_SC_S6_SE_S9_SC_S6_SE_SC_PS4_PS8_PSA_21rocsparse_index_base_SI_SI_SI_bbb
                                        ; -- End function
	.section	.AMDGPU.csdata,"",@progbits
; Kernel info:
; codeLenInByte = 3108
; NumSgprs: 94
; NumVgprs: 60
; NumAgprs: 0
; TotalNumVgprs: 60
; ScratchSize: 24
; MemoryBound: 0
; FloatMode: 240
; IeeeMode: 1
; LDSByteSize: 20552 bytes/workgroup (compile time only)
; SGPRBlocks: 11
; VGPRBlocks: 7
; NumSGPRsForWavesPerEU: 94
; NumVGPRsForWavesPerEU: 60
; AccumOffset: 60
; Occupancy: 3
; WaveLimiterHint : 1
; COMPUTE_PGM_RSRC2:SCRATCH_EN: 1
; COMPUTE_PGM_RSRC2:USER_SGPR: 8
; COMPUTE_PGM_RSRC2:TRAP_HANDLER: 0
; COMPUTE_PGM_RSRC2:TGID_X_EN: 1
; COMPUTE_PGM_RSRC2:TGID_Y_EN: 0
; COMPUTE_PGM_RSRC2:TGID_Z_EN: 0
; COMPUTE_PGM_RSRC2:TIDIG_COMP_CNT: 0
; COMPUTE_PGM_RSRC3_GFX90A:ACCUM_OFFSET: 14
; COMPUTE_PGM_RSRC3_GFX90A:TG_SPLIT: 0
	.section	.text._ZN9rocsparseL38bsrgemm_block_per_row_atomic_multipassILj256ELj32ELj8Eii21rocsparse_complex_numIdEEEv20rocsparse_direction_T3_S4_PKS4_S6_NS_24const_host_device_scalarIT4_EEPKT2_S6_PKS8_SC_S6_SE_S9_SC_S6_SE_SC_PS4_PS8_PSA_21rocsparse_index_base_SI_SI_SI_bbb,"axG",@progbits,_ZN9rocsparseL38bsrgemm_block_per_row_atomic_multipassILj256ELj32ELj8Eii21rocsparse_complex_numIdEEEv20rocsparse_direction_T3_S4_PKS4_S6_NS_24const_host_device_scalarIT4_EEPKT2_S6_PKS8_SC_S6_SE_S9_SC_S6_SE_SC_PS4_PS8_PSA_21rocsparse_index_base_SI_SI_SI_bbb,comdat
	.globl	_ZN9rocsparseL38bsrgemm_block_per_row_atomic_multipassILj256ELj32ELj8Eii21rocsparse_complex_numIdEEEv20rocsparse_direction_T3_S4_PKS4_S6_NS_24const_host_device_scalarIT4_EEPKT2_S6_PKS8_SC_S6_SE_S9_SC_S6_SE_SC_PS4_PS8_PSA_21rocsparse_index_base_SI_SI_SI_bbb ; -- Begin function _ZN9rocsparseL38bsrgemm_block_per_row_atomic_multipassILj256ELj32ELj8Eii21rocsparse_complex_numIdEEEv20rocsparse_direction_T3_S4_PKS4_S6_NS_24const_host_device_scalarIT4_EEPKT2_S6_PKS8_SC_S6_SE_S9_SC_S6_SE_SC_PS4_PS8_PSA_21rocsparse_index_base_SI_SI_SI_bbb
	.p2align	8
	.type	_ZN9rocsparseL38bsrgemm_block_per_row_atomic_multipassILj256ELj32ELj8Eii21rocsparse_complex_numIdEEEv20rocsparse_direction_T3_S4_PKS4_S6_NS_24const_host_device_scalarIT4_EEPKT2_S6_PKS8_SC_S6_SE_S9_SC_S6_SE_SC_PS4_PS8_PSA_21rocsparse_index_base_SI_SI_SI_bbb,@function
_ZN9rocsparseL38bsrgemm_block_per_row_atomic_multipassILj256ELj32ELj8Eii21rocsparse_complex_numIdEEEv20rocsparse_direction_T3_S4_PKS4_S6_NS_24const_host_device_scalarIT4_EEPKT2_S6_PKS8_SC_S6_SE_S9_SC_S6_SE_SC_PS4_PS8_PSA_21rocsparse_index_base_SI_SI_SI_bbb: ; @_ZN9rocsparseL38bsrgemm_block_per_row_atomic_multipassILj256ELj32ELj8Eii21rocsparse_complex_numIdEEEv20rocsparse_direction_T3_S4_PKS4_S6_NS_24const_host_device_scalarIT4_EEPKT2_S6_PKS8_SC_S6_SE_S9_SC_S6_SE_SC_PS4_PS8_PSA_21rocsparse_index_base_SI_SI_SI_bbb
; %bb.0:
	s_load_dword s9, s[6:7], 0xb8
	s_load_dwordx4 s[52:55], s[6:7], 0xa8
	s_load_dwordx2 s[2:3], s[4:5], 0x4
	s_load_dwordx4 s[16:19], s[6:7], 0x20
	s_load_dwordx4 s[12:15], s[6:7], 0x60
	v_and_b32_e32 v1, 0x3ff, v0
	s_waitcnt lgkmcnt(0)
	s_bitcmp1_b32 s9, 0
	s_cselect_b64 s[24:25], -1, 0
	s_bitcmp1_b32 s9, 16
	s_cselect_b64 s[0:1], -1, 0
	s_lshr_b32 s2, s2, 16
	s_mul_i32 s2, s2, s3
	v_mul_lo_u32 v2, s2, v1
	v_bfe_u32 v3, v0, 10, 10
	v_mad_u32_u24 v2, v3, s3, v2
	v_bfe_u32 v0, v0, 20, 10
	v_add_lshl_u32 v0, v2, v0, 3
	v_pk_mov_b32 v[2:3], s[16:17], s[16:17] op_sel:[0,1]
	v_pk_mov_b32 v[4:5], s[12:13], s[12:13] op_sel:[0,1]
	v_add_u32_e32 v6, 0x88, v0
	s_xor_b64 s[2:3], s[0:1], -1
	ds_write2st64_b64 v6, v[4:5], v[2:3] offset0:72 offset1:76
	v_pk_mov_b32 v[10:11], 0, 0
	v_cndmask_b32_e64 v2, 0, 1, s[2:3]
	s_bitcmp0_b32 s9, 0
	v_cmp_ne_u32_e64 s[2:3], 1, v2
	v_pk_mov_b32 v[8:9], v[10:11], v[10:11] op_sel:[0,1]
	v_pk_mov_b32 v[12:13], v[10:11], v[10:11] op_sel:[0,1]
	s_cbranch_scc1 .LBB79_3
; %bb.1:
	s_mov_b64 s[4:5], src_shared_base
	s_and_b64 s[10:11], s[0:1], exec
	v_add_u32_e32 v2, 0x9888, v0
	s_cselect_b32 s4, s5, s17
	v_mov_b32_e32 v3, s16
	v_cndmask_b32_e64 v2, v3, v2, s[0:1]
	v_mov_b32_e32 v3, s4
	flat_load_dwordx2 v[8:9], v[2:3]
	s_and_b64 vcc, exec, s[2:3]
	v_pk_mov_b32 v[12:13], s[18:19], s[18:19] op_sel:[0,1]
	s_cbranch_vccnz .LBB79_3
; %bb.2:
	v_pk_mov_b32 v[2:3], s[16:17], s[16:17] op_sel:[0,1]
	flat_load_dwordx2 v[12:13], v[2:3] offset:8
.LBB79_3:
	s_load_dwordx2 s[4:5], s[6:7], 0x18
	s_bitcmp1_b32 s9, 8
	s_cselect_b64 s[30:31], -1, 0
	s_bfe_u32 s9, s9, 0x10008
	s_cmp_eq_u32 s9, 0
	v_pk_mov_b32 v[14:15], v[10:11], v[10:11] op_sel:[0,1]
	s_cbranch_scc1 .LBB79_6
; %bb.4:
	s_mov_b64 s[10:11], src_shared_base
	s_and_b64 s[16:17], s[0:1], exec
	v_add_u32_e32 v0, 0x9088, v0
	s_cselect_b32 s9, s11, s13
	v_mov_b32_e32 v2, s12
	v_cndmask_b32_e64 v2, v2, v0, s[0:1]
	v_mov_b32_e32 v3, s9
	flat_load_dwordx2 v[14:15], v[2:3]
	s_and_b64 vcc, exec, s[2:3]
	v_pk_mov_b32 v[10:11], s[14:15], s[14:15] op_sel:[0,1]
	s_cbranch_vccnz .LBB79_6
; %bb.5:
	v_pk_mov_b32 v[2:3], s[12:13], s[12:13] op_sel:[0,1]
	flat_load_dwordx2 v[10:11], v[2:3] offset:8
.LBB79_6:
	s_load_dwordx2 s[2:3], s[6:7], 0x30
	s_waitcnt lgkmcnt(0)
	s_cmp_eq_u64 s[4:5], 0
	s_cbranch_scc1 .LBB79_8
; %bb.7:
	s_load_dwordx2 s[0:1], s[6:7], 0x10
	s_waitcnt lgkmcnt(0)
	s_load_dword s0, s[0:1], 0x0
	s_mov_b32 s1, 0
	s_waitcnt lgkmcnt(0)
	s_add_i32 s0, s0, s8
	s_lshl_b64 s[0:1], s[0:1], 2
	s_add_u32 s0, s4, s0
	s_addc_u32 s1, s5, s1
	s_load_dword s8, s[0:1], 0x0
.LBB79_8:
	v_cndmask_b32_e64 v0, 0, 1, s[24:25]
	s_mov_b32 s33, 0
	v_cmp_ne_u32_e64 s[0:1], 1, v0
	s_andn2_b64 vcc, exec, s[24:25]
	s_mov_b32 s84, 0
	s_cbranch_vccz .LBB79_11
; %bb.9:
	s_and_b64 vcc, exec, s[0:1]
	s_cbranch_vccz .LBB79_12
.LBB79_10:
	s_load_dwordx4 s[56:59], s[6:7], 0x0
	s_waitcnt lgkmcnt(0)
	s_cmp_lt_i32 s57, 1
	s_cbranch_scc0 .LBB79_13
	s_branch .LBB79_94
.LBB79_11:
	s_waitcnt lgkmcnt(0)
	s_ashr_i32 s9, s8, 31
	s_lshl_b64 s[4:5], s[8:9], 2
	s_add_u32 s4, s2, s4
	s_addc_u32 s5, s3, s5
	s_load_dword s4, s[4:5], 0x0
	s_waitcnt lgkmcnt(0)
	s_sub_i32 s84, s4, s52
	s_and_b64 vcc, exec, s[0:1]
	s_cbranch_vccnz .LBB79_10
.LBB79_12:
	s_waitcnt lgkmcnt(0)
	s_ashr_i32 s9, s8, 31
	s_lshl_b64 s[0:1], s[8:9], 2
	s_add_u32 s0, s2, s0
	s_addc_u32 s1, s3, s1
	s_load_dword s0, s[0:1], 0x4
	s_waitcnt lgkmcnt(0)
	s_sub_i32 s33, s0, s52
	s_load_dwordx4 s[56:59], s[6:7], 0x0
	s_waitcnt lgkmcnt(0)
	s_cmp_lt_i32 s57, 1
	s_cbranch_scc1 .LBB79_94
.LBB79_13:
	s_load_dwordx2 s[34:35], s[6:7], 0xa0
	s_load_dwordx4 s[60:63], s[6:7], 0x90
	s_load_dwordx8 s[36:43], s[6:7], 0x70
	s_load_dwordx2 s[68:69], s[6:7], 0x58
	s_load_dwordx8 s[44:51], s[6:7], 0x38
	s_ashr_i32 s9, s8, 31
	s_lshl_b64 s[8:9], s[8:9], 2
	s_waitcnt lgkmcnt(0)
	s_add_u32 s0, s42, s8
	s_addc_u32 s1, s43, s9
	s_load_dword s0, s[0:1], 0x0
	v_and_b32_e32 v0, 63, v1
	v_and_b32_e32 v16, 7, v1
	v_bfe_u32 v18, v1, 3, 3
	v_max_i32_e32 v2, v16, v18
	s_waitcnt lgkmcnt(0)
	s_sub_i32 s65, s0, s54
	s_cmp_lt_i32 s84, s33
	s_cselect_b64 s[26:27], -1, 0
	s_cmp_eq_u32 s56, 0
	s_cselect_b64 vcc, -1, 0
	s_cmp_lg_u32 s56, 0
	s_cselect_b64 s[42:43], -1, 0
	s_cmp_gt_i32 s58, 0
	s_cselect_b64 s[28:29], -1, 0
	s_add_u32 s36, s36, s8
	s_addc_u32 s37, s37, s9
	v_cmp_eq_u32_e64 s[8:9], 63, v0
	v_and_b32_e32 v0, 31, v1
	v_lshrrev_b32_e32 v17, 6, v1
	s_mov_b32 s64, 0
	v_cmp_gt_i32_e64 s[4:5], s58, v2
	v_cmp_le_i32_e64 s[6:7], s58, v2
	v_lshlrev_b32_e32 v2, 2, v0
	v_add_co_u32_e64 v3, s[10:11], -1, v0
	v_mov_b32_e32 v4, 0x9000
	v_cmp_ne_u32_e64 s[12:13], 0, v0
	v_cmp_lt_u32_e64 s[14:15], 1, v0
	v_cmp_lt_u32_e64 s[16:17], 3, v0
	;; [unrolled: 1-line block ×4, first 2 shown]
	v_or_b32_e32 v0, 0x400, v1
	s_movk_i32 s22, 0x700
	v_cmp_gt_u32_e64 s[0:1], 32, v1
	v_cmp_eq_u32_e64 s[2:3], 0, v1
	v_lshlrev_b32_e32 v19, 4, v1
	s_mov_b32 s66, 0x8000
	v_and_b32_e32 v23, 56, v1
	v_lshl_or_b32 v37, v1, 2, v4
	v_cmp_gt_u32_e64 s[22:23], s22, v0
	s_and_b64 s[24:25], s[24:25], s[26:27]
	v_lshlrev_b32_e32 v0, 10, v17
	v_lshlrev_b32_e32 v1, 4, v18
	v_mov_b32_e32 v45, s65
	s_mov_b32 s65, s64
	v_lshl_add_u32 v36, v3, 2, v4
	s_add_u32 s56, s48, 4
	v_or3_b32 v42, v0, v1, s66
	s_mul_i32 s85, s58, s58
	v_and_b32_e32 v0, 0xf80, v19
	v_lshl_or_b32 v44, v17, 2, v4
	s_mov_b32 s66, s64
	s_mov_b32 s67, s64
	v_pk_mov_b32 v[4:5], s[64:65], s[64:65] op_sel:[0,1]
	v_cndmask_b32_e64 v1, 0, 1, s[24:25]
	v_or_b32_e32 v21, 0x8000, v19
	v_subrev_u32_e32 v34, s55, v17
	v_or_b32_e32 v35, 0x9000, v2
	v_add_u32_e32 v38, 0x8ff8, v2
	v_add_u32_e32 v39, 0x8ff0, v2
	;; [unrolled: 1-line block ×4, first 2 shown]
	v_cndmask_b32_e32 v20, v16, v18, vcc
	v_cndmask_b32_e32 v22, v18, v16, vcc
	s_addc_u32 s59, s49, 0
	v_or_b32_e32 v43, 0x8000, v0
	s_lshl_b32 s86, s85, 2
	v_mov_b32_e32 v49, 32
	v_mov_b32_e32 v0, 0
	v_pk_mov_b32 v[6:7], s[66:67], s[66:67] op_sel:[0,1]
	v_cmp_ne_u32_e64 s[24:25], 1, v1
	v_mov_b32_e32 v46, 1
	v_cndmask_b32_e64 v47, 0, 1, s[28:29]
	v_mov_b32_e32 v48, s69
	s_branch .LBB79_15
.LBB79_14:                              ;   in Loop: Header=BB79_15 Depth=1
	s_or_b64 exec, exec, s[26:27]
	s_barrier
	ds_read_b32 v1, v0 offset:36992
	v_add_u32_e32 v45, v24, v45
	s_waitcnt lgkmcnt(0)
	s_barrier
	v_cmp_le_i32_e32 vcc, s57, v1
	v_readfirstlane_b32 s64, v1
	v_add_u32_e32 v49, 32, v1
	s_cbranch_vccnz .LBB79_94
.LBB79_15:                              ; =>This Loop Header: Depth=1
                                        ;     Child Loop BB79_24 Depth 2
                                        ;       Child Loop BB79_38 Depth 3
                                        ;         Child Loop BB79_47 Depth 4
                                        ;         Child Loop BB79_52 Depth 4
                                        ;     Child Loop BB79_63 Depth 2
                                        ;     Child Loop BB79_72 Depth 2
	;; [unrolled: 1-line block ×3, first 2 shown]
	s_and_saveexec_b64 s[26:27], s[0:1]
	s_cbranch_execz .LBB79_17
; %bb.16:                               ;   in Loop: Header=BB79_15 Depth=1
	ds_write_b32 v37, v0
.LBB79_17:                              ;   in Loop: Header=BB79_15 Depth=1
	s_or_b64 exec, exec, s[26:27]
	ds_write_b128 v19, v[4:7]
	ds_write_b128 v19, v[4:7] offset:4096
	ds_write_b128 v19, v[4:7] offset:8192
	;; [unrolled: 1-line block ×4, first 2 shown]
	s_and_saveexec_b64 s[26:27], s[22:23]
	s_xor_b64 s[26:27], exec, s[26:27]
	s_cbranch_execz .LBB79_19
; %bb.18:                               ;   in Loop: Header=BB79_15 Depth=1
	ds_write_b128 v19, v[4:7] offset:20480
	ds_write_b128 v19, v[4:7] offset:24576
	;; [unrolled: 1-line block ×3, first 2 shown]
.LBB79_19:                              ;   in Loop: Header=BB79_15 Depth=1
	s_or_b64 exec, exec, s[26:27]
	s_and_saveexec_b64 s[26:27], s[2:3]
	s_cbranch_execz .LBB79_21
; %bb.20:                               ;   in Loop: Header=BB79_15 Depth=1
	v_mov_b32_e32 v1, s57
	ds_write_b32 v0, v1 offset:36992
.LBB79_21:                              ;   in Loop: Header=BB79_15 Depth=1
	s_or_b64 exec, exec, s[26:27]
	s_and_b64 vcc, exec, s[24:25]
	v_mov_b32_e32 v50, s57
	s_waitcnt lgkmcnt(0)
	s_barrier
	s_cbranch_vccnz .LBB79_58
; %bb.22:                               ;   in Loop: Header=BB79_15 Depth=1
	s_cmp_lg_u32 s64, 0
	s_cselect_b64 s[66:67], -1, 0
	v_mov_b32_e32 v50, s57
	s_mov_b32 s65, s84
	s_branch .LBB79_24
.LBB79_23:                              ;   in Loop: Header=BB79_24 Depth=2
	s_or_b64 exec, exec, s[28:29]
	s_add_i32 s65, s65, 4
	s_cmp_lt_i32 s65, s33
	s_cbranch_scc0 .LBB79_58
.LBB79_24:                              ;   Parent Loop BB79_15 Depth=1
                                        ; =>  This Loop Header: Depth=2
                                        ;       Child Loop BB79_38 Depth 3
                                        ;         Child Loop BB79_47 Depth 4
                                        ;         Child Loop BB79_52 Depth 4
	v_add_u32_e32 v24, s65, v17
	v_cmp_gt_i32_e64 s[26:27], s33, v24
	s_barrier
	s_and_saveexec_b64 s[28:29], s[26:27]
	s_cbranch_execz .LBB79_29
; %bb.25:                               ;   in Loop: Header=BB79_24 Depth=2
	s_and_saveexec_b64 s[70:71], s[6:7]
	s_xor_b64 s[70:71], exec, s[70:71]
	s_cbranch_execz .LBB79_27
; %bb.26:                               ;   in Loop: Header=BB79_24 Depth=2
	v_mov_b32_e32 v1, v0
	v_mov_b32_e32 v2, v0
	;; [unrolled: 1-line block ×3, first 2 shown]
	ds_write_b128 v21, v[0:3]
.LBB79_27:                              ;   in Loop: Header=BB79_24 Depth=2
	s_andn2_saveexec_b64 s[70:71], s[70:71]
	s_cbranch_execz .LBB79_29
; %bb.28:                               ;   in Loop: Header=BB79_24 Depth=2
	v_mad_u64_u32 v[2:3], s[70:71], v24, s58, v[18:19]
	v_mad_u64_u32 v[2:3], s[70:71], v2, s58, v[16:17]
	v_ashrrev_i32_e32 v3, 31, v2
	v_lshlrev_b64 v[2:3], 4, v[2:3]
	v_mov_b32_e32 v1, s47
	v_add_co_u32_e32 v2, vcc, s46, v2
	v_addc_co_u32_e32 v3, vcc, v1, v3, vcc
	global_load_dwordx4 v[26:29], v[2:3], off
	s_waitcnt vmcnt(0)
	ds_write2_b64 v21, v[26:27], v[28:29] offset1:1
.LBB79_29:                              ;   in Loop: Header=BB79_24 Depth=2
	s_or_b64 exec, exec, s[28:29]
	v_mov_b32_e32 v1, 0
	s_waitcnt lgkmcnt(0)
	s_barrier
	s_and_saveexec_b64 s[70:71], s[26:27]
	s_cbranch_execz .LBB79_55
; %bb.30:                               ;   in Loop: Header=BB79_24 Depth=2
	v_ashrrev_i32_e32 v25, 31, v24
	v_lshlrev_b64 v[26:27], 2, v[24:25]
	v_mov_b32_e32 v1, s45
	v_add_co_u32_e32 v2, vcc, s44, v26
	v_addc_co_u32_e32 v3, vcc, v1, v27, vcc
	global_load_dword v1, v[2:3], off
	s_and_b64 vcc, exec, s[66:67]
	s_waitcnt vmcnt(0)
	v_subrev_u32_e32 v2, s52, v1
	v_ashrrev_i32_e32 v3, 31, v2
	s_cbranch_vccz .LBB79_57
; %bb.31:                               ;   in Loop: Header=BB79_24 Depth=2
	v_mov_b32_e32 v1, s35
	v_add_co_u32_e32 v26, vcc, s34, v26
	v_addc_co_u32_e32 v27, vcc, v1, v27, vcc
	global_load_dword v1, v[26:27], off
	s_cbranch_execnz .LBB79_33
.LBB79_32:                              ;   in Loop: Header=BB79_24 Depth=2
	v_lshlrev_b64 v[26:27], 2, v[2:3]
	s_waitcnt vmcnt(0)
	v_mov_b32_e32 v1, s49
	v_add_co_u32_e32 v26, vcc, s48, v26
	v_addc_co_u32_e32 v27, vcc, v1, v27, vcc
	global_load_dword v1, v[26:27], off
	s_waitcnt vmcnt(0)
	v_subrev_u32_e32 v1, s53, v1
.LBB79_33:                              ;   in Loop: Header=BB79_24 Depth=2
	v_lshlrev_b64 v[2:3], 2, v[2:3]
	v_mov_b32_e32 v25, s59
	v_add_co_u32_e32 v2, vcc, s56, v2
	v_addc_co_u32_e32 v3, vcc, v25, v3, vcc
	global_load_dword v2, v[2:3], off
	s_waitcnt vmcnt(0)
	v_subrev_u32_e32 v25, s53, v2
	v_cmp_lt_i32_e32 vcc, v1, v25
	s_and_saveexec_b64 s[72:73], vcc
	s_cbranch_execz .LBB79_54
; %bb.34:                               ;   in Loop: Header=BB79_24 Depth=2
	v_mad_u64_u32 v[2:3], s[28:29], s58, v1, v[16:17]
	v_mul_lo_u32 v51, s58, v2
	v_mad_u64_u32 v[2:3], s[28:29], s85, v1, v[16:17]
	s_mov_b64 s[74:75], 0
	v_mov_b32_e32 v26, v1
	s_branch .LBB79_38
.LBB79_35:                              ;   in Loop: Header=BB79_38 Depth=3
	v_lshlrev_b32_e32 v3, 6, v3
	v_or3_b32 v3, v3, v23, v16
	v_mul_f64 v[32:33], v[30:31], -v[12:13]
	v_lshlrev_b32_e32 v3, 4, v3
	v_fmac_f64_e32 v[32:33], v[8:9], v[28:29]
	v_mul_f64 v[30:31], v[8:9], v[30:31]
	v_fmac_f64_e32 v[30:31], v[12:13], v[28:29]
	ds_add_f64 v3, v[32:33]
	ds_add_f64 v3, v[30:31] offset:8
.LBB79_36:                              ;   in Loop: Header=BB79_38 Depth=3
	s_or_b64 exec, exec, s[80:81]
	s_or_b64 s[76:77], s[76:77], exec
.LBB79_37:                              ;   in Loop: Header=BB79_38 Depth=3
	s_or_b64 exec, exec, s[78:79]
	v_add_u32_e32 v26, 1, v26
	v_cmp_ge_i32_e32 vcc, v26, v25
	s_xor_b64 s[28:29], s[76:77], -1
	s_or_b64 s[28:29], s[28:29], vcc
	s_and_b64 s[28:29], exec, s[28:29]
	v_add_u32_e32 v51, s85, v51
	s_or_b64 s[74:75], s[28:29], s[74:75]
	v_add_u32_e32 v2, s85, v2
	s_andn2_b64 exec, exec, s[74:75]
	s_cbranch_execz .LBB79_53
.LBB79_38:                              ;   Parent Loop BB79_15 Depth=1
                                        ;     Parent Loop BB79_24 Depth=2
                                        ; =>    This Loop Header: Depth=3
                                        ;         Child Loop BB79_47 Depth 4
                                        ;         Child Loop BB79_52 Depth 4
	v_ashrrev_i32_e32 v27, 31, v26
	v_lshlrev_b64 v[28:29], 2, v[26:27]
	v_mov_b32_e32 v3, s51
	v_add_co_u32_e32 v28, vcc, s50, v28
	v_addc_co_u32_e32 v29, vcc, v3, v29, vcc
	global_load_dword v3, v[28:29], off
                                        ; implicit-def: $sgpr76_sgpr77
	s_waitcnt vmcnt(0)
	v_subrev_u32_e32 v3, s53, v3
	v_cmp_gt_i32_e64 s[28:29], s64, v3
	v_cmp_ge_i32_e32 vcc, v3, v49
	s_or_b64 s[28:29], s[28:29], vcc
	s_and_saveexec_b64 s[78:79], s[28:29]
	s_xor_b64 s[28:29], exec, s[78:79]
	s_cbranch_execz .LBB79_42
; %bb.39:                               ;   in Loop: Header=BB79_38 Depth=3
	s_mov_b64 s[76:77], -1
	s_and_saveexec_b64 s[78:79], vcc
; %bb.40:                               ;   in Loop: Header=BB79_38 Depth=3
	v_min_i32_e32 v50, v3, v50
	s_xor_b64 s[76:77], exec, -1
	v_mov_b32_e32 v1, v26
; %bb.41:                               ;   in Loop: Header=BB79_38 Depth=3
	s_or_b64 exec, exec, s[78:79]
	s_and_b64 s[76:77], s[76:77], exec
                                        ; implicit-def: $vgpr3
.LBB79_42:                              ;   in Loop: Header=BB79_38 Depth=3
	s_andn2_saveexec_b64 s[78:79], s[28:29]
	s_cbranch_execz .LBB79_37
; %bb.43:                               ;   in Loop: Header=BB79_38 Depth=3
	v_subrev_u32_e32 v3, s64, v3
	v_lshlrev_b32_e32 v27, 2, v3
	ds_write_b32 v27, v46 offset:36864
	s_and_saveexec_b64 s[80:81], s[4:5]
	s_cbranch_execz .LBB79_36
; %bb.44:                               ;   in Loop: Header=BB79_38 Depth=3
	s_andn2_b64 vcc, exec, s[42:43]
	v_cmp_ne_u32_e64 s[28:29], 1, v47
	s_cbranch_vccnz .LBB79_49
; %bb.45:                               ;   in Loop: Header=BB79_38 Depth=3
	v_pk_mov_b32 v[28:29], 0, 0
	s_mov_b64 s[82:83], 0
	s_and_b64 vcc, exec, s[28:29]
	v_pk_mov_b32 v[30:31], v[28:29], v[28:29] op_sel:[0,1]
	s_cbranch_vccnz .LBB79_48
; %bb.46:                               ;   in Loop: Header=BB79_38 Depth=3
	v_pk_mov_b32 v[28:29], 0, 0
	v_mov_b32_e32 v32, v51
	s_mov_b32 s69, s58
	v_mov_b32_e32 v27, v42
	v_pk_mov_b32 v[30:31], v[28:29], v[28:29] op_sel:[0,1]
.LBB79_47:                              ;   Parent Loop BB79_15 Depth=1
                                        ;     Parent Loop BB79_24 Depth=2
                                        ;       Parent Loop BB79_38 Depth=3
                                        ; =>      This Inner Loop Header: Depth=4
	v_ashrrev_i32_e32 v33, 31, v32
	v_lshlrev_b64 v[52:53], 4, v[32:33]
	v_add_co_u32_e32 v52, vcc, s68, v52
	v_addc_co_u32_e32 v53, vcc, v48, v53, vcc
	global_load_dwordx4 v[52:55], v[52:53], off
	ds_read_b128 v[56:59], v27
	s_add_i32 s69, s69, -1
	v_add_u32_e32 v27, 0x80, v27
	v_add_u32_e32 v32, 1, v32
	s_cmp_lg_u32 s69, 0
	s_waitcnt vmcnt(0) lgkmcnt(0)
	v_fmac_f64_e32 v[28:29], v[56:57], v[52:53]
	v_fmac_f64_e32 v[30:31], v[58:59], v[52:53]
	v_fma_f64 v[28:29], -v[58:59], v[54:55], v[28:29]
	v_fmac_f64_e32 v[30:31], v[56:57], v[54:55]
	s_cbranch_scc1 .LBB79_47
.LBB79_48:                              ;   in Loop: Header=BB79_38 Depth=3
	s_andn2_b64 vcc, exec, s[82:83]
	s_cbranch_vccnz .LBB79_35
	s_branch .LBB79_50
.LBB79_49:                              ;   in Loop: Header=BB79_38 Depth=3
                                        ; implicit-def: $vgpr28_vgpr29
                                        ; implicit-def: $vgpr30_vgpr31
.LBB79_50:                              ;   in Loop: Header=BB79_38 Depth=3
	v_pk_mov_b32 v[28:29], 0, 0
	s_and_b64 vcc, exec, s[28:29]
	v_pk_mov_b32 v[30:31], v[28:29], v[28:29] op_sel:[0,1]
	s_cbranch_vccnz .LBB79_35
; %bb.51:                               ;   in Loop: Header=BB79_38 Depth=3
	v_pk_mov_b32 v[28:29], 0, 0
	v_mov_b32_e32 v27, v43
	v_mov_b32_e32 v32, v2
	s_mov_b32 s28, s58
	v_pk_mov_b32 v[30:31], v[28:29], v[28:29] op_sel:[0,1]
.LBB79_52:                              ;   Parent Loop BB79_15 Depth=1
                                        ;     Parent Loop BB79_24 Depth=2
                                        ;       Parent Loop BB79_38 Depth=3
                                        ; =>      This Inner Loop Header: Depth=4
	v_ashrrev_i32_e32 v33, 31, v32
	v_lshlrev_b64 v[52:53], 4, v[32:33]
	v_add_co_u32_e32 v52, vcc, s68, v52
	v_addc_co_u32_e32 v53, vcc, v48, v53, vcc
	global_load_dwordx4 v[52:55], v[52:53], off
	ds_read_b128 v[56:59], v27
	s_add_i32 s28, s28, -1
	v_add_u32_e32 v27, 16, v27
	v_add_u32_e32 v32, s58, v32
	s_cmp_eq_u32 s28, 0
	s_waitcnt vmcnt(0) lgkmcnt(0)
	v_fmac_f64_e32 v[28:29], v[56:57], v[52:53]
	v_fmac_f64_e32 v[30:31], v[58:59], v[52:53]
	v_fma_f64 v[28:29], -v[58:59], v[54:55], v[28:29]
	v_fmac_f64_e32 v[30:31], v[56:57], v[54:55]
	s_cbranch_scc0 .LBB79_52
	s_branch .LBB79_35
.LBB79_53:                              ;   in Loop: Header=BB79_24 Depth=2
	s_or_b64 exec, exec, s[74:75]
.LBB79_54:                              ;   in Loop: Header=BB79_24 Depth=2
	s_or_b64 exec, exec, s[72:73]
.LBB79_55:                              ;   in Loop: Header=BB79_24 Depth=2
	s_or_b64 exec, exec, s[70:71]
	s_waitcnt lgkmcnt(0)
	s_barrier
	s_and_saveexec_b64 s[28:29], s[26:27]
	s_cbranch_execz .LBB79_23
; %bb.56:                               ;   in Loop: Header=BB79_24 Depth=2
	v_ashrrev_i32_e32 v25, 31, v24
	v_lshlrev_b64 v[2:3], 2, v[24:25]
	v_mov_b32_e32 v24, s35
	v_add_co_u32_e32 v2, vcc, s34, v2
	v_addc_co_u32_e32 v3, vcc, v24, v3, vcc
	global_store_dword v[2:3], v1, off
	s_branch .LBB79_23
.LBB79_57:                              ;   in Loop: Header=BB79_24 Depth=2
                                        ; implicit-def: $vgpr1
	s_branch .LBB79_32
.LBB79_58:                              ;   in Loop: Header=BB79_15 Depth=1
	s_andn2_b64 vcc, exec, s[30:31]
	s_cbranch_vccnz .LBB79_70
; %bb.59:                               ;   in Loop: Header=BB79_15 Depth=1
	s_load_dwordx2 s[26:27], s[36:37], 0x0
	s_waitcnt lgkmcnt(0)
	s_sub_i32 s65, s27, s55
	v_add_u32_e32 v2, s26, v34
	v_cmp_gt_i32_e32 vcc, s65, v2
	s_and_saveexec_b64 s[66:67], vcc
	s_cbranch_execz .LBB79_69
; %bb.60:                               ;   in Loop: Header=BB79_15 Depth=1
	v_mad_u64_u32 v[24:25], s[26:27], s58, v2, v[20:21]
	v_mad_u64_u32 v[24:25], s[26:27], s58, v24, v[22:23]
	s_mov_b64 s[70:71], 0
	s_branch .LBB79_63
.LBB79_61:                              ;   in Loop: Header=BB79_63 Depth=2
	s_or_b64 exec, exec, s[72:73]
	s_or_b64 s[26:27], s[26:27], exec
.LBB79_62:                              ;   in Loop: Header=BB79_63 Depth=2
	s_or_b64 exec, exec, s[28:29]
	v_add_u32_e32 v2, 4, v2
	v_cmp_le_i32_e32 vcc, s65, v2
	s_xor_b64 s[26:27], s[26:27], -1
	s_or_b64 s[26:27], vcc, s[26:27]
	s_and_b64 s[26:27], exec, s[26:27]
	s_or_b64 s[70:71], s[26:27], s[70:71]
	v_add_u32_e32 v24, s86, v24
	s_andn2_b64 exec, exec, s[70:71]
	s_cbranch_execz .LBB79_68
.LBB79_63:                              ;   Parent Loop BB79_15 Depth=1
                                        ; =>  This Inner Loop Header: Depth=2
	v_ashrrev_i32_e32 v3, 31, v2
	v_lshlrev_b64 v[26:27], 2, v[2:3]
	v_mov_b32_e32 v1, s39
	v_add_co_u32_e32 v26, vcc, s38, v26
	v_addc_co_u32_e32 v27, vcc, v1, v27, vcc
	global_load_dword v1, v[26:27], off
	s_waitcnt vmcnt(0)
	v_subrev_u32_e32 v1, s55, v1
	v_cmp_gt_i32_e64 s[26:27], s64, v1
	v_cmp_ge_i32_e64 s[28:29], v1, v49
	v_cmp_lt_i32_e32 vcc, v1, v49
	s_or_b64 s[28:29], s[26:27], s[28:29]
                                        ; implicit-def: $sgpr26_sgpr27
	s_and_saveexec_b64 s[72:73], s[28:29]
	s_xor_b64 s[28:29], exec, s[72:73]
; %bb.64:                               ;   in Loop: Header=BB79_63 Depth=2
	v_min_i32_e32 v1, v1, v50
	v_cndmask_b32_e32 v50, v1, v50, vcc
	s_and_b64 s[26:27], vcc, exec
                                        ; implicit-def: $vgpr1
; %bb.65:                               ;   in Loop: Header=BB79_63 Depth=2
	s_andn2_saveexec_b64 s[28:29], s[28:29]
	s_cbranch_execz .LBB79_62
; %bb.66:                               ;   in Loop: Header=BB79_63 Depth=2
	v_subrev_u32_e32 v1, s64, v1
	v_lshlrev_b32_e32 v3, 2, v1
	ds_write_b32 v3, v46 offset:36864
	s_and_saveexec_b64 s[72:73], s[4:5]
	s_cbranch_execz .LBB79_61
; %bb.67:                               ;   in Loop: Header=BB79_63 Depth=2
	v_ashrrev_i32_e32 v25, 31, v24
	v_lshlrev_b64 v[26:27], 4, v[24:25]
	v_mov_b32_e32 v3, s41
	v_add_co_u32_e32 v26, vcc, s40, v26
	v_addc_co_u32_e32 v27, vcc, v3, v27, vcc
	global_load_dwordx4 v[26:29], v[26:27], off
	v_lshlrev_b32_e32 v1, 6, v1
	v_or3_b32 v1, v1, v23, v16
	v_lshlrev_b32_e32 v1, 4, v1
	s_waitcnt vmcnt(0)
	v_mul_f64 v[30:31], v[28:29], -v[10:11]
	v_mul_f64 v[28:29], v[14:15], v[28:29]
	v_fmac_f64_e32 v[30:31], v[14:15], v[26:27]
	v_fmac_f64_e32 v[28:29], v[10:11], v[26:27]
	ds_add_f64 v1, v[30:31]
	ds_add_f64 v1, v[28:29] offset:8
	s_branch .LBB79_61
.LBB79_68:                              ;   in Loop: Header=BB79_15 Depth=1
	s_or_b64 exec, exec, s[70:71]
.LBB79_69:                              ;   in Loop: Header=BB79_15 Depth=1
	s_or_b64 exec, exec, s[66:67]
.LBB79_70:                              ;   in Loop: Header=BB79_15 Depth=1
	s_and_saveexec_b64 s[26:27], s[8:9]
	s_cbranch_execz .LBB79_75
; %bb.71:                               ;   in Loop: Header=BB79_15 Depth=1
	s_mov_b64 s[28:29], exec
	s_brev_b32 s65, -2
.LBB79_72:                              ;   Parent Loop BB79_15 Depth=1
                                        ; =>  This Inner Loop Header: Depth=2
	s_ff1_i32_b64 s66, s[28:29]
	v_readlane_b32 s69, v50, s66
	s_lshl_b64 s[66:67], 1, s66
	s_min_i32 s65, s65, s69
	s_andn2_b64 s[28:29], s[28:29], s[66:67]
	s_cmp_lg_u64 s[28:29], 0
	s_cbranch_scc1 .LBB79_72
; %bb.73:                               ;   in Loop: Header=BB79_15 Depth=1
	v_mbcnt_lo_u32_b32 v1, exec_lo, 0
	v_mbcnt_hi_u32_b32 v1, exec_hi, v1
	v_cmp_eq_u32_e32 vcc, 0, v1
	s_and_saveexec_b64 s[28:29], vcc
	s_xor_b64 s[28:29], exec, s[28:29]
	s_cbranch_execz .LBB79_75
; %bb.74:                               ;   in Loop: Header=BB79_15 Depth=1
	v_mov_b32_e32 v1, s65
	ds_min_i32 v0, v1 offset:36992
.LBB79_75:                              ;   in Loop: Header=BB79_15 Depth=1
	s_or_b64 exec, exec, s[26:27]
	s_waitcnt lgkmcnt(0)
	s_barrier
	ds_read_b32 v1, v35
	s_waitcnt lgkmcnt(0)
	s_barrier
	s_and_saveexec_b64 s[26:27], s[12:13]
	s_cbranch_execz .LBB79_77
; %bb.76:                               ;   in Loop: Header=BB79_15 Depth=1
	ds_read_b32 v2, v36
	s_waitcnt lgkmcnt(0)
	v_add_u32_e32 v1, v2, v1
.LBB79_77:                              ;   in Loop: Header=BB79_15 Depth=1
	s_or_b64 exec, exec, s[26:27]
	s_barrier
	ds_write_b32 v35, v1
	s_waitcnt lgkmcnt(0)
	s_barrier
	s_and_saveexec_b64 s[26:27], s[14:15]
	s_cbranch_execz .LBB79_79
; %bb.78:                               ;   in Loop: Header=BB79_15 Depth=1
	ds_read_b32 v2, v38
	s_waitcnt lgkmcnt(0)
	v_add_u32_e32 v1, v2, v1
.LBB79_79:                              ;   in Loop: Header=BB79_15 Depth=1
	s_or_b64 exec, exec, s[26:27]
	s_barrier
	ds_write_b32 v35, v1
	;; [unrolled: 12-line block ×5, first 2 shown]
	s_waitcnt lgkmcnt(0)
	s_barrier
	ds_read_b32 v24, v0 offset:36988
	v_mov_b32_e32 v2, 0
	s_and_saveexec_b64 s[26:27], s[10:11]
	s_cbranch_execz .LBB79_87
; %bb.86:                               ;   in Loop: Header=BB79_15 Depth=1
	ds_read_b32 v2, v36
.LBB79_87:                              ;   in Loop: Header=BB79_15 Depth=1
	s_or_b64 exec, exec, s[26:27]
	s_waitcnt lgkmcnt(0)
	v_cmp_eq_u32_e32 vcc, v1, v2
	s_and_b64 s[28:29], s[10:11], vcc
	s_barrier
	s_and_saveexec_b64 s[26:27], s[28:29]
	s_cbranch_execz .LBB79_89
; %bb.88:                               ;   in Loop: Header=BB79_15 Depth=1
	ds_write_b32 v35, v0
.LBB79_89:                              ;   in Loop: Header=BB79_15 Depth=1
	s_or_b64 exec, exec, s[26:27]
	v_add_u32_e32 v1, -1, v45
	s_add_i32 s64, s54, s64
	s_mov_b64 s[26:27], 0
	v_mov_b32_e32 v25, v44
	v_mov_b32_e32 v26, v19
	;; [unrolled: 1-line block ×3, first 2 shown]
	s_waitcnt lgkmcnt(0)
	s_barrier
	s_branch .LBB79_91
.LBB79_90:                              ;   in Loop: Header=BB79_91 Depth=2
	s_or_b64 exec, exec, s[28:29]
	v_add_u32_e32 v2, 4, v27
	v_cmp_lt_u32_e32 vcc, 27, v27
	v_add_u32_e32 v26, 0x1000, v26
	v_add_u32_e32 v25, 16, v25
	s_or_b64 s[26:27], vcc, s[26:27]
	v_mov_b32_e32 v27, v2
	s_andn2_b64 exec, exec, s[26:27]
	s_cbranch_execz .LBB79_14
.LBB79_91:                              ;   Parent Loop BB79_15 Depth=1
                                        ; =>  This Inner Loop Header: Depth=2
	ds_read_b32 v2, v25
	s_waitcnt lgkmcnt(0)
	v_cmp_ne_u32_e32 vcc, 0, v2
	s_and_saveexec_b64 s[28:29], vcc
	s_cbranch_execz .LBB79_90
; %bb.92:                               ;   in Loop: Header=BB79_91 Depth=2
	v_add_u32_e32 v2, v1, v2
	v_ashrrev_i32_e32 v3, 31, v2
	v_lshlrev_b64 v[28:29], 2, v[2:3]
	v_mov_b32_e32 v3, s61
	v_add_co_u32_e32 v28, vcc, s60, v28
	v_add_u32_e32 v30, s64, v27
	v_addc_co_u32_e32 v29, vcc, v3, v29, vcc
	global_store_dword v[28:29], v30, off
	s_and_b64 exec, exec, s[4:5]
	s_cbranch_execz .LBB79_90
; %bb.93:                               ;   in Loop: Header=BB79_91 Depth=2
	v_mad_u64_u32 v[2:3], s[66:67], v2, s58, v[20:21]
	v_mad_u64_u32 v[2:3], s[66:67], v2, s58, v[22:23]
	ds_read2_b64 v[28:31], v26 offset1:1
	v_ashrrev_i32_e32 v3, 31, v2
	v_lshlrev_b64 v[2:3], 4, v[2:3]
	v_mov_b32_e32 v32, s63
	v_add_co_u32_e32 v2, vcc, s62, v2
	v_addc_co_u32_e32 v3, vcc, v32, v3, vcc
	s_waitcnt lgkmcnt(0)
	global_store_dwordx4 v[2:3], v[28:31], off
	s_branch .LBB79_90
.LBB79_94:
	s_endpgm
	.section	.rodata,"a",@progbits
	.p2align	6, 0x0
	.amdhsa_kernel _ZN9rocsparseL38bsrgemm_block_per_row_atomic_multipassILj256ELj32ELj8Eii21rocsparse_complex_numIdEEEv20rocsparse_direction_T3_S4_PKS4_S6_NS_24const_host_device_scalarIT4_EEPKT2_S6_PKS8_SC_S6_SE_S9_SC_S6_SE_SC_PS4_PS8_PSA_21rocsparse_index_base_SI_SI_SI_bbb
		.amdhsa_group_segment_fixed_size 41096
		.amdhsa_private_segment_fixed_size 0
		.amdhsa_kernarg_size 188
		.amdhsa_user_sgpr_count 8
		.amdhsa_user_sgpr_private_segment_buffer 1
		.amdhsa_user_sgpr_dispatch_ptr 1
		.amdhsa_user_sgpr_queue_ptr 0
		.amdhsa_user_sgpr_kernarg_segment_ptr 1
		.amdhsa_user_sgpr_dispatch_id 0
		.amdhsa_user_sgpr_flat_scratch_init 0
		.amdhsa_user_sgpr_kernarg_preload_length 0
		.amdhsa_user_sgpr_kernarg_preload_offset 0
		.amdhsa_user_sgpr_private_segment_size 0
		.amdhsa_uses_dynamic_stack 0
		.amdhsa_system_sgpr_private_segment_wavefront_offset 0
		.amdhsa_system_sgpr_workgroup_id_x 1
		.amdhsa_system_sgpr_workgroup_id_y 0
		.amdhsa_system_sgpr_workgroup_id_z 0
		.amdhsa_system_sgpr_workgroup_info 0
		.amdhsa_system_vgpr_workitem_id 2
		.amdhsa_next_free_vgpr 60
		.amdhsa_next_free_sgpr 87
		.amdhsa_accum_offset 60
		.amdhsa_reserve_vcc 1
		.amdhsa_reserve_flat_scratch 0
		.amdhsa_float_round_mode_32 0
		.amdhsa_float_round_mode_16_64 0
		.amdhsa_float_denorm_mode_32 3
		.amdhsa_float_denorm_mode_16_64 3
		.amdhsa_dx10_clamp 1
		.amdhsa_ieee_mode 1
		.amdhsa_fp16_overflow 0
		.amdhsa_tg_split 0
		.amdhsa_exception_fp_ieee_invalid_op 0
		.amdhsa_exception_fp_denorm_src 0
		.amdhsa_exception_fp_ieee_div_zero 0
		.amdhsa_exception_fp_ieee_overflow 0
		.amdhsa_exception_fp_ieee_underflow 0
		.amdhsa_exception_fp_ieee_inexact 0
		.amdhsa_exception_int_div_zero 0
	.end_amdhsa_kernel
	.section	.text._ZN9rocsparseL38bsrgemm_block_per_row_atomic_multipassILj256ELj32ELj8Eii21rocsparse_complex_numIdEEEv20rocsparse_direction_T3_S4_PKS4_S6_NS_24const_host_device_scalarIT4_EEPKT2_S6_PKS8_SC_S6_SE_S9_SC_S6_SE_SC_PS4_PS8_PSA_21rocsparse_index_base_SI_SI_SI_bbb,"axG",@progbits,_ZN9rocsparseL38bsrgemm_block_per_row_atomic_multipassILj256ELj32ELj8Eii21rocsparse_complex_numIdEEEv20rocsparse_direction_T3_S4_PKS4_S6_NS_24const_host_device_scalarIT4_EEPKT2_S6_PKS8_SC_S6_SE_S9_SC_S6_SE_SC_PS4_PS8_PSA_21rocsparse_index_base_SI_SI_SI_bbb,comdat
.Lfunc_end79:
	.size	_ZN9rocsparseL38bsrgemm_block_per_row_atomic_multipassILj256ELj32ELj8Eii21rocsparse_complex_numIdEEEv20rocsparse_direction_T3_S4_PKS4_S6_NS_24const_host_device_scalarIT4_EEPKT2_S6_PKS8_SC_S6_SE_S9_SC_S6_SE_SC_PS4_PS8_PSA_21rocsparse_index_base_SI_SI_SI_bbb, .Lfunc_end79-_ZN9rocsparseL38bsrgemm_block_per_row_atomic_multipassILj256ELj32ELj8Eii21rocsparse_complex_numIdEEEv20rocsparse_direction_T3_S4_PKS4_S6_NS_24const_host_device_scalarIT4_EEPKT2_S6_PKS8_SC_S6_SE_S9_SC_S6_SE_SC_PS4_PS8_PSA_21rocsparse_index_base_SI_SI_SI_bbb
                                        ; -- End function
	.section	.AMDGPU.csdata,"",@progbits
; Kernel info:
; codeLenInByte = 3280
; NumSgprs: 91
; NumVgprs: 60
; NumAgprs: 0
; TotalNumVgprs: 60
; ScratchSize: 0
; MemoryBound: 0
; FloatMode: 240
; IeeeMode: 1
; LDSByteSize: 41096 bytes/workgroup (compile time only)
; SGPRBlocks: 11
; VGPRBlocks: 7
; NumSGPRsForWavesPerEU: 91
; NumVGPRsForWavesPerEU: 60
; AccumOffset: 60
; Occupancy: 1
; WaveLimiterHint : 1
; COMPUTE_PGM_RSRC2:SCRATCH_EN: 0
; COMPUTE_PGM_RSRC2:USER_SGPR: 8
; COMPUTE_PGM_RSRC2:TRAP_HANDLER: 0
; COMPUTE_PGM_RSRC2:TGID_X_EN: 1
; COMPUTE_PGM_RSRC2:TGID_Y_EN: 0
; COMPUTE_PGM_RSRC2:TGID_Z_EN: 0
; COMPUTE_PGM_RSRC2:TIDIG_COMP_CNT: 2
; COMPUTE_PGM_RSRC3_GFX90A:ACCUM_OFFSET: 14
; COMPUTE_PGM_RSRC3_GFX90A:TG_SPLIT: 0
	.section	.text._ZN9rocsparseL31bsrgemm_block_per_row_multipassILj256ELj8ELj16Eii21rocsparse_complex_numIdEEEv20rocsparse_direction_T3_S4_PKS4_S6_NS_24const_host_device_scalarIT4_EEPKT2_S6_PKS8_SC_S6_SE_S9_SC_S6_SE_SC_PS4_PS8_PSA_21rocsparse_index_base_SI_SI_SI_bbb,"axG",@progbits,_ZN9rocsparseL31bsrgemm_block_per_row_multipassILj256ELj8ELj16Eii21rocsparse_complex_numIdEEEv20rocsparse_direction_T3_S4_PKS4_S6_NS_24const_host_device_scalarIT4_EEPKT2_S6_PKS8_SC_S6_SE_S9_SC_S6_SE_SC_PS4_PS8_PSA_21rocsparse_index_base_SI_SI_SI_bbb,comdat
	.globl	_ZN9rocsparseL31bsrgemm_block_per_row_multipassILj256ELj8ELj16Eii21rocsparse_complex_numIdEEEv20rocsparse_direction_T3_S4_PKS4_S6_NS_24const_host_device_scalarIT4_EEPKT2_S6_PKS8_SC_S6_SE_S9_SC_S6_SE_SC_PS4_PS8_PSA_21rocsparse_index_base_SI_SI_SI_bbb ; -- Begin function _ZN9rocsparseL31bsrgemm_block_per_row_multipassILj256ELj8ELj16Eii21rocsparse_complex_numIdEEEv20rocsparse_direction_T3_S4_PKS4_S6_NS_24const_host_device_scalarIT4_EEPKT2_S6_PKS8_SC_S6_SE_S9_SC_S6_SE_SC_PS4_PS8_PSA_21rocsparse_index_base_SI_SI_SI_bbb
	.p2align	8
	.type	_ZN9rocsparseL31bsrgemm_block_per_row_multipassILj256ELj8ELj16Eii21rocsparse_complex_numIdEEEv20rocsparse_direction_T3_S4_PKS4_S6_NS_24const_host_device_scalarIT4_EEPKT2_S6_PKS8_SC_S6_SE_S9_SC_S6_SE_SC_PS4_PS8_PSA_21rocsparse_index_base_SI_SI_SI_bbb,@function
_ZN9rocsparseL31bsrgemm_block_per_row_multipassILj256ELj8ELj16Eii21rocsparse_complex_numIdEEEv20rocsparse_direction_T3_S4_PKS4_S6_NS_24const_host_device_scalarIT4_EEPKT2_S6_PKS8_SC_S6_SE_S9_SC_S6_SE_SC_PS4_PS8_PSA_21rocsparse_index_base_SI_SI_SI_bbb: ; @_ZN9rocsparseL31bsrgemm_block_per_row_multipassILj256ELj8ELj16Eii21rocsparse_complex_numIdEEEv20rocsparse_direction_T3_S4_PKS4_S6_NS_24const_host_device_scalarIT4_EEPKT2_S6_PKS8_SC_S6_SE_S9_SC_S6_SE_SC_PS4_PS8_PSA_21rocsparse_index_base_SI_SI_SI_bbb
; %bb.0:
	s_load_dword s9, s[6:7], 0xb8
	s_load_dwordx4 s[28:31], s[6:7], 0xa8
	s_load_dwordx2 s[10:11], s[4:5], 0x4
	s_load_dwordx4 s[16:19], s[6:7], 0x20
	s_load_dwordx4 s[12:15], s[6:7], 0x60
	v_and_b32_e32 v13, 0x3ff, v0
	s_waitcnt lgkmcnt(0)
	s_bitcmp1_b32 s9, 0
	s_cselect_b64 s[4:5], -1, 0
	s_bitcmp1_b32 s9, 16
	s_cselect_b64 s[0:1], -1, 0
	s_lshr_b32 s10, s10, 16
	s_mul_i32 s10, s10, s11
	v_mul_lo_u32 v1, s10, v13
	v_bfe_u32 v2, v0, 10, 10
	v_mad_u32_u24 v1, v2, s11, v1
	v_bfe_u32 v0, v0, 20, 10
	v_add_lshl_u32 v0, v1, v0, 3
	s_xor_b64 s[2:3], s[0:1], -1
	v_pk_mov_b32 v[2:3], s[16:17], s[16:17] op_sel:[0,1]
	v_pk_mov_b32 v[4:5], s[12:13], s[12:13] op_sel:[0,1]
	v_add_u32_e32 v1, 8, v0
	v_pk_mov_b32 v[6:7], 0, 0
	ds_write2st64_b64 v1, v[4:5], v[2:3] offset0:64 offset1:68
	s_bitcmp0_b32 s9, 0
	v_pk_mov_b32 v[4:5], v[6:7], v[6:7] op_sel:[0,1]
	v_pk_mov_b32 v[8:9], v[6:7], v[6:7] op_sel:[0,1]
	s_cbranch_scc1 .LBB80_3
; %bb.1:
	s_mov_b64 s[10:11], src_shared_base
	s_and_b64 s[20:21], s[0:1], exec
	v_add_u32_e32 v1, 0x8808, v0
	s_cselect_b32 s10, s11, s17
	v_mov_b32_e32 v2, s16
	v_cndmask_b32_e64 v2, v2, v1, s[0:1]
	v_mov_b32_e32 v3, s10
	flat_load_dwordx2 v[4:5], v[2:3]
	s_andn2_b64 vcc, exec, s[2:3]
	v_pk_mov_b32 v[8:9], s[18:19], s[18:19] op_sel:[0,1]
	s_cbranch_vccnz .LBB80_3
; %bb.2:
	v_pk_mov_b32 v[2:3], s[16:17], s[16:17] op_sel:[0,1]
	flat_load_dwordx2 v[8:9], v[2:3] offset:8
.LBB80_3:
	s_load_dwordx2 s[10:11], s[6:7], 0x18
	s_bitcmp1_b32 s9, 8
	s_cselect_b64 s[34:35], -1, 0
	s_bfe_u32 s9, s9, 0x10008
	s_cmp_eq_u32 s9, 0
	v_pk_mov_b32 v[10:11], v[6:7], v[6:7] op_sel:[0,1]
	s_cbranch_scc1 .LBB80_6
; %bb.4:
	s_mov_b64 s[16:17], src_shared_base
	s_and_b64 s[18:19], s[0:1], exec
	v_add_u32_e32 v0, 0x8008, v0
	s_cselect_b32 s9, s17, s13
	v_mov_b32_e32 v1, s12
	v_cndmask_b32_e64 v0, v1, v0, s[0:1]
	v_mov_b32_e32 v1, s9
	flat_load_dwordx2 v[10:11], v[0:1]
	s_andn2_b64 vcc, exec, s[2:3]
	v_pk_mov_b32 v[6:7], s[14:15], s[14:15] op_sel:[0,1]
	s_cbranch_vccnz .LBB80_6
; %bb.5:
	v_pk_mov_b32 v[0:1], s[12:13], s[12:13] op_sel:[0,1]
	flat_load_dwordx2 v[6:7], v[0:1] offset:8
.LBB80_6:
	s_load_dwordx2 s[2:3], s[6:7], 0x30
	s_waitcnt lgkmcnt(0)
	s_cmp_eq_u64 s[10:11], 0
	s_cbranch_scc1 .LBB80_8
; %bb.7:
	s_load_dwordx2 s[0:1], s[6:7], 0x10
	s_waitcnt lgkmcnt(0)
	s_load_dword s0, s[0:1], 0x0
	s_mov_b32 s1, 0
	s_waitcnt lgkmcnt(0)
	s_add_i32 s0, s0, s8
	s_lshl_b64 s[0:1], s[0:1], 2
	s_add_u32 s0, s10, s0
	s_addc_u32 s1, s11, s1
	s_load_dword s8, s[0:1], 0x0
.LBB80_8:
	v_cndmask_b32_e64 v0, 0, 1, s[4:5]
	s_mov_b32 s33, 0
	v_cmp_ne_u32_e64 s[0:1], 1, v0
	s_andn2_b64 vcc, exec, s[4:5]
	s_mov_b32 s62, 0
	s_cbranch_vccz .LBB80_11
; %bb.9:
	s_and_b64 vcc, exec, s[0:1]
	s_cbranch_vccz .LBB80_12
.LBB80_10:
	s_load_dwordx4 s[36:39], s[6:7], 0x0
	s_waitcnt lgkmcnt(0)
	s_cmp_lt_i32 s37, 1
	s_cbranch_scc0 .LBB80_13
	s_branch .LBB80_91
.LBB80_11:
	s_waitcnt lgkmcnt(0)
	s_ashr_i32 s9, s8, 31
	s_lshl_b64 s[10:11], s[8:9], 2
	s_add_u32 s10, s2, s10
	s_addc_u32 s11, s3, s11
	s_load_dword s9, s[10:11], 0x0
	s_waitcnt lgkmcnt(0)
	s_sub_i32 s62, s9, s28
	s_and_b64 vcc, exec, s[0:1]
	s_cbranch_vccnz .LBB80_10
.LBB80_12:
	s_waitcnt lgkmcnt(0)
	s_ashr_i32 s9, s8, 31
	s_lshl_b64 s[0:1], s[8:9], 2
	s_add_u32 s0, s2, s0
	s_addc_u32 s1, s3, s1
	s_load_dword s0, s[0:1], 0x4
	s_waitcnt lgkmcnt(0)
	s_sub_i32 s33, s0, s28
	s_load_dwordx4 s[36:39], s[6:7], 0x0
	s_waitcnt lgkmcnt(0)
	s_cmp_lt_i32 s37, 1
	s_cbranch_scc1 .LBB80_91
.LBB80_13:
	s_load_dwordx8 s[12:19], s[6:7], 0x70
	s_load_dwordx2 s[44:45], s[6:7], 0xa0
	s_load_dwordx4 s[40:43], s[6:7], 0x90
	s_ashr_i32 s9, s8, 31
	s_lshl_b64 s[10:11], s[8:9], 2
	s_waitcnt lgkmcnt(0)
	s_add_u32 s0, s18, s10
	s_addc_u32 s1, s19, s11
	s_load_dword s2, s[0:1], 0x0
	s_load_dwordx2 s[18:19], s[6:7], 0x58
	s_load_dwordx8 s[20:27], s[6:7], 0x38
	v_and_b32_e32 v26, 15, v13
	v_lshrrev_b32_e32 v0, 4, v13
	s_waitcnt lgkmcnt(0)
	s_sub_i32 s46, s2, s30
	s_cmp_lt_i32 s62, s33
	v_cmp_gt_u32_e32 vcc, s38, v26
	v_cmp_gt_i32_e64 s[2:3], s38, v0
	s_cselect_b64 s[6:7], -1, 0
	s_and_b64 s[48:49], vcc, s[2:3]
	s_cmp_eq_u32 s36, 0
	s_cselect_b64 vcc, -1, 0
	s_cmp_lg_u32 s36, 0
	s_cselect_b64 s[50:51], -1, 0
	s_cmp_gt_i32 s38, 0
	s_cselect_b64 s[52:53], -1, 0
	s_mul_i32 s36, s38, s38
	v_and_b32_e32 v27, 0xf0, v13
	s_add_u32 s12, s12, s10
	s_addc_u32 s13, s13, s11
	v_or_b32_e32 v1, v27, v26
	s_and_b64 s[4:5], s[4:5], s[6:7]
	s_mul_i32 s6, s62, s36
	s_mov_b32 s8, 0
	v_lshlrev_b32_e32 v1, 4, v1
	s_add_u32 s39, s24, 4
	v_add_u32_e32 v37, s6, v0
	s_mul_i32 s6, s62, s38
	v_or_b32_e32 v29, 0x1000, v1
	v_or_b32_e32 v30, 0x2000, v1
	;; [unrolled: 1-line block ×6, first 2 shown]
	v_cndmask_b32_e32 v36, v26, v0, vcc
	v_cndmask_b32_e32 v12, v0, v26, vcc
	v_or_b32_e32 v1, 0x400, v13
	s_movk_i32 s2, 0x700
	s_addc_u32 s63, s25, 0
	v_add_u32_e32 v0, s6, v0
	s_mov_b32 s9, s8
	v_lshlrev_b32_e32 v28, 4, v13
	v_cmp_gt_u32_e64 s[2:3], s2, v1
	s_add_u32 s64, s22, 8
	v_mul_lo_u32 v38, s38, v0
	s_mov_b32 s10, s8
	s_mov_b32 s11, s8
	v_pk_mov_b32 v[0:1], s[8:9], s[8:9] op_sel:[0,1]
	v_cndmask_b32_e64 v14, 0, 1, s[4:5]
	s_mov_b32 s47, 8
	v_cmp_gt_u32_e64 s[0:1], 8, v13
	v_or_b32_e32 v32, 0x4000, v28
	s_addc_u32 s65, s23, 0
	s_sub_i32 s66, 1, s31
	v_pk_mov_b32 v[2:3], s[10:11], s[10:11] op_sel:[0,1]
	v_cmp_ne_u32_e64 s[4:5], 1, v14
	v_mov_b32_e32 v15, 0
	v_cndmask_b32_e64 v39, 0, 1, s[52:53]
	v_mov_b32_e32 v40, s19
	v_mov_b32_e32 v41, 1
	s_branch .LBB80_16
.LBB80_14:                              ;   in Loop: Header=BB80_16 Depth=1
	s_or_b64 exec, exec, s[6:7]
	s_add_i32 s10, s10, 1
.LBB80_15:                              ;   in Loop: Header=BB80_16 Depth=1
	s_min_i32 s8, s19, s37
	s_add_i32 s46, s10, s46
	s_add_i32 s47, s8, 8
	s_cmp_lt_i32 s19, s37
	s_barrier
	s_barrier
	s_cbranch_scc0 .LBB80_91
.LBB80_16:                              ; =>This Loop Header: Depth=1
                                        ;     Child Loop BB80_22 Depth 2
                                        ;       Child Loop BB80_27 Depth 3
                                        ;         Child Loop BB80_36 Depth 4
                                        ;         Child Loop BB80_41 Depth 4
                                        ;     Child Loop BB80_55 Depth 2
	s_and_saveexec_b64 s[6:7], s[0:1]
	s_cbranch_execz .LBB80_18
; %bb.17:                               ;   in Loop: Header=BB80_16 Depth=1
	ds_write_b8 v13, v15 offset:32768
.LBB80_18:                              ;   in Loop: Header=BB80_16 Depth=1
	s_or_b64 exec, exec, s[6:7]
	ds_write_b128 v28, v[0:3]
	ds_write_b128 v28, v[0:3] offset:4096
	ds_write_b128 v28, v[0:3] offset:8192
	;; [unrolled: 1-line block ×4, first 2 shown]
	s_and_saveexec_b64 s[6:7], s[2:3]
	s_xor_b64 s[6:7], exec, s[6:7]
	s_cbranch_execz .LBB80_20
; %bb.19:                               ;   in Loop: Header=BB80_16 Depth=1
	ds_write_b128 v28, v[0:3] offset:20480
	ds_write_b128 v28, v[0:3] offset:24576
	;; [unrolled: 1-line block ×3, first 2 shown]
.LBB80_20:                              ;   in Loop: Header=BB80_16 Depth=1
	s_or_b64 exec, exec, s[6:7]
	s_and_b64 vcc, exec, s[4:5]
	s_mov_b32 s19, s37
	s_waitcnt lgkmcnt(0)
	s_barrier
	s_cbranch_vccnz .LBB80_50
; %bb.21:                               ;   in Loop: Header=BB80_16 Depth=1
	s_cmp_lg_u32 s8, 0
	s_cselect_b64 s[10:11], -1, 0
	v_mov_b32_e32 v16, v38
	v_mov_b32_e32 v42, v37
	s_mov_b32 s9, s37
	s_mov_b32 s52, s62
.LBB80_22:                              ;   Parent Loop BB80_16 Depth=1
                                        ; =>  This Loop Header: Depth=2
                                        ;       Child Loop BB80_27 Depth 3
                                        ;         Child Loop BB80_36 Depth 4
                                        ;         Child Loop BB80_41 Depth 4
	s_ashr_i32 s53, s52, 31
	s_lshl_b64 s[54:55], s[52:53], 2
	s_add_u32 s6, s20, s54
	s_addc_u32 s7, s21, s55
	s_load_dword s6, s[6:7], 0x0
	s_and_b64 vcc, exec, s[10:11]
	s_waitcnt lgkmcnt(0)
	s_sub_i32 s6, s6, s28
	s_cbranch_vccz .LBB80_49
; %bb.23:                               ;   in Loop: Header=BB80_22 Depth=2
	s_add_u32 s56, s44, s54
	s_addc_u32 s57, s45, s55
	global_load_dword v14, v15, s[56:57]
	s_ashr_i32 s7, s6, 31
	s_waitcnt vmcnt(0)
	v_readfirstlane_b32 s53, v14
	s_cbranch_execnz .LBB80_25
.LBB80_24:                              ;   in Loop: Header=BB80_22 Depth=2
	s_ashr_i32 s7, s6, 31
	s_lshl_b64 s[56:57], s[6:7], 2
	s_add_u32 s56, s24, s56
	s_addc_u32 s57, s25, s57
	s_load_dword s19, s[56:57], 0x0
	s_waitcnt lgkmcnt(0)
	s_sub_i32 s53, s19, s29
.LBB80_25:                              ;   in Loop: Header=BB80_22 Depth=2
	s_lshl_b64 s[6:7], s[6:7], 2
	s_add_u32 s6, s39, s6
	s_addc_u32 s7, s63, s7
	s_load_dword s6, s[6:7], 0x0
	s_waitcnt lgkmcnt(0)
	s_sub_i32 s67, s6, s29
	s_cmp_ge_i32 s53, s67
	s_cbranch_scc1 .LBB80_46
; %bb.26:                               ;   in Loop: Header=BB80_22 Depth=2
	v_ashrrev_i32_e32 v17, 31, v16
	v_lshlrev_b64 v[18:19], 4, v[16:17]
	v_mov_b32_e32 v14, s65
	v_add_co_u32_e32 v18, vcc, s64, v18
	s_mul_i32 s6, s38, s53
	v_addc_co_u32_e32 v19, vcc, v14, v19, vcc
	v_add_u32_e32 v14, s6, v26
	s_mul_i32 s6, s36, s53
	v_mul_lo_u32 v17, s38, v14
	v_add_u32_e32 v43, s6, v26
	s_mov_b32 s56, s53
.LBB80_27:                              ;   Parent Loop BB80_16 Depth=1
                                        ;     Parent Loop BB80_22 Depth=2
                                        ; =>    This Loop Header: Depth=3
                                        ;         Child Loop BB80_36 Depth 4
                                        ;         Child Loop BB80_41 Depth 4
	s_ashr_i32 s57, s56, 31
	s_lshl_b64 s[6:7], s[56:57], 2
	s_add_u32 s6, s26, s6
	s_addc_u32 s7, s27, s7
	s_load_dword s6, s[6:7], 0x0
	s_mov_b64 s[58:59], -1
                                        ; implicit-def: $sgpr19
                                        ; implicit-def: $sgpr57
	s_waitcnt lgkmcnt(0)
	s_sub_i32 s68, s6, s29
	s_cmp_lt_i32 s68, s8
	s_cselect_b64 s[6:7], -1, 0
	s_cmp_ge_i32 s68, s47
	s_cselect_b64 s[60:61], -1, 0
	s_or_b64 s[6:7], s[6:7], s[60:61]
	s_and_b64 vcc, exec, s[6:7]
                                        ; implicit-def: $sgpr6_sgpr7
	s_cbranch_vccz .LBB80_31
; %bb.28:                               ;   in Loop: Header=BB80_27 Depth=3
	s_mov_b64 s[6:7], -1
	s_andn2_b64 vcc, exec, s[60:61]
	s_mov_b32 s19, s9
	s_mov_b32 s57, s53
	s_cbranch_vccnz .LBB80_30
; %bb.29:                               ;   in Loop: Header=BB80_27 Depth=3
	s_min_i32 s19, s68, s9
	s_mov_b64 s[6:7], 0
	s_mov_b32 s57, s56
.LBB80_30:                              ;   in Loop: Header=BB80_27 Depth=3
	s_mov_b64 s[58:59], 0
.LBB80_31:                              ;   in Loop: Header=BB80_27 Depth=3
	s_andn2_b64 vcc, exec, s[58:59]
	s_cbranch_vccnz .LBB80_44
; %bb.32:                               ;   in Loop: Header=BB80_27 Depth=3
	s_sub_i32 s19, s68, s8
	v_mov_b32_e32 v14, s19
	ds_write_b8 v14, v41 offset:32768
	s_and_saveexec_b64 s[58:59], s[48:49]
	s_cbranch_execz .LBB80_43
; %bb.33:                               ;   in Loop: Header=BB80_27 Depth=3
	s_andn2_b64 vcc, exec, s[50:51]
	v_cmp_ne_u32_e64 s[6:7], 1, v39
	s_cbranch_vccnz .LBB80_38
; %bb.34:                               ;   in Loop: Header=BB80_27 Depth=3
	v_pk_mov_b32 v[20:21], 0, 0
	s_mov_b64 s[60:61], 0
	s_and_b64 vcc, exec, s[6:7]
	v_pk_mov_b32 v[22:23], v[20:21], v[20:21] op_sel:[0,1]
	s_cbranch_vccnz .LBB80_37
; %bb.35:                               ;   in Loop: Header=BB80_27 Depth=3
	v_pk_mov_b32 v[20:21], 0, 0
	s_mov_b32 s57, 0
	v_mov_b32_e32 v24, v42
	v_pk_mov_b32 v[22:23], v[20:21], v[20:21] op_sel:[0,1]
.LBB80_36:                              ;   Parent Loop BB80_16 Depth=1
                                        ;     Parent Loop BB80_22 Depth=2
                                        ;       Parent Loop BB80_27 Depth=3
                                        ; =>      This Inner Loop Header: Depth=4
	v_ashrrev_i32_e32 v25, 31, v24
	v_lshlrev_b64 v[44:45], 4, v[24:25]
	v_mov_b32_e32 v48, s23
	v_add_u32_e32 v14, s57, v17
	v_add_co_u32_e32 v44, vcc, s22, v44
	v_lshlrev_b64 v[46:47], 4, v[14:15]
	v_addc_co_u32_e32 v45, vcc, v48, v45, vcc
	v_add_co_u32_e32 v48, vcc, s18, v46
	v_addc_co_u32_e32 v49, vcc, v40, v47, vcc
	global_load_dwordx4 v[44:47], v[44:45], off
	s_nop 0
	global_load_dwordx4 v[48:51], v[48:49], off
	s_add_i32 s57, s57, 1
	v_add_u32_e32 v24, s38, v24
	s_cmp_lg_u32 s38, s57
	s_waitcnt vmcnt(0)
	v_fmac_f64_e32 v[20:21], v[44:45], v[48:49]
	v_fmac_f64_e32 v[22:23], v[46:47], v[48:49]
	v_fma_f64 v[20:21], -v[46:47], v[50:51], v[20:21]
	v_fmac_f64_e32 v[22:23], v[44:45], v[50:51]
	s_cbranch_scc1 .LBB80_36
.LBB80_37:                              ;   in Loop: Header=BB80_27 Depth=3
	s_andn2_b64 vcc, exec, s[60:61]
	s_cbranch_vccz .LBB80_39
	s_branch .LBB80_42
.LBB80_38:                              ;   in Loop: Header=BB80_27 Depth=3
                                        ; implicit-def: $vgpr20_vgpr21
                                        ; implicit-def: $vgpr22_vgpr23
.LBB80_39:                              ;   in Loop: Header=BB80_27 Depth=3
	v_pk_mov_b32 v[20:21], 0, 0
	s_and_b64 vcc, exec, s[6:7]
	v_pk_mov_b32 v[22:23], v[20:21], v[20:21] op_sel:[0,1]
	s_cbranch_vccnz .LBB80_42
; %bb.40:                               ;   in Loop: Header=BB80_27 Depth=3
	v_pk_mov_b32 v[20:21], 0, 0
	v_pk_mov_b32 v[24:25], v[18:19], v[18:19] op_sel:[0,1]
	v_mov_b32_e32 v14, v43
	s_mov_b32 s6, s38
	v_pk_mov_b32 v[22:23], v[20:21], v[20:21] op_sel:[0,1]
.LBB80_41:                              ;   Parent Loop BB80_16 Depth=1
                                        ;     Parent Loop BB80_22 Depth=2
                                        ;       Parent Loop BB80_27 Depth=3
                                        ; =>      This Inner Loop Header: Depth=4
	v_lshlrev_b64 v[48:49], 4, v[14:15]
	v_add_co_u32_e32 v48, vcc, s18, v48
	v_addc_co_u32_e32 v49, vcc, v40, v49, vcc
	global_load_dwordx4 v[44:47], v[24:25], off offset:-8
	s_add_i32 s6, s6, -1
	global_load_dwordx4 v[48:51], v[48:49], off
	v_add_co_u32_e32 v24, vcc, 16, v24
	v_add_u32_e32 v14, s38, v14
	v_addc_co_u32_e32 v25, vcc, 0, v25, vcc
	s_cmp_eq_u32 s6, 0
	s_waitcnt vmcnt(0)
	v_fmac_f64_e32 v[20:21], v[44:45], v[48:49]
	v_fmac_f64_e32 v[22:23], v[46:47], v[48:49]
	v_fma_f64 v[20:21], -v[46:47], v[50:51], v[20:21]
	v_fmac_f64_e32 v[22:23], v[44:45], v[50:51]
	s_cbranch_scc0 .LBB80_41
.LBB80_42:                              ;   in Loop: Header=BB80_27 Depth=3
	s_lshl_b32 s6, s19, 8
	v_or3_b32 v14, s6, v27, v26
	v_lshlrev_b32_e32 v14, 4, v14
	ds_read_b128 v[44:47], v14
	s_waitcnt vmcnt(0) lgkmcnt(0)
	v_fmac_f64_e32 v[44:45], v[4:5], v[20:21]
	v_fmac_f64_e32 v[46:47], v[8:9], v[20:21]
	v_fma_f64 v[44:45], -v[8:9], v[22:23], v[44:45]
	v_fmac_f64_e32 v[46:47], v[4:5], v[22:23]
	ds_write_b128 v14, v[44:47]
.LBB80_43:                              ;   in Loop: Header=BB80_27 Depth=3
	s_or_b64 exec, exec, s[58:59]
	s_mov_b64 s[6:7], -1
	s_mov_b32 s19, s9
	s_mov_b32 s57, s53
	s_waitcnt lgkmcnt(0)
	s_barrier
.LBB80_44:                              ;   in Loop: Header=BB80_27 Depth=3
	s_add_i32 s56, s56, 1
	s_cmp_lt_i32 s56, s67
	s_cselect_b64 s[58:59], -1, 0
	s_and_b64 s[6:7], s[6:7], s[58:59]
	v_add_u32_e32 v17, s36, v17
	v_add_u32_e32 v43, s36, v43
	s_and_b64 vcc, exec, s[6:7]
	s_cbranch_vccz .LBB80_47
; %bb.45:                               ;   in Loop: Header=BB80_27 Depth=3
	s_mov_b32 s9, s19
	s_mov_b32 s53, s57
	s_branch .LBB80_27
.LBB80_46:                              ;   in Loop: Header=BB80_22 Depth=2
	s_mov_b32 s19, s9
	s_mov_b32 s57, s53
.LBB80_47:                              ;   in Loop: Header=BB80_22 Depth=2
	s_add_u32 s6, s44, s54
	s_addc_u32 s7, s45, s55
	s_add_i32 s52, s52, 1
	v_mov_b32_e32 v14, s57
	v_add_u32_e32 v42, s36, v42
	s_cmp_lt_i32 s52, s33
	v_add_u32_e32 v16, s36, v16
	global_store_dword v15, v14, s[6:7]
	s_cbranch_scc0 .LBB80_50
; %bb.48:                               ;   in Loop: Header=BB80_22 Depth=2
	s_mov_b32 s9, s19
	s_branch .LBB80_22
.LBB80_49:                              ;   in Loop: Header=BB80_22 Depth=2
                                        ; implicit-def: $sgpr53
	s_branch .LBB80_24
.LBB80_50:                              ;   in Loop: Header=BB80_16 Depth=1
	s_andn2_b64 vcc, exec, s[34:35]
	s_cbranch_vccnz .LBB80_60
; %bb.51:                               ;   in Loop: Header=BB80_16 Depth=1
	s_load_dwordx2 s[6:7], s[12:13], 0x0
	s_waitcnt lgkmcnt(0)
	s_cmp_ge_i32 s6, s7
	s_cbranch_scc1 .LBB80_60
; %bb.52:                               ;   in Loop: Header=BB80_16 Depth=1
	s_sub_i32 s10, s6, s31
	s_sub_i32 s9, s7, s31
	s_mul_i32 s7, s38, s10
	s_ashr_i32 s11, s10, 31
	v_add_u32_e32 v14, s7, v36
	s_add_i32 s54, s66, s6
	s_lshl_b64 s[6:7], s[10:11], 2
	v_mad_u64_u32 v[16:17], s[52:53], s38, v14, v[12:13]
	s_add_u32 s6, s14, s6
	s_addc_u32 s7, s15, s7
	v_mov_b32_e32 v14, v16
	s_branch .LBB80_55
.LBB80_53:                              ;   in Loop: Header=BB80_55 Depth=2
	s_or_b64 exec, exec, s[10:11]
	s_mov_b64 s[10:11], -1
	s_mov_b32 s55, s19
	s_waitcnt lgkmcnt(0)
	s_barrier
.LBB80_54:                              ;   in Loop: Header=BB80_55 Depth=2
	s_cmp_lt_i32 s54, s9
	s_cselect_b64 s[52:53], -1, 0
	s_and_b64 s[10:11], s[10:11], s[52:53]
	s_add_i32 s54, s54, 1
	s_add_u32 s6, s6, 4
	v_add_u32_e32 v14, s36, v14
	s_addc_u32 s7, s7, 0
	s_mov_b32 s19, s55
	s_and_b64 vcc, exec, s[10:11]
	s_cbranch_vccz .LBB80_60
.LBB80_55:                              ;   Parent Loop BB80_16 Depth=1
                                        ; =>  This Inner Loop Header: Depth=2
	s_load_dword s10, s[6:7], 0x0
                                        ; implicit-def: $sgpr55
	s_waitcnt lgkmcnt(0)
	s_sub_i32 s56, s10, s31
	s_cmp_lt_i32 s56, s8
	s_cselect_b64 s[52:53], -1, 0
	s_cmp_lt_i32 s56, s47
	s_cselect_b64 s[10:11], -1, 0
	s_cmp_ge_i32 s56, s47
	s_cselect_b64 s[58:59], -1, 0
	s_or_b64 s[58:59], s[52:53], s[58:59]
	s_mov_b64 s[52:53], -1
	s_and_b64 vcc, exec, s[58:59]
	s_cbranch_vccz .LBB80_57
; %bb.56:                               ;   in Loop: Header=BB80_55 Depth=2
	s_min_i32 s55, s56, s19
	s_and_b64 s[52:53], s[10:11], exec
	s_cselect_b32 s55, s19, s55
	s_mov_b64 s[52:53], 0
.LBB80_57:                              ;   in Loop: Header=BB80_55 Depth=2
	s_andn2_b64 vcc, exec, s[52:53]
	s_cbranch_vccnz .LBB80_54
; %bb.58:                               ;   in Loop: Header=BB80_55 Depth=2
	s_sub_i32 s52, s56, s8
	v_mov_b32_e32 v16, s52
	ds_write_b8 v16, v41 offset:32768
	s_and_saveexec_b64 s[10:11], s[48:49]
	s_cbranch_execz .LBB80_53
; %bb.59:                               ;   in Loop: Header=BB80_55 Depth=2
	v_lshlrev_b64 v[16:17], 4, v[14:15]
	v_mov_b32_e32 v18, s17
	v_add_co_u32_e32 v16, vcc, s16, v16
	v_addc_co_u32_e32 v17, vcc, v18, v17, vcc
	global_load_dwordx4 v[16:19], v[16:17], off
	s_lshl_b32 s52, s52, 8
	v_or3_b32 v20, s52, v27, v26
	v_lshlrev_b32_e32 v24, 4, v20
	ds_read_b128 v[20:23], v24
	s_waitcnt vmcnt(0) lgkmcnt(0)
	v_fmac_f64_e32 v[20:21], v[10:11], v[16:17]
	v_fmac_f64_e32 v[22:23], v[6:7], v[16:17]
	v_fma_f64 v[20:21], -v[6:7], v[18:19], v[20:21]
	v_fmac_f64_e32 v[22:23], v[10:11], v[18:19]
	ds_write_b128 v24, v[20:23]
	s_branch .LBB80_53
.LBB80_60:                              ;   in Loop: Header=BB80_16 Depth=1
	s_barrier
	ds_read_u8 v14, v15 offset:32768
	s_add_i32 s11, s8, s30
	s_mov_b32 s10, 0
	s_waitcnt lgkmcnt(0)
	v_cmp_eq_u32_e32 vcc, 0, v14
	s_cbranch_vccz .LBB80_68
; %bb.61:                               ;   in Loop: Header=BB80_16 Depth=1
	ds_read_u8 v14, v15 offset:32769
	s_waitcnt lgkmcnt(0)
	v_cmp_eq_u32_e32 vcc, 0, v14
	s_cbranch_vccz .LBB80_71
.LBB80_62:                              ;   in Loop: Header=BB80_16 Depth=1
	ds_read_u8 v14, v15 offset:32770
	s_waitcnt lgkmcnt(0)
	v_cmp_eq_u32_e32 vcc, 0, v14
	s_cbranch_vccz .LBB80_74
.LBB80_63:                              ;   in Loop: Header=BB80_16 Depth=1
	ds_read_u8 v14, v15 offset:32771
	s_waitcnt lgkmcnt(0)
	v_cmp_eq_u32_e32 vcc, 0, v14
	s_cbranch_vccz .LBB80_77
.LBB80_64:                              ;   in Loop: Header=BB80_16 Depth=1
	ds_read_u8 v14, v15 offset:32772
	s_waitcnt lgkmcnt(0)
	v_cmp_eq_u32_e32 vcc, 0, v14
	s_cbranch_vccz .LBB80_80
.LBB80_65:                              ;   in Loop: Header=BB80_16 Depth=1
	ds_read_u8 v14, v15 offset:32773
	s_waitcnt lgkmcnt(0)
	v_cmp_eq_u32_e32 vcc, 0, v14
	s_cbranch_vccz .LBB80_83
.LBB80_66:                              ;   in Loop: Header=BB80_16 Depth=1
	ds_read_u8 v14, v15 offset:32774
	s_waitcnt lgkmcnt(0)
	v_cmp_eq_u32_e32 vcc, 0, v14
	s_cbranch_vccz .LBB80_86
.LBB80_67:                              ;   in Loop: Header=BB80_16 Depth=1
	ds_read_u8 v14, v15 offset:32775
	s_waitcnt lgkmcnt(0)
	v_cmp_eq_u32_e32 vcc, 0, v14
	s_cbranch_vccnz .LBB80_15
	s_branch .LBB80_89
.LBB80_68:                              ;   in Loop: Header=BB80_16 Depth=1
	s_ashr_i32 s47, s46, 31
	s_lshl_b64 s[6:7], s[46:47], 2
	s_add_u32 s6, s40, s6
	s_addc_u32 s7, s41, s7
	v_mov_b32_e32 v14, s11
	global_store_dword v15, v14, s[6:7]
	s_and_saveexec_b64 s[6:7], s[48:49]
	s_cbranch_execz .LBB80_70
; %bb.69:                               ;   in Loop: Header=BB80_16 Depth=1
	s_mul_i32 s8, s46, s38
	v_add_u32_e32 v14, s8, v36
	v_mad_u64_u32 v[16:17], s[8:9], v14, s38, v[12:13]
	v_mov_b32_e32 v17, v15
	v_lshlrev_b64 v[20:21], 4, v[16:17]
	ds_read2_b64 v[16:19], v28 offset1:1
	v_mov_b32_e32 v14, s43
	v_add_co_u32_e32 v20, vcc, s42, v20
	v_addc_co_u32_e32 v21, vcc, v14, v21, vcc
	s_waitcnt lgkmcnt(0)
	global_store_dwordx4 v[20:21], v[16:19], off
.LBB80_70:                              ;   in Loop: Header=BB80_16 Depth=1
	s_or_b64 exec, exec, s[6:7]
	s_mov_b32 s10, 1
	ds_read_u8 v14, v15 offset:32769
	s_waitcnt lgkmcnt(0)
	v_cmp_eq_u32_e32 vcc, 0, v14
	s_cbranch_vccnz .LBB80_62
.LBB80_71:                              ;   in Loop: Header=BB80_16 Depth=1
	s_add_i32 s8, s10, s46
	s_ashr_i32 s9, s8, 31
	s_add_i32 s47, s11, 1
	s_lshl_b64 s[6:7], s[8:9], 2
	s_add_u32 s6, s40, s6
	s_addc_u32 s7, s41, s7
	v_mov_b32_e32 v14, s47
	global_store_dword v15, v14, s[6:7]
	s_and_saveexec_b64 s[6:7], s[48:49]
	s_cbranch_execz .LBB80_73
; %bb.72:                               ;   in Loop: Header=BB80_16 Depth=1
	s_mul_i32 s8, s8, s38
	v_add_u32_e32 v14, s8, v36
	v_mad_u64_u32 v[16:17], s[8:9], v14, s38, v[12:13]
	v_mov_b32_e32 v17, v15
	v_lshlrev_b64 v[20:21], 4, v[16:17]
	ds_read2_b64 v[16:19], v29 offset1:1
	v_mov_b32_e32 v14, s43
	v_add_co_u32_e32 v20, vcc, s42, v20
	v_addc_co_u32_e32 v21, vcc, v14, v21, vcc
	s_waitcnt lgkmcnt(0)
	global_store_dwordx4 v[20:21], v[16:19], off
.LBB80_73:                              ;   in Loop: Header=BB80_16 Depth=1
	s_or_b64 exec, exec, s[6:7]
	s_add_i32 s10, s10, 1
	ds_read_u8 v14, v15 offset:32770
	s_waitcnt lgkmcnt(0)
	v_cmp_eq_u32_e32 vcc, 0, v14
	s_cbranch_vccnz .LBB80_63
.LBB80_74:                              ;   in Loop: Header=BB80_16 Depth=1
	s_add_i32 s8, s10, s46
	s_ashr_i32 s9, s8, 31
	s_add_i32 s47, s11, 2
	s_lshl_b64 s[6:7], s[8:9], 2
	s_add_u32 s6, s40, s6
	s_addc_u32 s7, s41, s7
	v_mov_b32_e32 v14, s47
	global_store_dword v15, v14, s[6:7]
	s_and_saveexec_b64 s[6:7], s[48:49]
	s_cbranch_execz .LBB80_76
; %bb.75:                               ;   in Loop: Header=BB80_16 Depth=1
	s_mul_i32 s8, s8, s38
	v_add_u32_e32 v14, s8, v36
	v_mad_u64_u32 v[16:17], s[8:9], v14, s38, v[12:13]
	v_mov_b32_e32 v17, v15
	v_lshlrev_b64 v[20:21], 4, v[16:17]
	ds_read2_b64 v[16:19], v30 offset1:1
	v_mov_b32_e32 v14, s43
	v_add_co_u32_e32 v20, vcc, s42, v20
	v_addc_co_u32_e32 v21, vcc, v14, v21, vcc
	s_waitcnt lgkmcnt(0)
	global_store_dwordx4 v[20:21], v[16:19], off
.LBB80_76:                              ;   in Loop: Header=BB80_16 Depth=1
	s_or_b64 exec, exec, s[6:7]
	s_add_i32 s10, s10, 1
	ds_read_u8 v14, v15 offset:32771
	s_waitcnt lgkmcnt(0)
	v_cmp_eq_u32_e32 vcc, 0, v14
	s_cbranch_vccnz .LBB80_64
.LBB80_77:                              ;   in Loop: Header=BB80_16 Depth=1
	s_add_i32 s8, s10, s46
	s_ashr_i32 s9, s8, 31
	s_add_i32 s47, s11, 3
	s_lshl_b64 s[6:7], s[8:9], 2
	s_add_u32 s6, s40, s6
	s_addc_u32 s7, s41, s7
	v_mov_b32_e32 v14, s47
	global_store_dword v15, v14, s[6:7]
	s_and_saveexec_b64 s[6:7], s[48:49]
	s_cbranch_execz .LBB80_79
; %bb.78:                               ;   in Loop: Header=BB80_16 Depth=1
	s_mul_i32 s8, s8, s38
	v_add_u32_e32 v14, s8, v36
	v_mad_u64_u32 v[16:17], s[8:9], v14, s38, v[12:13]
	v_mov_b32_e32 v17, v15
	v_lshlrev_b64 v[20:21], 4, v[16:17]
	ds_read2_b64 v[16:19], v31 offset1:1
	v_mov_b32_e32 v14, s43
	v_add_co_u32_e32 v20, vcc, s42, v20
	v_addc_co_u32_e32 v21, vcc, v14, v21, vcc
	s_waitcnt lgkmcnt(0)
	global_store_dwordx4 v[20:21], v[16:19], off
.LBB80_79:                              ;   in Loop: Header=BB80_16 Depth=1
	s_or_b64 exec, exec, s[6:7]
	s_add_i32 s10, s10, 1
	ds_read_u8 v14, v15 offset:32772
	s_waitcnt lgkmcnt(0)
	v_cmp_eq_u32_e32 vcc, 0, v14
	s_cbranch_vccnz .LBB80_65
.LBB80_80:                              ;   in Loop: Header=BB80_16 Depth=1
	s_add_i32 s8, s10, s46
	s_ashr_i32 s9, s8, 31
	s_add_i32 s47, s11, 4
	s_lshl_b64 s[6:7], s[8:9], 2
	s_add_u32 s6, s40, s6
	s_addc_u32 s7, s41, s7
	v_mov_b32_e32 v14, s47
	global_store_dword v15, v14, s[6:7]
	s_and_saveexec_b64 s[6:7], s[48:49]
	s_cbranch_execz .LBB80_82
; %bb.81:                               ;   in Loop: Header=BB80_16 Depth=1
	s_mul_i32 s8, s8, s38
	v_add_u32_e32 v14, s8, v36
	v_mad_u64_u32 v[16:17], s[8:9], v14, s38, v[12:13]
	v_mov_b32_e32 v17, v15
	v_lshlrev_b64 v[20:21], 4, v[16:17]
	ds_read2_b64 v[16:19], v32 offset1:1
	v_mov_b32_e32 v14, s43
	v_add_co_u32_e32 v20, vcc, s42, v20
	v_addc_co_u32_e32 v21, vcc, v14, v21, vcc
	s_waitcnt lgkmcnt(0)
	global_store_dwordx4 v[20:21], v[16:19], off
.LBB80_82:                              ;   in Loop: Header=BB80_16 Depth=1
	s_or_b64 exec, exec, s[6:7]
	s_add_i32 s10, s10, 1
	ds_read_u8 v14, v15 offset:32773
	s_waitcnt lgkmcnt(0)
	v_cmp_eq_u32_e32 vcc, 0, v14
	s_cbranch_vccnz .LBB80_66
.LBB80_83:                              ;   in Loop: Header=BB80_16 Depth=1
	s_add_i32 s8, s10, s46
	s_ashr_i32 s9, s8, 31
	s_add_i32 s47, s11, 5
	s_lshl_b64 s[6:7], s[8:9], 2
	s_add_u32 s6, s40, s6
	s_addc_u32 s7, s41, s7
	v_mov_b32_e32 v14, s47
	global_store_dword v15, v14, s[6:7]
	s_and_saveexec_b64 s[6:7], s[48:49]
	s_cbranch_execz .LBB80_85
; %bb.84:                               ;   in Loop: Header=BB80_16 Depth=1
	s_mul_i32 s8, s8, s38
	v_add_u32_e32 v14, s8, v36
	v_mad_u64_u32 v[16:17], s[8:9], v14, s38, v[12:13]
	v_mov_b32_e32 v17, v15
	v_lshlrev_b64 v[20:21], 4, v[16:17]
	ds_read2_b64 v[16:19], v33 offset1:1
	v_mov_b32_e32 v14, s43
	v_add_co_u32_e32 v20, vcc, s42, v20
	v_addc_co_u32_e32 v21, vcc, v14, v21, vcc
	s_waitcnt lgkmcnt(0)
	global_store_dwordx4 v[20:21], v[16:19], off
.LBB80_85:                              ;   in Loop: Header=BB80_16 Depth=1
	s_or_b64 exec, exec, s[6:7]
	s_add_i32 s10, s10, 1
	ds_read_u8 v14, v15 offset:32774
	s_waitcnt lgkmcnt(0)
	v_cmp_eq_u32_e32 vcc, 0, v14
	s_cbranch_vccnz .LBB80_67
.LBB80_86:                              ;   in Loop: Header=BB80_16 Depth=1
	s_add_i32 s8, s10, s46
	s_ashr_i32 s9, s8, 31
	s_add_i32 s47, s11, 6
	s_lshl_b64 s[6:7], s[8:9], 2
	s_add_u32 s6, s40, s6
	s_addc_u32 s7, s41, s7
	v_mov_b32_e32 v14, s47
	global_store_dword v15, v14, s[6:7]
	s_and_saveexec_b64 s[6:7], s[48:49]
	s_cbranch_execz .LBB80_88
; %bb.87:                               ;   in Loop: Header=BB80_16 Depth=1
	s_mul_i32 s8, s8, s38
	v_add_u32_e32 v14, s8, v36
	v_mad_u64_u32 v[16:17], s[8:9], v14, s38, v[12:13]
	v_mov_b32_e32 v17, v15
	v_lshlrev_b64 v[20:21], 4, v[16:17]
	ds_read2_b64 v[16:19], v34 offset1:1
	v_mov_b32_e32 v14, s43
	v_add_co_u32_e32 v20, vcc, s42, v20
	v_addc_co_u32_e32 v21, vcc, v14, v21, vcc
	s_waitcnt lgkmcnt(0)
	global_store_dwordx4 v[20:21], v[16:19], off
.LBB80_88:                              ;   in Loop: Header=BB80_16 Depth=1
	s_or_b64 exec, exec, s[6:7]
	s_add_i32 s10, s10, 1
	ds_read_u8 v14, v15 offset:32775
	s_waitcnt lgkmcnt(0)
	v_cmp_eq_u32_e32 vcc, 0, v14
	s_cbranch_vccnz .LBB80_15
.LBB80_89:                              ;   in Loop: Header=BB80_16 Depth=1
	s_add_i32 s8, s10, s46
	s_ashr_i32 s9, s8, 31
	s_add_i32 s11, s11, 7
	s_lshl_b64 s[6:7], s[8:9], 2
	s_add_u32 s6, s40, s6
	s_addc_u32 s7, s41, s7
	v_mov_b32_e32 v14, s11
	global_store_dword v15, v14, s[6:7]
	s_and_saveexec_b64 s[6:7], s[48:49]
	s_cbranch_execz .LBB80_14
; %bb.90:                               ;   in Loop: Header=BB80_16 Depth=1
	s_mul_i32 s8, s8, s38
	v_add_u32_e32 v14, s8, v36
	v_mad_u64_u32 v[16:17], s[8:9], v14, s38, v[12:13]
	v_mov_b32_e32 v17, v15
	v_lshlrev_b64 v[20:21], 4, v[16:17]
	ds_read2_b64 v[16:19], v35 offset1:1
	v_mov_b32_e32 v14, s43
	v_add_co_u32_e32 v20, vcc, s42, v20
	v_addc_co_u32_e32 v21, vcc, v14, v21, vcc
	s_waitcnt lgkmcnt(0)
	global_store_dwordx4 v[20:21], v[16:19], off
	s_branch .LBB80_14
.LBB80_91:
	s_endpgm
	.section	.rodata,"a",@progbits
	.p2align	6, 0x0
	.amdhsa_kernel _ZN9rocsparseL31bsrgemm_block_per_row_multipassILj256ELj8ELj16Eii21rocsparse_complex_numIdEEEv20rocsparse_direction_T3_S4_PKS4_S6_NS_24const_host_device_scalarIT4_EEPKT2_S6_PKS8_SC_S6_SE_S9_SC_S6_SE_SC_PS4_PS8_PSA_21rocsparse_index_base_SI_SI_SI_bbb
		.amdhsa_group_segment_fixed_size 36872
		.amdhsa_private_segment_fixed_size 0
		.amdhsa_kernarg_size 188
		.amdhsa_user_sgpr_count 8
		.amdhsa_user_sgpr_private_segment_buffer 1
		.amdhsa_user_sgpr_dispatch_ptr 1
		.amdhsa_user_sgpr_queue_ptr 0
		.amdhsa_user_sgpr_kernarg_segment_ptr 1
		.amdhsa_user_sgpr_dispatch_id 0
		.amdhsa_user_sgpr_flat_scratch_init 0
		.amdhsa_user_sgpr_kernarg_preload_length 0
		.amdhsa_user_sgpr_kernarg_preload_offset 0
		.amdhsa_user_sgpr_private_segment_size 0
		.amdhsa_uses_dynamic_stack 0
		.amdhsa_system_sgpr_private_segment_wavefront_offset 0
		.amdhsa_system_sgpr_workgroup_id_x 1
		.amdhsa_system_sgpr_workgroup_id_y 0
		.amdhsa_system_sgpr_workgroup_id_z 0
		.amdhsa_system_sgpr_workgroup_info 0
		.amdhsa_system_vgpr_workitem_id 2
		.amdhsa_next_free_vgpr 52
		.amdhsa_next_free_sgpr 69
		.amdhsa_accum_offset 52
		.amdhsa_reserve_vcc 1
		.amdhsa_reserve_flat_scratch 0
		.amdhsa_float_round_mode_32 0
		.amdhsa_float_round_mode_16_64 0
		.amdhsa_float_denorm_mode_32 3
		.amdhsa_float_denorm_mode_16_64 3
		.amdhsa_dx10_clamp 1
		.amdhsa_ieee_mode 1
		.amdhsa_fp16_overflow 0
		.amdhsa_tg_split 0
		.amdhsa_exception_fp_ieee_invalid_op 0
		.amdhsa_exception_fp_denorm_src 0
		.amdhsa_exception_fp_ieee_div_zero 0
		.amdhsa_exception_fp_ieee_overflow 0
		.amdhsa_exception_fp_ieee_underflow 0
		.amdhsa_exception_fp_ieee_inexact 0
		.amdhsa_exception_int_div_zero 0
	.end_amdhsa_kernel
	.section	.text._ZN9rocsparseL31bsrgemm_block_per_row_multipassILj256ELj8ELj16Eii21rocsparse_complex_numIdEEEv20rocsparse_direction_T3_S4_PKS4_S6_NS_24const_host_device_scalarIT4_EEPKT2_S6_PKS8_SC_S6_SE_S9_SC_S6_SE_SC_PS4_PS8_PSA_21rocsparse_index_base_SI_SI_SI_bbb,"axG",@progbits,_ZN9rocsparseL31bsrgemm_block_per_row_multipassILj256ELj8ELj16Eii21rocsparse_complex_numIdEEEv20rocsparse_direction_T3_S4_PKS4_S6_NS_24const_host_device_scalarIT4_EEPKT2_S6_PKS8_SC_S6_SE_S9_SC_S6_SE_SC_PS4_PS8_PSA_21rocsparse_index_base_SI_SI_SI_bbb,comdat
.Lfunc_end80:
	.size	_ZN9rocsparseL31bsrgemm_block_per_row_multipassILj256ELj8ELj16Eii21rocsparse_complex_numIdEEEv20rocsparse_direction_T3_S4_PKS4_S6_NS_24const_host_device_scalarIT4_EEPKT2_S6_PKS8_SC_S6_SE_S9_SC_S6_SE_SC_PS4_PS8_PSA_21rocsparse_index_base_SI_SI_SI_bbb, .Lfunc_end80-_ZN9rocsparseL31bsrgemm_block_per_row_multipassILj256ELj8ELj16Eii21rocsparse_complex_numIdEEEv20rocsparse_direction_T3_S4_PKS4_S6_NS_24const_host_device_scalarIT4_EEPKT2_S6_PKS8_SC_S6_SE_S9_SC_S6_SE_SC_PS4_PS8_PSA_21rocsparse_index_base_SI_SI_SI_bbb
                                        ; -- End function
	.section	.AMDGPU.csdata,"",@progbits
; Kernel info:
; codeLenInByte = 3532
; NumSgprs: 73
; NumVgprs: 52
; NumAgprs: 0
; TotalNumVgprs: 52
; ScratchSize: 0
; MemoryBound: 0
; FloatMode: 240
; IeeeMode: 1
; LDSByteSize: 36872 bytes/workgroup (compile time only)
; SGPRBlocks: 9
; VGPRBlocks: 6
; NumSGPRsForWavesPerEU: 73
; NumVGPRsForWavesPerEU: 52
; AccumOffset: 52
; Occupancy: 1
; WaveLimiterHint : 1
; COMPUTE_PGM_RSRC2:SCRATCH_EN: 0
; COMPUTE_PGM_RSRC2:USER_SGPR: 8
; COMPUTE_PGM_RSRC2:TRAP_HANDLER: 0
; COMPUTE_PGM_RSRC2:TGID_X_EN: 1
; COMPUTE_PGM_RSRC2:TGID_Y_EN: 0
; COMPUTE_PGM_RSRC2:TGID_Z_EN: 0
; COMPUTE_PGM_RSRC2:TIDIG_COMP_CNT: 2
; COMPUTE_PGM_RSRC3_GFX90A:ACCUM_OFFSET: 12
; COMPUTE_PGM_RSRC3_GFX90A:TG_SPLIT: 0
	.section	.text._ZN9rocsparseL31bsrgemm_block_per_row_multipassILj256ELj2ELj32Eii21rocsparse_complex_numIdEEEv20rocsparse_direction_T3_S4_PKS4_S6_NS_24const_host_device_scalarIT4_EEPKT2_S6_PKS8_SC_S6_SE_S9_SC_S6_SE_SC_PS4_PS8_PSA_21rocsparse_index_base_SI_SI_SI_bbb,"axG",@progbits,_ZN9rocsparseL31bsrgemm_block_per_row_multipassILj256ELj2ELj32Eii21rocsparse_complex_numIdEEEv20rocsparse_direction_T3_S4_PKS4_S6_NS_24const_host_device_scalarIT4_EEPKT2_S6_PKS8_SC_S6_SE_S9_SC_S6_SE_SC_PS4_PS8_PSA_21rocsparse_index_base_SI_SI_SI_bbb,comdat
	.globl	_ZN9rocsparseL31bsrgemm_block_per_row_multipassILj256ELj2ELj32Eii21rocsparse_complex_numIdEEEv20rocsparse_direction_T3_S4_PKS4_S6_NS_24const_host_device_scalarIT4_EEPKT2_S6_PKS8_SC_S6_SE_S9_SC_S6_SE_SC_PS4_PS8_PSA_21rocsparse_index_base_SI_SI_SI_bbb ; -- Begin function _ZN9rocsparseL31bsrgemm_block_per_row_multipassILj256ELj2ELj32Eii21rocsparse_complex_numIdEEEv20rocsparse_direction_T3_S4_PKS4_S6_NS_24const_host_device_scalarIT4_EEPKT2_S6_PKS8_SC_S6_SE_S9_SC_S6_SE_SC_PS4_PS8_PSA_21rocsparse_index_base_SI_SI_SI_bbb
	.p2align	8
	.type	_ZN9rocsparseL31bsrgemm_block_per_row_multipassILj256ELj2ELj32Eii21rocsparse_complex_numIdEEEv20rocsparse_direction_T3_S4_PKS4_S6_NS_24const_host_device_scalarIT4_EEPKT2_S6_PKS8_SC_S6_SE_S9_SC_S6_SE_SC_PS4_PS8_PSA_21rocsparse_index_base_SI_SI_SI_bbb,@function
_ZN9rocsparseL31bsrgemm_block_per_row_multipassILj256ELj2ELj32Eii21rocsparse_complex_numIdEEEv20rocsparse_direction_T3_S4_PKS4_S6_NS_24const_host_device_scalarIT4_EEPKT2_S6_PKS8_SC_S6_SE_S9_SC_S6_SE_SC_PS4_PS8_PSA_21rocsparse_index_base_SI_SI_SI_bbb: ; @_ZN9rocsparseL31bsrgemm_block_per_row_multipassILj256ELj2ELj32Eii21rocsparse_complex_numIdEEEv20rocsparse_direction_T3_S4_PKS4_S6_NS_24const_host_device_scalarIT4_EEPKT2_S6_PKS8_SC_S6_SE_S9_SC_S6_SE_SC_PS4_PS8_PSA_21rocsparse_index_base_SI_SI_SI_bbb
; %bb.0:
	s_load_dword s9, s[6:7], 0xb8
	s_load_dwordx4 s[28:31], s[6:7], 0xa8
	s_load_dwordx2 s[2:3], s[4:5], 0x4
	s_load_dwordx4 s[16:19], s[6:7], 0x20
	s_load_dwordx4 s[12:15], s[6:7], 0x60
	v_and_b32_e32 v13, 0x3ff, v0
	s_waitcnt lgkmcnt(0)
	s_bitcmp1_b32 s9, 0
	s_cselect_b64 s[4:5], -1, 0
	s_bitcmp1_b32 s9, 16
	s_cselect_b64 s[0:1], -1, 0
	s_lshr_b32 s2, s2, 16
	s_mul_i32 s2, s2, s3
	v_mul_lo_u32 v1, s2, v13
	v_bfe_u32 v2, v0, 10, 10
	v_mad_u32_u24 v1, v2, s3, v1
	v_bfe_u32 v0, v0, 20, 10
	v_add_lshl_u32 v0, v1, v0, 3
	v_pk_mov_b32 v[2:3], s[16:17], s[16:17] op_sel:[0,1]
	v_pk_mov_b32 v[4:5], s[12:13], s[12:13] op_sel:[0,1]
	v_add_u32_e32 v1, 8, v0
	s_xor_b64 s[2:3], s[0:1], -1
	ds_write2st64_b64 v1, v[4:5], v[2:3] offset0:64 offset1:68
	v_pk_mov_b32 v[6:7], 0, 0
	v_cndmask_b32_e64 v1, 0, 1, s[2:3]
	s_bitcmp0_b32 s9, 0
	v_cmp_ne_u32_e64 s[2:3], 1, v1
	v_pk_mov_b32 v[4:5], v[6:7], v[6:7] op_sel:[0,1]
	v_pk_mov_b32 v[8:9], v[6:7], v[6:7] op_sel:[0,1]
	s_cbranch_scc1 .LBB81_3
; %bb.1:
	s_mov_b64 s[10:11], src_shared_base
	s_and_b64 s[20:21], s[0:1], exec
	v_add_u32_e32 v1, 0x8808, v0
	s_cselect_b32 s10, s11, s17
	v_mov_b32_e32 v2, s16
	v_cndmask_b32_e64 v2, v2, v1, s[0:1]
	v_mov_b32_e32 v3, s10
	flat_load_dwordx2 v[4:5], v[2:3]
	s_and_b64 vcc, exec, s[2:3]
	v_pk_mov_b32 v[8:9], s[18:19], s[18:19] op_sel:[0,1]
	s_cbranch_vccnz .LBB81_3
; %bb.2:
	v_pk_mov_b32 v[2:3], s[16:17], s[16:17] op_sel:[0,1]
	flat_load_dwordx2 v[8:9], v[2:3] offset:8
.LBB81_3:
	s_load_dwordx2 s[10:11], s[6:7], 0x18
	s_bitcmp1_b32 s9, 8
	s_cselect_b64 s[34:35], -1, 0
	s_bfe_u32 s9, s9, 0x10008
	s_cmp_eq_u32 s9, 0
	v_pk_mov_b32 v[10:11], v[6:7], v[6:7] op_sel:[0,1]
	s_cbranch_scc1 .LBB81_6
; %bb.4:
	s_mov_b64 s[16:17], src_shared_base
	s_and_b64 s[18:19], s[0:1], exec
	v_add_u32_e32 v0, 0x8008, v0
	s_cselect_b32 s9, s17, s13
	v_mov_b32_e32 v1, s12
	v_cndmask_b32_e64 v0, v1, v0, s[0:1]
	v_mov_b32_e32 v1, s9
	flat_load_dwordx2 v[10:11], v[0:1]
	s_and_b64 vcc, exec, s[2:3]
	v_pk_mov_b32 v[6:7], s[14:15], s[14:15] op_sel:[0,1]
	s_cbranch_vccnz .LBB81_6
; %bb.5:
	v_pk_mov_b32 v[0:1], s[12:13], s[12:13] op_sel:[0,1]
	flat_load_dwordx2 v[6:7], v[0:1] offset:8
.LBB81_6:
	s_load_dwordx2 s[2:3], s[6:7], 0x30
	s_waitcnt lgkmcnt(0)
	s_cmp_eq_u64 s[10:11], 0
	s_cbranch_scc1 .LBB81_8
; %bb.7:
	s_load_dwordx2 s[0:1], s[6:7], 0x10
	s_waitcnt lgkmcnt(0)
	s_load_dword s0, s[0:1], 0x0
	s_mov_b32 s1, 0
	s_waitcnt lgkmcnt(0)
	s_add_i32 s0, s0, s8
	s_lshl_b64 s[0:1], s[0:1], 2
	s_add_u32 s0, s10, s0
	s_addc_u32 s1, s11, s1
	s_load_dword s8, s[0:1], 0x0
.LBB81_8:
	v_cndmask_b32_e64 v0, 0, 1, s[4:5]
	s_mov_b32 s33, 0
	v_cmp_ne_u32_e64 s[0:1], 1, v0
	s_andn2_b64 vcc, exec, s[4:5]
	s_mov_b32 s70, 0
	s_cbranch_vccz .LBB81_11
; %bb.9:
	s_and_b64 vcc, exec, s[0:1]
	s_cbranch_vccz .LBB81_12
.LBB81_10:
	s_load_dwordx4 s[36:39], s[6:7], 0x0
	s_waitcnt lgkmcnt(0)
	s_cmp_lt_i32 s37, 1
	s_cbranch_scc0 .LBB81_13
	s_branch .LBB81_166
.LBB81_11:
	s_waitcnt lgkmcnt(0)
	s_ashr_i32 s9, s8, 31
	s_lshl_b64 s[10:11], s[8:9], 2
	s_add_u32 s10, s2, s10
	s_addc_u32 s11, s3, s11
	s_load_dword s9, s[10:11], 0x0
	s_waitcnt lgkmcnt(0)
	s_sub_i32 s70, s9, s28
	s_and_b64 vcc, exec, s[0:1]
	s_cbranch_vccnz .LBB81_10
.LBB81_12:
	s_waitcnt lgkmcnt(0)
	s_ashr_i32 s9, s8, 31
	s_lshl_b64 s[0:1], s[8:9], 2
	s_add_u32 s0, s2, s0
	s_addc_u32 s1, s3, s1
	s_load_dword s0, s[0:1], 0x4
	s_waitcnt lgkmcnt(0)
	s_sub_i32 s33, s0, s28
	s_load_dwordx4 s[36:39], s[6:7], 0x0
	s_waitcnt lgkmcnt(0)
	s_cmp_lt_i32 s37, 1
	s_cbranch_scc1 .LBB81_166
.LBB81_13:
	s_load_dwordx8 s[12:19], s[6:7], 0x70
	s_load_dwordx2 s[44:45], s[6:7], 0xa0
	s_load_dwordx4 s[40:43], s[6:7], 0x90
	s_load_dwordx2 s[46:47], s[6:7], 0x58
	s_ashr_i32 s9, s8, 31
	s_lshl_b64 s[2:3], s[8:9], 2
	s_waitcnt lgkmcnt(0)
	s_add_u32 s0, s18, s2
	s_addc_u32 s1, s19, s3
	s_load_dword s8, s[0:1], 0x0
	s_load_dwordx8 s[20:27], s[6:7], 0x38
	v_and_b32_e32 v26, 7, v13
	v_lshrrev_b32_e32 v12, 3, v13
	v_cmp_gt_i32_e32 vcc, s38, v12
	s_waitcnt lgkmcnt(0)
	s_sub_i32 s18, s8, s30
	s_cmp_lt_i32 s70, s33
	s_cselect_b64 s[6:7], -1, 0
	s_cmp_lg_u32 s36, 0
	s_cselect_b64 s[48:49], -1, 0
	s_cmp_gt_i32 s38, 0
	s_cselect_b64 s[50:51], -1, 0
	s_add_u32 s12, s12, s2
	v_lshlrev_b32_e32 v27, 5, v12
	s_addc_u32 s13, s13, s3
	v_cmp_gt_u32_e64 s[2:3], s38, v26
	v_or_b32_e32 v28, 8, v26
	s_and_b64 s[52:53], vcc, s[2:3]
	v_cmp_gt_u32_e64 s[2:3], s38, v28
	v_or_b32_e32 v29, 16, v26
	v_or_b32_e32 v0, v27, v26
	s_and_b64 s[54:55], vcc, s[2:3]
	v_cmp_gt_u32_e64 s[2:3], s38, v29
	v_or_b32_e32 v30, 24, v26
	v_lshlrev_b32_e32 v31, 4, v0
	v_or_b32_e32 v0, v27, v28
	v_mov_b32_e32 v1, 0x4000
	s_mul_i32 s36, s38, s38
	s_and_b64 s[56:57], vcc, s[2:3]
	v_cmp_gt_u32_e64 s[2:3], s38, v30
	v_lshl_or_b32 v36, v0, 4, v1
	v_or_b32_e32 v0, v27, v29
	s_and_b64 s[58:59], vcc, s[2:3]
	v_lshl_or_b32 v37, v0, 4, v1
	v_or_b32_e32 v0, v27, v30
	s_and_b64 s[4:5], s[4:5], s[6:7]
	s_mul_i32 s6, s70, s36
	s_mov_b32 s8, 0
	v_lshl_or_b32 v38, v0, 4, v1
	v_or_b32_e32 v0, 0x400, v13
	s_movk_i32 s2, 0x700
	s_add_u32 s39, s24, 4
	v_add_u32_e32 v40, s6, v12
	s_mul_i32 s6, s70, s38
	v_cmp_gt_u32_e64 s[2:3], s2, v0
	s_addc_u32 s71, s25, 0
	v_add_u32_e32 v0, s6, v12
	s_mov_b32 s9, s8
	s_add_u32 s72, s22, 8
	v_mul_lo_u32 v41, s38, v0
	s_mov_b32 s10, s8
	s_mov_b32 s11, s8
	v_pk_mov_b32 v[0:1], s[8:9], s[8:9] op_sel:[0,1]
	v_cndmask_b32_e64 v14, 0, 1, s[4:5]
	s_mov_b32 s19, 2
	v_cmp_gt_u32_e64 s[0:1], 2, v13
	v_or_b32_e32 v32, 0x80, v31
	v_or_b32_e32 v33, 0x100, v31
	;; [unrolled: 1-line block ×4, first 2 shown]
	v_lshlrev_b32_e32 v39, 4, v13
	s_addc_u32 s73, s23, 0
	s_sub_i32 s74, 1, s31
	v_pk_mov_b32 v[2:3], s[10:11], s[10:11] op_sel:[0,1]
	v_cmp_ne_u32_e64 s[4:5], 1, v14
	v_mov_b32_e32 v15, 0
	v_cndmask_b32_e64 v42, 0, 1, s[48:49]
	v_cndmask_b32_e64 v43, 0, 1, s[50:51]
	v_mov_b32_e32 v44, s47
	v_mov_b32_e32 v45, 1
	s_branch .LBB81_17
.LBB81_14:                              ;   in Loop: Header=BB81_17 Depth=1
	ds_read2_b64 v[16:19], v38 offset1:1
	v_lshlrev_b64 v[20:21], 4, v[14:15]
	v_mov_b32_e32 v14, s43
	v_add_co_u32_e32 v20, vcc, s42, v20
	v_addc_co_u32_e32 v21, vcc, v14, v21, vcc
	s_waitcnt lgkmcnt(0)
	global_store_dwordx4 v[20:21], v[16:19], off
.LBB81_15:                              ;   in Loop: Header=BB81_17 Depth=1
	s_or_b64 exec, exec, s[8:9]
	s_add_i32 s19, s19, 1
.LBB81_16:                              ;   in Loop: Header=BB81_17 Depth=1
	s_min_i32 s8, s65, s37
	s_add_i32 s18, s19, s18
	s_add_i32 s19, s8, 2
	s_cmp_lt_i32 s65, s37
	s_barrier
	s_barrier
	s_cbranch_scc0 .LBB81_166
.LBB81_17:                              ; =>This Loop Header: Depth=1
                                        ;     Child Loop BB81_23 Depth 2
                                        ;       Child Loop BB81_28 Depth 3
                                        ;         Child Loop BB81_40 Depth 4
                                        ;         Child Loop BB81_45 Depth 4
	;; [unrolled: 1-line block ×8, first 2 shown]
                                        ;     Child Loop BB81_90 Depth 2
	s_and_saveexec_b64 s[6:7], s[0:1]
	s_cbranch_execz .LBB81_19
; %bb.18:                               ;   in Loop: Header=BB81_17 Depth=1
	ds_write_b8 v13, v15 offset:32768
.LBB81_19:                              ;   in Loop: Header=BB81_17 Depth=1
	s_or_b64 exec, exec, s[6:7]
	ds_write_b128 v39, v[0:3]
	ds_write_b128 v39, v[0:3] offset:4096
	ds_write_b128 v39, v[0:3] offset:8192
	;; [unrolled: 1-line block ×4, first 2 shown]
	s_and_saveexec_b64 s[6:7], s[2:3]
	s_xor_b64 s[6:7], exec, s[6:7]
	s_cbranch_execz .LBB81_21
; %bb.20:                               ;   in Loop: Header=BB81_17 Depth=1
	ds_write_b128 v39, v[0:3] offset:20480
	ds_write_b128 v39, v[0:3] offset:24576
	;; [unrolled: 1-line block ×3, first 2 shown]
.LBB81_21:                              ;   in Loop: Header=BB81_17 Depth=1
	s_or_b64 exec, exec, s[6:7]
	s_and_b64 vcc, exec, s[4:5]
	s_mov_b32 s65, s37
	s_waitcnt lgkmcnt(0)
	s_barrier
	s_cbranch_vccnz .LBB81_84
; %bb.22:                               ;   in Loop: Header=BB81_17 Depth=1
	s_cmp_lg_u32 s8, 0
	s_cselect_b64 s[10:11], -1, 0
	v_mov_b32_e32 v16, v41
	v_mov_b32_e32 v46, v40
	s_mov_b32 s9, s37
	s_mov_b32 s60, s70
.LBB81_23:                              ;   Parent Loop BB81_17 Depth=1
                                        ; =>  This Loop Header: Depth=2
                                        ;       Child Loop BB81_28 Depth 3
                                        ;         Child Loop BB81_40 Depth 4
                                        ;         Child Loop BB81_45 Depth 4
	;; [unrolled: 1-line block ×8, first 2 shown]
	s_ashr_i32 s61, s60, 31
	s_lshl_b64 s[62:63], s[60:61], 2
	s_add_u32 s6, s20, s62
	s_addc_u32 s7, s21, s63
	s_load_dword s6, s[6:7], 0x0
	s_and_b64 vcc, exec, s[10:11]
	s_waitcnt lgkmcnt(0)
	s_sub_i32 s6, s6, s28
	s_cbranch_vccz .LBB81_83
; %bb.24:                               ;   in Loop: Header=BB81_23 Depth=2
	s_add_u32 s64, s44, s62
	s_addc_u32 s65, s45, s63
	global_load_dword v14, v15, s[64:65]
	s_ashr_i32 s7, s6, 31
	s_waitcnt vmcnt(0)
	v_readfirstlane_b32 s47, v14
	s_cbranch_execnz .LBB81_26
.LBB81_25:                              ;   in Loop: Header=BB81_23 Depth=2
	s_ashr_i32 s7, s6, 31
	s_lshl_b64 s[64:65], s[6:7], 2
	s_add_u32 s64, s24, s64
	s_addc_u32 s65, s25, s65
	s_load_dword s47, s[64:65], 0x0
	s_waitcnt lgkmcnt(0)
	s_sub_i32 s47, s47, s29
.LBB81_26:                              ;   in Loop: Header=BB81_23 Depth=2
	s_lshl_b64 s[6:7], s[6:7], 2
	s_add_u32 s6, s39, s6
	s_addc_u32 s7, s71, s7
	s_load_dword s6, s[6:7], 0x0
	s_waitcnt lgkmcnt(0)
	s_sub_i32 s61, s6, s29
	s_cmp_ge_i32 s47, s61
	s_cbranch_scc1 .LBB81_80
; %bb.27:                               ;   in Loop: Header=BB81_23 Depth=2
	v_ashrrev_i32_e32 v17, 31, v16
	v_lshlrev_b64 v[18:19], 4, v[16:17]
	v_mov_b32_e32 v14, s73
	v_add_co_u32_e32 v18, vcc, s72, v18
	s_mul_i32 s6, s38, s47
	v_addc_co_u32_e32 v19, vcc, v14, v19, vcc
	v_add_u32_e32 v14, s6, v26
	v_mul_lo_u32 v17, s38, v14
	v_add_u32_e32 v14, s6, v28
	v_mul_lo_u32 v48, s38, v14
	v_add_u32_e32 v14, s6, v29
	s_mul_i32 s7, s36, s47
	v_mul_lo_u32 v50, s38, v14
	v_add_u32_e32 v14, s6, v30
	v_add_u32_e32 v47, s7, v26
	;; [unrolled: 1-line block ×4, first 2 shown]
	v_mul_lo_u32 v52, s38, v14
	v_add_u32_e32 v53, s7, v30
	s_mov_b32 s64, s47
.LBB81_28:                              ;   Parent Loop BB81_17 Depth=1
                                        ;     Parent Loop BB81_23 Depth=2
                                        ; =>    This Loop Header: Depth=3
                                        ;         Child Loop BB81_40 Depth 4
                                        ;         Child Loop BB81_45 Depth 4
	;; [unrolled: 1-line block ×8, first 2 shown]
	s_ashr_i32 s65, s64, 31
	s_lshl_b64 s[6:7], s[64:65], 2
	s_add_u32 s6, s26, s6
	s_addc_u32 s7, s27, s7
	s_load_dword s6, s[6:7], 0x0
	s_mov_b64 s[66:67], -1
                                        ; implicit-def: $sgpr65
                                        ; implicit-def: $sgpr75
	s_waitcnt lgkmcnt(0)
	s_sub_i32 s76, s6, s29
	s_cmp_lt_i32 s76, s8
	s_cselect_b64 s[6:7], -1, 0
	s_cmp_ge_i32 s76, s19
	s_cselect_b64 s[68:69], -1, 0
	s_or_b64 s[6:7], s[6:7], s[68:69]
	s_and_b64 vcc, exec, s[6:7]
                                        ; implicit-def: $sgpr6_sgpr7
	s_cbranch_vccz .LBB81_32
; %bb.29:                               ;   in Loop: Header=BB81_28 Depth=3
	s_mov_b64 s[6:7], -1
	s_andn2_b64 vcc, exec, s[68:69]
	s_mov_b32 s65, s9
	s_mov_b32 s75, s47
	s_cbranch_vccnz .LBB81_31
; %bb.30:                               ;   in Loop: Header=BB81_28 Depth=3
	s_min_i32 s65, s76, s9
	s_mov_b64 s[6:7], 0
	s_mov_b32 s75, s64
.LBB81_31:                              ;   in Loop: Header=BB81_28 Depth=3
	s_mov_b64 s[66:67], 0
.LBB81_32:                              ;   in Loop: Header=BB81_28 Depth=3
	s_andn2_b64 vcc, exec, s[66:67]
	s_cbranch_vccnz .LBB81_78
; %bb.33:                               ;   in Loop: Header=BB81_28 Depth=3
	s_sub_i32 s6, s76, s8
	v_mov_b32_e32 v14, s6
	v_lshl_or_b32 v54, s6, 10, v27
	ds_write_b8 v14, v45 offset:32768
	s_and_saveexec_b64 s[6:7], s[52:53]
	s_cbranch_execnz .LBB81_37
; %bb.34:                               ;   in Loop: Header=BB81_28 Depth=3
	s_or_b64 exec, exec, s[6:7]
	s_and_saveexec_b64 s[6:7], s[54:55]
	s_cbranch_execnz .LBB81_47
.LBB81_35:                              ;   in Loop: Header=BB81_28 Depth=3
	s_or_b64 exec, exec, s[6:7]
	s_and_saveexec_b64 s[6:7], s[56:57]
	s_cbranch_execnz .LBB81_57
.LBB81_36:                              ;   in Loop: Header=BB81_28 Depth=3
	s_or_b64 exec, exec, s[6:7]
	s_and_saveexec_b64 s[66:67], s[58:59]
	s_cbranch_execnz .LBB81_67
	s_branch .LBB81_77
.LBB81_37:                              ;   in Loop: Header=BB81_28 Depth=3
	s_andn2_b64 vcc, exec, s[48:49]
	s_cbranch_vccnz .LBB81_42
; %bb.38:                               ;   in Loop: Header=BB81_28 Depth=3
	v_pk_mov_b32 v[20:21], 0, 0
	s_mov_b64 s[66:67], 0
	s_andn2_b64 vcc, exec, s[50:51]
	v_pk_mov_b32 v[22:23], v[20:21], v[20:21] op_sel:[0,1]
	s_cbranch_vccnz .LBB81_41
; %bb.39:                               ;   in Loop: Header=BB81_28 Depth=3
	v_pk_mov_b32 v[20:21], 0, 0
	s_mov_b32 s65, 0
	v_mov_b32_e32 v24, v46
	v_pk_mov_b32 v[22:23], v[20:21], v[20:21] op_sel:[0,1]
.LBB81_40:                              ;   Parent Loop BB81_17 Depth=1
                                        ;     Parent Loop BB81_23 Depth=2
                                        ;       Parent Loop BB81_28 Depth=3
                                        ; =>      This Inner Loop Header: Depth=4
	v_ashrrev_i32_e32 v25, 31, v24
	v_lshlrev_b64 v[56:57], 4, v[24:25]
	v_mov_b32_e32 v55, s23
	v_add_u32_e32 v14, s65, v17
	v_add_co_u32_e32 v56, vcc, s22, v56
	v_lshlrev_b64 v[58:59], 4, v[14:15]
	v_addc_co_u32_e32 v57, vcc, v55, v57, vcc
	v_add_co_u32_e32 v60, vcc, s46, v58
	v_addc_co_u32_e32 v61, vcc, v44, v59, vcc
	global_load_dwordx4 v[56:59], v[56:57], off
	s_nop 0
	global_load_dwordx4 v[60:63], v[60:61], off
	s_add_i32 s65, s65, 1
	v_add_u32_e32 v24, s38, v24
	s_cmp_lg_u32 s38, s65
	s_waitcnt vmcnt(0)
	v_fmac_f64_e32 v[20:21], v[56:57], v[60:61]
	v_fmac_f64_e32 v[22:23], v[58:59], v[60:61]
	v_fma_f64 v[20:21], -v[58:59], v[62:63], v[20:21]
	v_fmac_f64_e32 v[22:23], v[56:57], v[62:63]
	s_cbranch_scc1 .LBB81_40
.LBB81_41:                              ;   in Loop: Header=BB81_28 Depth=3
	s_andn2_b64 vcc, exec, s[66:67]
	s_cbranch_vccz .LBB81_43
	s_branch .LBB81_46
.LBB81_42:                              ;   in Loop: Header=BB81_28 Depth=3
                                        ; implicit-def: $vgpr20_vgpr21
                                        ; implicit-def: $vgpr22_vgpr23
.LBB81_43:                              ;   in Loop: Header=BB81_28 Depth=3
	v_pk_mov_b32 v[20:21], 0, 0
	s_andn2_b64 vcc, exec, s[50:51]
	v_pk_mov_b32 v[22:23], v[20:21], v[20:21] op_sel:[0,1]
	s_cbranch_vccnz .LBB81_46
; %bb.44:                               ;   in Loop: Header=BB81_28 Depth=3
	v_pk_mov_b32 v[20:21], 0, 0
	v_pk_mov_b32 v[24:25], v[18:19], v[18:19] op_sel:[0,1]
	v_mov_b32_e32 v14, v47
	s_mov_b32 s65, s38
	v_pk_mov_b32 v[22:23], v[20:21], v[20:21] op_sel:[0,1]
.LBB81_45:                              ;   Parent Loop BB81_17 Depth=1
                                        ;     Parent Loop BB81_23 Depth=2
                                        ;       Parent Loop BB81_28 Depth=3
                                        ; =>      This Inner Loop Header: Depth=4
	v_lshlrev_b64 v[60:61], 4, v[14:15]
	v_add_co_u32_e32 v60, vcc, s46, v60
	v_addc_co_u32_e32 v61, vcc, v44, v61, vcc
	global_load_dwordx4 v[56:59], v[24:25], off offset:-8
	s_add_i32 s65, s65, -1
	global_load_dwordx4 v[60:63], v[60:61], off
	v_add_co_u32_e32 v24, vcc, 16, v24
	v_add_u32_e32 v14, s38, v14
	v_addc_co_u32_e32 v25, vcc, 0, v25, vcc
	s_cmp_eq_u32 s65, 0
	s_waitcnt vmcnt(0)
	v_fmac_f64_e32 v[20:21], v[56:57], v[60:61]
	v_fmac_f64_e32 v[22:23], v[58:59], v[60:61]
	v_fma_f64 v[20:21], -v[58:59], v[62:63], v[20:21]
	v_fmac_f64_e32 v[22:23], v[56:57], v[62:63]
	s_cbranch_scc0 .LBB81_45
.LBB81_46:                              ;   in Loop: Header=BB81_28 Depth=3
	v_or_b32_e32 v14, v54, v26
	v_lshlrev_b32_e32 v14, 4, v14
	ds_read_b128 v[56:59], v14
	s_waitcnt vmcnt(0) lgkmcnt(0)
	v_fmac_f64_e32 v[56:57], v[4:5], v[20:21]
	v_fmac_f64_e32 v[58:59], v[8:9], v[20:21]
	v_fma_f64 v[56:57], -v[8:9], v[22:23], v[56:57]
	v_fmac_f64_e32 v[58:59], v[4:5], v[22:23]
	ds_write_b128 v14, v[56:59]
	s_or_b64 exec, exec, s[6:7]
	s_and_saveexec_b64 s[6:7], s[54:55]
	s_cbranch_execz .LBB81_35
.LBB81_47:                              ;   in Loop: Header=BB81_28 Depth=3
	s_andn2_b64 vcc, exec, s[48:49]
	s_cbranch_vccnz .LBB81_52
; %bb.48:                               ;   in Loop: Header=BB81_28 Depth=3
	v_pk_mov_b32 v[20:21], 0, 0
	s_mov_b64 s[66:67], 0
	s_andn2_b64 vcc, exec, s[50:51]
	v_pk_mov_b32 v[22:23], v[20:21], v[20:21] op_sel:[0,1]
	s_cbranch_vccnz .LBB81_51
; %bb.49:                               ;   in Loop: Header=BB81_28 Depth=3
	v_pk_mov_b32 v[20:21], 0, 0
	s_mov_b32 s65, 0
	v_mov_b32_e32 v24, v46
	v_pk_mov_b32 v[22:23], v[20:21], v[20:21] op_sel:[0,1]
.LBB81_50:                              ;   Parent Loop BB81_17 Depth=1
                                        ;     Parent Loop BB81_23 Depth=2
                                        ;       Parent Loop BB81_28 Depth=3
                                        ; =>      This Inner Loop Header: Depth=4
	v_ashrrev_i32_e32 v25, 31, v24
	v_lshlrev_b64 v[56:57], 4, v[24:25]
	v_mov_b32_e32 v55, s23
	v_add_u32_e32 v14, s65, v48
	v_add_co_u32_e32 v56, vcc, s22, v56
	v_lshlrev_b64 v[58:59], 4, v[14:15]
	v_addc_co_u32_e32 v57, vcc, v55, v57, vcc
	v_add_co_u32_e32 v60, vcc, s46, v58
	v_addc_co_u32_e32 v61, vcc, v44, v59, vcc
	global_load_dwordx4 v[56:59], v[56:57], off
	s_nop 0
	global_load_dwordx4 v[60:63], v[60:61], off
	s_add_i32 s65, s65, 1
	v_add_u32_e32 v24, s38, v24
	s_cmp_eq_u32 s38, s65
	s_waitcnt vmcnt(0)
	v_fmac_f64_e32 v[20:21], v[56:57], v[60:61]
	v_fmac_f64_e32 v[22:23], v[58:59], v[60:61]
	v_fma_f64 v[20:21], -v[58:59], v[62:63], v[20:21]
	v_fmac_f64_e32 v[22:23], v[56:57], v[62:63]
	s_cbranch_scc0 .LBB81_50
.LBB81_51:                              ;   in Loop: Header=BB81_28 Depth=3
	s_andn2_b64 vcc, exec, s[66:67]
	s_cbranch_vccz .LBB81_53
	s_branch .LBB81_56
.LBB81_52:                              ;   in Loop: Header=BB81_28 Depth=3
                                        ; implicit-def: $vgpr20_vgpr21
                                        ; implicit-def: $vgpr22_vgpr23
.LBB81_53:                              ;   in Loop: Header=BB81_28 Depth=3
	v_pk_mov_b32 v[20:21], 0, 0
	s_andn2_b64 vcc, exec, s[50:51]
	v_pk_mov_b32 v[22:23], v[20:21], v[20:21] op_sel:[0,1]
	s_cbranch_vccnz .LBB81_56
; %bb.54:                               ;   in Loop: Header=BB81_28 Depth=3
	v_pk_mov_b32 v[20:21], 0, 0
	v_pk_mov_b32 v[24:25], v[18:19], v[18:19] op_sel:[0,1]
	v_mov_b32_e32 v14, v49
	s_mov_b32 s65, s38
	v_pk_mov_b32 v[22:23], v[20:21], v[20:21] op_sel:[0,1]
.LBB81_55:                              ;   Parent Loop BB81_17 Depth=1
                                        ;     Parent Loop BB81_23 Depth=2
                                        ;       Parent Loop BB81_28 Depth=3
                                        ; =>      This Inner Loop Header: Depth=4
	v_lshlrev_b64 v[60:61], 4, v[14:15]
	v_add_co_u32_e32 v60, vcc, s46, v60
	v_addc_co_u32_e32 v61, vcc, v44, v61, vcc
	global_load_dwordx4 v[56:59], v[24:25], off offset:-8
	s_add_i32 s65, s65, -1
	global_load_dwordx4 v[60:63], v[60:61], off
	v_add_co_u32_e32 v24, vcc, 16, v24
	v_add_u32_e32 v14, s38, v14
	v_addc_co_u32_e32 v25, vcc, 0, v25, vcc
	s_cmp_eq_u32 s65, 0
	s_waitcnt vmcnt(0)
	v_fmac_f64_e32 v[20:21], v[56:57], v[60:61]
	v_fmac_f64_e32 v[22:23], v[58:59], v[60:61]
	v_fma_f64 v[20:21], -v[58:59], v[62:63], v[20:21]
	v_fmac_f64_e32 v[22:23], v[56:57], v[62:63]
	s_cbranch_scc0 .LBB81_55
.LBB81_56:                              ;   in Loop: Header=BB81_28 Depth=3
	v_add_lshl_u32 v14, v54, v26, 4
	ds_read_b128 v[56:59], v14 offset:128
	s_waitcnt vmcnt(0) lgkmcnt(0)
	v_fmac_f64_e32 v[56:57], v[4:5], v[20:21]
	v_fmac_f64_e32 v[58:59], v[8:9], v[20:21]
	v_fma_f64 v[56:57], -v[8:9], v[22:23], v[56:57]
	v_fmac_f64_e32 v[58:59], v[4:5], v[22:23]
	ds_write_b128 v14, v[56:59] offset:128
	s_or_b64 exec, exec, s[6:7]
	s_and_saveexec_b64 s[6:7], s[56:57]
	s_cbranch_execz .LBB81_36
.LBB81_57:                              ;   in Loop: Header=BB81_28 Depth=3
	s_andn2_b64 vcc, exec, s[48:49]
	s_cbranch_vccnz .LBB81_62
; %bb.58:                               ;   in Loop: Header=BB81_28 Depth=3
	v_pk_mov_b32 v[20:21], 0, 0
	s_mov_b64 s[66:67], 0
	s_andn2_b64 vcc, exec, s[50:51]
	v_pk_mov_b32 v[22:23], v[20:21], v[20:21] op_sel:[0,1]
	s_cbranch_vccnz .LBB81_61
; %bb.59:                               ;   in Loop: Header=BB81_28 Depth=3
	v_pk_mov_b32 v[20:21], 0, 0
	s_mov_b32 s65, 0
	v_mov_b32_e32 v24, v46
	v_pk_mov_b32 v[22:23], v[20:21], v[20:21] op_sel:[0,1]
.LBB81_60:                              ;   Parent Loop BB81_17 Depth=1
                                        ;     Parent Loop BB81_23 Depth=2
                                        ;       Parent Loop BB81_28 Depth=3
                                        ; =>      This Inner Loop Header: Depth=4
	v_ashrrev_i32_e32 v25, 31, v24
	v_lshlrev_b64 v[56:57], 4, v[24:25]
	v_mov_b32_e32 v55, s23
	v_add_u32_e32 v14, s65, v50
	v_add_co_u32_e32 v56, vcc, s22, v56
	v_lshlrev_b64 v[58:59], 4, v[14:15]
	v_addc_co_u32_e32 v57, vcc, v55, v57, vcc
	v_add_co_u32_e32 v60, vcc, s46, v58
	v_addc_co_u32_e32 v61, vcc, v44, v59, vcc
	global_load_dwordx4 v[56:59], v[56:57], off
	s_nop 0
	global_load_dwordx4 v[60:63], v[60:61], off
	s_add_i32 s65, s65, 1
	v_add_u32_e32 v24, s38, v24
	s_cmp_eq_u32 s38, s65
	s_waitcnt vmcnt(0)
	v_fmac_f64_e32 v[20:21], v[56:57], v[60:61]
	v_fmac_f64_e32 v[22:23], v[58:59], v[60:61]
	v_fma_f64 v[20:21], -v[58:59], v[62:63], v[20:21]
	v_fmac_f64_e32 v[22:23], v[56:57], v[62:63]
	s_cbranch_scc0 .LBB81_60
.LBB81_61:                              ;   in Loop: Header=BB81_28 Depth=3
	s_andn2_b64 vcc, exec, s[66:67]
	s_cbranch_vccz .LBB81_63
	s_branch .LBB81_66
.LBB81_62:                              ;   in Loop: Header=BB81_28 Depth=3
                                        ; implicit-def: $vgpr20_vgpr21
                                        ; implicit-def: $vgpr22_vgpr23
.LBB81_63:                              ;   in Loop: Header=BB81_28 Depth=3
	v_pk_mov_b32 v[20:21], 0, 0
	s_andn2_b64 vcc, exec, s[50:51]
	v_pk_mov_b32 v[22:23], v[20:21], v[20:21] op_sel:[0,1]
	s_cbranch_vccnz .LBB81_66
; %bb.64:                               ;   in Loop: Header=BB81_28 Depth=3
	v_pk_mov_b32 v[20:21], 0, 0
	v_pk_mov_b32 v[24:25], v[18:19], v[18:19] op_sel:[0,1]
	v_mov_b32_e32 v14, v51
	s_mov_b32 s65, s38
	v_pk_mov_b32 v[22:23], v[20:21], v[20:21] op_sel:[0,1]
.LBB81_65:                              ;   Parent Loop BB81_17 Depth=1
                                        ;     Parent Loop BB81_23 Depth=2
                                        ;       Parent Loop BB81_28 Depth=3
                                        ; =>      This Inner Loop Header: Depth=4
	v_lshlrev_b64 v[60:61], 4, v[14:15]
	v_add_co_u32_e32 v60, vcc, s46, v60
	v_addc_co_u32_e32 v61, vcc, v44, v61, vcc
	global_load_dwordx4 v[56:59], v[24:25], off offset:-8
	s_add_i32 s65, s65, -1
	global_load_dwordx4 v[60:63], v[60:61], off
	v_add_co_u32_e32 v24, vcc, 16, v24
	v_add_u32_e32 v14, s38, v14
	v_addc_co_u32_e32 v25, vcc, 0, v25, vcc
	s_cmp_eq_u32 s65, 0
	s_waitcnt vmcnt(0)
	v_fmac_f64_e32 v[20:21], v[56:57], v[60:61]
	v_fmac_f64_e32 v[22:23], v[58:59], v[60:61]
	v_fma_f64 v[20:21], -v[58:59], v[62:63], v[20:21]
	v_fmac_f64_e32 v[22:23], v[56:57], v[62:63]
	s_cbranch_scc0 .LBB81_65
.LBB81_66:                              ;   in Loop: Header=BB81_28 Depth=3
	v_add_lshl_u32 v14, v54, v26, 4
	ds_read_b128 v[56:59], v14 offset:256
	s_waitcnt vmcnt(0) lgkmcnt(0)
	v_fmac_f64_e32 v[56:57], v[4:5], v[20:21]
	v_fmac_f64_e32 v[58:59], v[8:9], v[20:21]
	v_fma_f64 v[56:57], -v[8:9], v[22:23], v[56:57]
	v_fmac_f64_e32 v[58:59], v[4:5], v[22:23]
	ds_write_b128 v14, v[56:59] offset:256
	s_or_b64 exec, exec, s[6:7]
	s_and_saveexec_b64 s[66:67], s[58:59]
	s_cbranch_execz .LBB81_77
.LBB81_67:                              ;   in Loop: Header=BB81_28 Depth=3
	s_andn2_b64 vcc, exec, s[48:49]
	v_cmp_ne_u32_e64 s[6:7], 1, v43
	s_cbranch_vccnz .LBB81_72
; %bb.68:                               ;   in Loop: Header=BB81_28 Depth=3
	v_pk_mov_b32 v[20:21], 0, 0
	s_mov_b64 s[68:69], 0
	s_and_b64 vcc, exec, s[6:7]
	v_pk_mov_b32 v[22:23], v[20:21], v[20:21] op_sel:[0,1]
	s_cbranch_vccnz .LBB81_71
; %bb.69:                               ;   in Loop: Header=BB81_28 Depth=3
	v_pk_mov_b32 v[20:21], 0, 0
	s_mov_b32 s65, 0
	v_mov_b32_e32 v24, v46
	v_pk_mov_b32 v[22:23], v[20:21], v[20:21] op_sel:[0,1]
.LBB81_70:                              ;   Parent Loop BB81_17 Depth=1
                                        ;     Parent Loop BB81_23 Depth=2
                                        ;       Parent Loop BB81_28 Depth=3
                                        ; =>      This Inner Loop Header: Depth=4
	v_ashrrev_i32_e32 v25, 31, v24
	v_lshlrev_b64 v[56:57], 4, v[24:25]
	v_mov_b32_e32 v55, s23
	v_add_u32_e32 v14, s65, v52
	v_add_co_u32_e32 v56, vcc, s22, v56
	v_lshlrev_b64 v[58:59], 4, v[14:15]
	v_addc_co_u32_e32 v57, vcc, v55, v57, vcc
	v_add_co_u32_e32 v60, vcc, s46, v58
	v_addc_co_u32_e32 v61, vcc, v44, v59, vcc
	global_load_dwordx4 v[56:59], v[56:57], off
	s_nop 0
	global_load_dwordx4 v[60:63], v[60:61], off
	s_add_i32 s65, s65, 1
	v_add_u32_e32 v24, s38, v24
	s_cmp_eq_u32 s38, s65
	s_waitcnt vmcnt(0)
	v_fmac_f64_e32 v[20:21], v[56:57], v[60:61]
	v_fmac_f64_e32 v[22:23], v[58:59], v[60:61]
	v_fma_f64 v[20:21], -v[58:59], v[62:63], v[20:21]
	v_fmac_f64_e32 v[22:23], v[56:57], v[62:63]
	s_cbranch_scc0 .LBB81_70
.LBB81_71:                              ;   in Loop: Header=BB81_28 Depth=3
	s_andn2_b64 vcc, exec, s[68:69]
	s_cbranch_vccz .LBB81_73
	s_branch .LBB81_76
.LBB81_72:                              ;   in Loop: Header=BB81_28 Depth=3
                                        ; implicit-def: $vgpr20_vgpr21
                                        ; implicit-def: $vgpr22_vgpr23
.LBB81_73:                              ;   in Loop: Header=BB81_28 Depth=3
	v_pk_mov_b32 v[20:21], 0, 0
	s_and_b64 vcc, exec, s[6:7]
	v_pk_mov_b32 v[22:23], v[20:21], v[20:21] op_sel:[0,1]
	s_cbranch_vccnz .LBB81_76
; %bb.74:                               ;   in Loop: Header=BB81_28 Depth=3
	v_pk_mov_b32 v[20:21], 0, 0
	v_pk_mov_b32 v[24:25], v[18:19], v[18:19] op_sel:[0,1]
	v_mov_b32_e32 v14, v53
	s_mov_b32 s6, s38
	v_pk_mov_b32 v[22:23], v[20:21], v[20:21] op_sel:[0,1]
.LBB81_75:                              ;   Parent Loop BB81_17 Depth=1
                                        ;     Parent Loop BB81_23 Depth=2
                                        ;       Parent Loop BB81_28 Depth=3
                                        ; =>      This Inner Loop Header: Depth=4
	v_lshlrev_b64 v[60:61], 4, v[14:15]
	v_add_co_u32_e32 v60, vcc, s46, v60
	v_addc_co_u32_e32 v61, vcc, v44, v61, vcc
	global_load_dwordx4 v[56:59], v[24:25], off offset:-8
	s_add_i32 s6, s6, -1
	global_load_dwordx4 v[60:63], v[60:61], off
	v_add_co_u32_e32 v24, vcc, 16, v24
	v_add_u32_e32 v14, s38, v14
	v_addc_co_u32_e32 v25, vcc, 0, v25, vcc
	s_cmp_eq_u32 s6, 0
	s_waitcnt vmcnt(0)
	v_fmac_f64_e32 v[20:21], v[56:57], v[60:61]
	v_fmac_f64_e32 v[22:23], v[58:59], v[60:61]
	v_fma_f64 v[20:21], -v[58:59], v[62:63], v[20:21]
	v_fmac_f64_e32 v[22:23], v[56:57], v[62:63]
	s_cbranch_scc0 .LBB81_75
.LBB81_76:                              ;   in Loop: Header=BB81_28 Depth=3
	v_add_lshl_u32 v14, v54, v26, 4
	ds_read_b128 v[54:57], v14 offset:384
	s_waitcnt vmcnt(0) lgkmcnt(0)
	v_fmac_f64_e32 v[54:55], v[4:5], v[20:21]
	v_fmac_f64_e32 v[56:57], v[8:9], v[20:21]
	v_fma_f64 v[54:55], -v[8:9], v[22:23], v[54:55]
	v_fmac_f64_e32 v[56:57], v[4:5], v[22:23]
	ds_write_b128 v14, v[54:57] offset:384
.LBB81_77:                              ;   in Loop: Header=BB81_28 Depth=3
	s_or_b64 exec, exec, s[66:67]
	s_mov_b64 s[6:7], -1
	s_mov_b32 s65, s9
	s_mov_b32 s75, s47
	s_waitcnt lgkmcnt(0)
	s_barrier
.LBB81_78:                              ;   in Loop: Header=BB81_28 Depth=3
	s_add_i32 s64, s64, 1
	s_cmp_lt_i32 s64, s61
	s_cselect_b64 s[66:67], -1, 0
	s_and_b64 s[6:7], s[6:7], s[66:67]
	v_add_u32_e32 v17, s36, v17
	v_add_u32_e32 v47, s36, v47
	;; [unrolled: 1-line block ×8, first 2 shown]
	s_and_b64 vcc, exec, s[6:7]
	s_cbranch_vccz .LBB81_81
; %bb.79:                               ;   in Loop: Header=BB81_28 Depth=3
	s_mov_b32 s9, s65
	s_mov_b32 s47, s75
	s_branch .LBB81_28
.LBB81_80:                              ;   in Loop: Header=BB81_23 Depth=2
	s_mov_b32 s65, s9
	s_mov_b32 s75, s47
.LBB81_81:                              ;   in Loop: Header=BB81_23 Depth=2
	s_add_u32 s6, s44, s62
	s_addc_u32 s7, s45, s63
	s_add_i32 s60, s60, 1
	v_mov_b32_e32 v14, s75
	v_add_u32_e32 v46, s36, v46
	s_cmp_lt_i32 s60, s33
	v_add_u32_e32 v16, s36, v16
	global_store_dword v15, v14, s[6:7]
	s_cbranch_scc0 .LBB81_84
; %bb.82:                               ;   in Loop: Header=BB81_23 Depth=2
	s_mov_b32 s9, s65
	s_branch .LBB81_23
.LBB81_83:                              ;   in Loop: Header=BB81_23 Depth=2
                                        ; implicit-def: $sgpr47
	s_branch .LBB81_25
.LBB81_84:                              ;   in Loop: Header=BB81_17 Depth=1
	s_andn2_b64 vcc, exec, s[34:35]
	s_cbranch_vccnz .LBB81_116
; %bb.85:                               ;   in Loop: Header=BB81_17 Depth=1
	s_load_dwordx2 s[10:11], s[12:13], 0x0
	s_waitcnt lgkmcnt(0)
	s_cmp_ge_i32 s10, s11
	s_cbranch_scc1 .LBB81_116
; %bb.86:                               ;   in Loop: Header=BB81_17 Depth=1
	s_sub_i32 s6, s10, s31
	s_mul_i32 s7, s38, s6
	v_add_u32_e32 v14, s7, v26
	v_mul_lo_u32 v16, s38, v14
	v_add_u32_e32 v14, s7, v28
	v_mul_lo_u32 v17, s38, v14
	v_add_u32_e32 v14, s7, v29
	v_mul_lo_u32 v18, s38, v14
	v_add_u32_e32 v14, s7, v30
	s_ashr_i32 s7, s6, 31
	s_sub_i32 s9, s11, s31
	s_add_i32 s47, s74, s10
	s_lshl_b64 s[10:11], s[6:7], 2
	s_add_u32 s10, s14, s10
	v_mul_lo_u32 v19, s38, v14
	s_addc_u32 s11, s15, s11
	v_mov_b32_e32 v20, v12
	s_branch .LBB81_90
.LBB81_87:                              ;   in Loop: Header=BB81_90 Depth=2
	v_lshlrev_b64 v[22:23], 4, v[14:15]
	v_mov_b32_e32 v14, s17
	v_add_co_u32_e32 v22, vcc, s16, v22
	v_addc_co_u32_e32 v23, vcc, v14, v23, vcc
	global_load_dwordx4 v[22:25], v[22:23], off
	v_add_lshl_u32 v14, v21, v26, 4
	ds_read_b128 v[46:49], v14 offset:384
	s_waitcnt vmcnt(0) lgkmcnt(0)
	v_fmac_f64_e32 v[46:47], v[10:11], v[22:23]
	v_fmac_f64_e32 v[48:49], v[6:7], v[22:23]
	v_fma_f64 v[46:47], -v[6:7], v[24:25], v[46:47]
	v_fmac_f64_e32 v[48:49], v[10:11], v[24:25]
	ds_write_b128 v14, v[46:49] offset:384
.LBB81_88:                              ;   in Loop: Header=BB81_90 Depth=2
	s_or_b64 exec, exec, s[60:61]
	s_mov_b64 s[60:61], -1
	s_mov_b32 s7, s65
	s_waitcnt lgkmcnt(0)
	s_barrier
.LBB81_89:                              ;   in Loop: Header=BB81_90 Depth=2
	s_add_i32 s6, s6, 1
	s_cmp_lt_i32 s47, s9
	s_cselect_b64 s[62:63], -1, 0
	s_and_b64 s[60:61], s[60:61], s[62:63]
	s_add_i32 s47, s47, 1
	s_add_u32 s10, s10, 4
	v_add_u32_e32 v20, s36, v20
	s_addc_u32 s11, s11, 0
	s_mov_b32 s65, s7
	s_and_b64 vcc, exec, s[60:61]
	s_cbranch_vccz .LBB81_116
.LBB81_90:                              ;   Parent Loop BB81_17 Depth=1
                                        ; =>  This Inner Loop Header: Depth=2
	s_load_dword s7, s[10:11], 0x0
	s_waitcnt lgkmcnt(0)
	s_sub_i32 s64, s7, s31
	s_cmp_lt_i32 s64, s8
	s_cselect_b64 s[62:63], -1, 0
	s_cmp_lt_i32 s64, s19
	s_cselect_b64 s[60:61], -1, 0
	s_cmp_ge_i32 s64, s19
	s_cselect_b64 s[66:67], -1, 0
	s_or_b64 s[66:67], s[62:63], s[66:67]
	s_mov_b64 s[62:63], -1
	s_and_b64 vcc, exec, s[66:67]
                                        ; implicit-def: $sgpr7
	s_cbranch_vccz .LBB81_92
; %bb.91:                               ;   in Loop: Header=BB81_90 Depth=2
	s_min_i32 s7, s64, s65
	s_and_b64 s[62:63], s[60:61], exec
	s_cselect_b32 s7, s65, s7
	s_mov_b64 s[62:63], 0
.LBB81_92:                              ;   in Loop: Header=BB81_90 Depth=2
	s_andn2_b64 vcc, exec, s[62:63]
	s_cbranch_vccnz .LBB81_89
; %bb.93:                               ;   in Loop: Header=BB81_90 Depth=2
	s_sub_i32 s7, s64, s8
	v_mov_b32_e32 v14, s7
	s_mul_i32 s60, s6, s38
	ds_write_b8 v14, v45 offset:32768
	v_add_u32_e32 v14, s60, v12
	v_mul_lo_u32 v22, v14, s38
	v_lshl_or_b32 v21, s7, 10, v27
	s_and_saveexec_b64 s[60:61], s[52:53]
	s_cbranch_execnz .LBB81_97
; %bb.94:                               ;   in Loop: Header=BB81_90 Depth=2
	s_or_b64 exec, exec, s[60:61]
	s_and_saveexec_b64 s[60:61], s[54:55]
	s_cbranch_execnz .LBB81_101
.LBB81_95:                              ;   in Loop: Header=BB81_90 Depth=2
	s_or_b64 exec, exec, s[60:61]
	s_and_saveexec_b64 s[60:61], s[56:57]
	s_cbranch_execnz .LBB81_105
.LBB81_96:                              ;   in Loop: Header=BB81_90 Depth=2
	s_or_b64 exec, exec, s[60:61]
	s_and_saveexec_b64 s[60:61], s[58:59]
	s_cbranch_execz .LBB81_88
	s_branch .LBB81_109
.LBB81_97:                              ;   in Loop: Header=BB81_90 Depth=2
	s_and_b64 vcc, exec, s[48:49]
	s_cbranch_vccz .LBB81_111
; %bb.98:                               ;   in Loop: Header=BB81_90 Depth=2
	v_add_u32_e32 v14, v16, v20
	s_cbranch_execnz .LBB81_100
.LBB81_99:                              ;   in Loop: Header=BB81_90 Depth=2
	v_add_u32_e32 v14, v22, v26
.LBB81_100:                             ;   in Loop: Header=BB81_90 Depth=2
	v_lshlrev_b64 v[24:25], 4, v[14:15]
	v_mov_b32_e32 v14, s17
	v_add_co_u32_e32 v24, vcc, s16, v24
	v_addc_co_u32_e32 v25, vcc, v14, v25, vcc
	global_load_dwordx4 v[46:49], v[24:25], off
	v_or_b32_e32 v14, v21, v26
	v_lshlrev_b32_e32 v14, 4, v14
	ds_read_b128 v[50:53], v14
	s_waitcnt vmcnt(0) lgkmcnt(0)
	v_fmac_f64_e32 v[50:51], v[10:11], v[46:47]
	v_fmac_f64_e32 v[52:53], v[6:7], v[46:47]
	v_fma_f64 v[50:51], -v[6:7], v[48:49], v[50:51]
	v_fmac_f64_e32 v[52:53], v[10:11], v[48:49]
	ds_write_b128 v14, v[50:53]
	s_or_b64 exec, exec, s[60:61]
	s_and_saveexec_b64 s[60:61], s[54:55]
	s_cbranch_execz .LBB81_95
.LBB81_101:                             ;   in Loop: Header=BB81_90 Depth=2
	s_andn2_b64 vcc, exec, s[48:49]
	s_cbranch_vccnz .LBB81_112
; %bb.102:                              ;   in Loop: Header=BB81_90 Depth=2
	v_add_u32_e32 v14, v17, v20
	s_cbranch_execnz .LBB81_104
.LBB81_103:                             ;   in Loop: Header=BB81_90 Depth=2
	v_add_u32_e32 v14, v22, v28
.LBB81_104:                             ;   in Loop: Header=BB81_90 Depth=2
	v_lshlrev_b64 v[24:25], 4, v[14:15]
	v_mov_b32_e32 v14, s17
	v_add_co_u32_e32 v24, vcc, s16, v24
	v_addc_co_u32_e32 v25, vcc, v14, v25, vcc
	global_load_dwordx4 v[46:49], v[24:25], off
	v_add_lshl_u32 v14, v21, v26, 4
	ds_read_b128 v[50:53], v14 offset:128
	s_waitcnt vmcnt(0) lgkmcnt(0)
	v_fmac_f64_e32 v[50:51], v[10:11], v[46:47]
	v_fmac_f64_e32 v[52:53], v[6:7], v[46:47]
	v_fma_f64 v[50:51], -v[6:7], v[48:49], v[50:51]
	v_fmac_f64_e32 v[52:53], v[10:11], v[48:49]
	ds_write_b128 v14, v[50:53] offset:128
	s_or_b64 exec, exec, s[60:61]
	s_and_saveexec_b64 s[60:61], s[56:57]
	s_cbranch_execz .LBB81_96
.LBB81_105:                             ;   in Loop: Header=BB81_90 Depth=2
	s_andn2_b64 vcc, exec, s[48:49]
	s_cbranch_vccnz .LBB81_113
; %bb.106:                              ;   in Loop: Header=BB81_90 Depth=2
	v_add_u32_e32 v14, v18, v20
	s_cbranch_execnz .LBB81_108
.LBB81_107:                             ;   in Loop: Header=BB81_90 Depth=2
	v_add_u32_e32 v14, v22, v29
.LBB81_108:                             ;   in Loop: Header=BB81_90 Depth=2
	v_lshlrev_b64 v[24:25], 4, v[14:15]
	v_mov_b32_e32 v14, s17
	v_add_co_u32_e32 v24, vcc, s16, v24
	v_addc_co_u32_e32 v25, vcc, v14, v25, vcc
	global_load_dwordx4 v[46:49], v[24:25], off
	v_add_lshl_u32 v14, v21, v26, 4
	ds_read_b128 v[50:53], v14 offset:256
	s_waitcnt vmcnt(0) lgkmcnt(0)
	v_fmac_f64_e32 v[50:51], v[10:11], v[46:47]
	v_fmac_f64_e32 v[52:53], v[6:7], v[46:47]
	v_fma_f64 v[50:51], -v[6:7], v[48:49], v[50:51]
	v_fmac_f64_e32 v[52:53], v[10:11], v[48:49]
	ds_write_b128 v14, v[50:53] offset:256
	s_or_b64 exec, exec, s[60:61]
	s_and_saveexec_b64 s[60:61], s[58:59]
	s_cbranch_execz .LBB81_88
.LBB81_109:                             ;   in Loop: Header=BB81_90 Depth=2
	s_andn2_b64 vcc, exec, s[48:49]
	s_cbranch_vccnz .LBB81_114
; %bb.110:                              ;   in Loop: Header=BB81_90 Depth=2
	v_add_u32_e32 v14, v19, v20
	s_cbranch_execnz .LBB81_87
	s_branch .LBB81_115
.LBB81_111:                             ;   in Loop: Header=BB81_90 Depth=2
	s_branch .LBB81_99
.LBB81_112:                             ;   in Loop: Header=BB81_90 Depth=2
	s_branch .LBB81_103
.LBB81_113:                             ;   in Loop: Header=BB81_90 Depth=2
	s_branch .LBB81_107
.LBB81_114:                             ;   in Loop: Header=BB81_90 Depth=2
.LBB81_115:                             ;   in Loop: Header=BB81_90 Depth=2
	v_add_u32_e32 v14, v22, v30
	s_branch .LBB81_87
.LBB81_116:                             ;   in Loop: Header=BB81_17 Depth=1
	s_barrier
	ds_read_u8 v14, v15 offset:32768
	s_add_i32 s10, s8, s30
	s_mov_b32 s19, 0
	s_waitcnt lgkmcnt(0)
	v_cmp_eq_u32_e32 vcc, 0, v14
	s_cbranch_vccnz .LBB81_138
; %bb.117:                              ;   in Loop: Header=BB81_17 Depth=1
	s_ashr_i32 s19, s18, 31
	s_lshl_b64 s[6:7], s[18:19], 2
	s_add_u32 s6, s40, s6
	s_addc_u32 s7, s41, s7
	v_mov_b32_e32 v14, s10
	s_mul_i32 s11, s18, s38
	global_store_dword v15, v14, s[6:7]
	v_add_u32_e32 v14, s11, v12
	v_mul_lo_u32 v16, v14, s38
	s_and_saveexec_b64 s[6:7], s[52:53]
	s_cbranch_execnz .LBB81_121
; %bb.118:                              ;   in Loop: Header=BB81_17 Depth=1
	s_or_b64 exec, exec, s[6:7]
	s_and_saveexec_b64 s[6:7], s[54:55]
	s_cbranch_execnz .LBB81_125
.LBB81_119:                             ;   in Loop: Header=BB81_17 Depth=1
	s_or_b64 exec, exec, s[6:7]
	s_and_saveexec_b64 s[6:7], s[56:57]
	s_cbranch_execnz .LBB81_129
.LBB81_120:                             ;   in Loop: Header=BB81_17 Depth=1
	s_or_b64 exec, exec, s[6:7]
	s_and_saveexec_b64 s[6:7], s[58:59]
	s_cbranch_execnz .LBB81_133
	s_branch .LBB81_137
.LBB81_121:                             ;   in Loop: Header=BB81_17 Depth=1
	s_and_b64 vcc, exec, s[48:49]
	s_cbranch_vccz .LBB81_157
; %bb.122:                              ;   in Loop: Header=BB81_17 Depth=1
	v_add_u32_e32 v14, s11, v26
	v_mad_u64_u32 v[18:19], s[8:9], v14, s38, v[12:13]
	v_mov_b32_e32 v14, v18
	s_cbranch_execnz .LBB81_124
.LBB81_123:                             ;   in Loop: Header=BB81_17 Depth=1
	v_add_u32_e32 v14, v16, v26
.LBB81_124:                             ;   in Loop: Header=BB81_17 Depth=1
	ds_read2_b64 v[18:21], v31 offset1:1
	v_lshlrev_b64 v[22:23], 4, v[14:15]
	v_mov_b32_e32 v14, s43
	v_add_co_u32_e32 v22, vcc, s42, v22
	v_addc_co_u32_e32 v23, vcc, v14, v23, vcc
	s_waitcnt lgkmcnt(0)
	global_store_dwordx4 v[22:23], v[18:21], off
	s_or_b64 exec, exec, s[6:7]
	s_and_saveexec_b64 s[6:7], s[54:55]
	s_cbranch_execz .LBB81_119
.LBB81_125:                             ;   in Loop: Header=BB81_17 Depth=1
	s_andn2_b64 vcc, exec, s[48:49]
	s_cbranch_vccnz .LBB81_158
; %bb.126:                              ;   in Loop: Header=BB81_17 Depth=1
	v_add_u32_e32 v14, s11, v28
	v_mad_u64_u32 v[18:19], s[8:9], v14, s38, v[12:13]
	v_mov_b32_e32 v14, v18
	s_cbranch_execnz .LBB81_128
.LBB81_127:                             ;   in Loop: Header=BB81_17 Depth=1
	v_add_u32_e32 v14, v16, v28
.LBB81_128:                             ;   in Loop: Header=BB81_17 Depth=1
	ds_read2_b64 v[18:21], v32 offset1:1
	v_lshlrev_b64 v[22:23], 4, v[14:15]
	v_mov_b32_e32 v14, s43
	v_add_co_u32_e32 v22, vcc, s42, v22
	v_addc_co_u32_e32 v23, vcc, v14, v23, vcc
	s_waitcnt lgkmcnt(0)
	global_store_dwordx4 v[22:23], v[18:21], off
	s_or_b64 exec, exec, s[6:7]
	s_and_saveexec_b64 s[6:7], s[56:57]
	s_cbranch_execz .LBB81_120
.LBB81_129:                             ;   in Loop: Header=BB81_17 Depth=1
	s_andn2_b64 vcc, exec, s[48:49]
	s_cbranch_vccnz .LBB81_159
; %bb.130:                              ;   in Loop: Header=BB81_17 Depth=1
	v_add_u32_e32 v14, s11, v29
	v_mad_u64_u32 v[18:19], s[8:9], v14, s38, v[12:13]
	v_mov_b32_e32 v14, v18
	s_cbranch_execnz .LBB81_132
.LBB81_131:                             ;   in Loop: Header=BB81_17 Depth=1
	v_add_u32_e32 v14, v16, v29
.LBB81_132:                             ;   in Loop: Header=BB81_17 Depth=1
	ds_read2_b64 v[18:21], v33 offset1:1
	v_lshlrev_b64 v[22:23], 4, v[14:15]
	v_mov_b32_e32 v14, s43
	v_add_co_u32_e32 v22, vcc, s42, v22
	v_addc_co_u32_e32 v23, vcc, v14, v23, vcc
	s_waitcnt lgkmcnt(0)
	global_store_dwordx4 v[22:23], v[18:21], off
	s_or_b64 exec, exec, s[6:7]
	s_and_saveexec_b64 s[6:7], s[58:59]
	s_cbranch_execz .LBB81_137
.LBB81_133:                             ;   in Loop: Header=BB81_17 Depth=1
	s_andn2_b64 vcc, exec, s[48:49]
	s_cbranch_vccnz .LBB81_160
; %bb.134:                              ;   in Loop: Header=BB81_17 Depth=1
	v_add_u32_e32 v14, s11, v30
	v_mad_u64_u32 v[18:19], s[8:9], v14, s38, v[12:13]
	v_mov_b32_e32 v14, v18
	s_cbranch_execnz .LBB81_136
.LBB81_135:                             ;   in Loop: Header=BB81_17 Depth=1
	v_add_u32_e32 v14, v16, v30
.LBB81_136:                             ;   in Loop: Header=BB81_17 Depth=1
	ds_read2_b64 v[16:19], v34 offset1:1
	v_lshlrev_b64 v[20:21], 4, v[14:15]
	v_mov_b32_e32 v14, s43
	v_add_co_u32_e32 v20, vcc, s42, v20
	v_addc_co_u32_e32 v21, vcc, v14, v21, vcc
	s_waitcnt lgkmcnt(0)
	global_store_dwordx4 v[20:21], v[16:19], off
.LBB81_137:                             ;   in Loop: Header=BB81_17 Depth=1
	s_or_b64 exec, exec, s[6:7]
	s_mov_b32 s19, 1
.LBB81_138:                             ;   in Loop: Header=BB81_17 Depth=1
	ds_read_u8 v14, v15 offset:32769
	s_waitcnt lgkmcnt(0)
	v_cmp_eq_u32_e32 vcc, 0, v14
	s_cbranch_vccnz .LBB81_16
; %bb.139:                              ;   in Loop: Header=BB81_17 Depth=1
	s_add_i32 s6, s19, s18
	s_ashr_i32 s7, s6, 31
	s_add_i32 s10, s10, 1
	s_lshl_b64 s[8:9], s[6:7], 2
	s_add_u32 s8, s40, s8
	s_addc_u32 s9, s41, s9
	v_mov_b32_e32 v14, s10
	s_mul_i32 s47, s6, s38
	global_store_dword v15, v14, s[8:9]
	v_add_u32_e32 v14, s47, v12
	v_mul_lo_u32 v16, v14, s38
	v_cmp_ne_u32_e64 s[6:7], 1, v42
	s_and_saveexec_b64 s[8:9], s[52:53]
	s_cbranch_execnz .LBB81_143
; %bb.140:                              ;   in Loop: Header=BB81_17 Depth=1
	s_or_b64 exec, exec, s[8:9]
	s_and_saveexec_b64 s[8:9], s[54:55]
	s_cbranch_execnz .LBB81_147
.LBB81_141:                             ;   in Loop: Header=BB81_17 Depth=1
	s_or_b64 exec, exec, s[8:9]
	s_and_saveexec_b64 s[8:9], s[56:57]
	s_cbranch_execnz .LBB81_151
.LBB81_142:                             ;   in Loop: Header=BB81_17 Depth=1
	s_or_b64 exec, exec, s[8:9]
	s_and_saveexec_b64 s[8:9], s[58:59]
	s_cbranch_execz .LBB81_15
	s_branch .LBB81_155
.LBB81_143:                             ;   in Loop: Header=BB81_17 Depth=1
	s_and_b64 vcc, exec, s[6:7]
	s_cbranch_vccnz .LBB81_161
; %bb.144:                              ;   in Loop: Header=BB81_17 Depth=1
	v_add_u32_e32 v14, s47, v26
	v_mad_u64_u32 v[18:19], s[10:11], v14, s38, v[12:13]
	v_mov_b32_e32 v14, v18
	s_cbranch_execnz .LBB81_146
.LBB81_145:                             ;   in Loop: Header=BB81_17 Depth=1
	v_add_u32_e32 v14, v16, v26
.LBB81_146:                             ;   in Loop: Header=BB81_17 Depth=1
	ds_read2_b64 v[18:21], v35 offset1:1
	v_lshlrev_b64 v[22:23], 4, v[14:15]
	v_mov_b32_e32 v14, s43
	v_add_co_u32_e32 v22, vcc, s42, v22
	v_addc_co_u32_e32 v23, vcc, v14, v23, vcc
	s_waitcnt lgkmcnt(0)
	global_store_dwordx4 v[22:23], v[18:21], off
	s_or_b64 exec, exec, s[8:9]
	s_and_saveexec_b64 s[8:9], s[54:55]
	s_cbranch_execz .LBB81_141
.LBB81_147:                             ;   in Loop: Header=BB81_17 Depth=1
	s_and_b64 vcc, exec, s[6:7]
	s_cbranch_vccnz .LBB81_162
; %bb.148:                              ;   in Loop: Header=BB81_17 Depth=1
	v_add_u32_e32 v14, s47, v28
	v_mad_u64_u32 v[18:19], s[10:11], v14, s38, v[12:13]
	v_mov_b32_e32 v14, v18
	s_cbranch_execnz .LBB81_150
.LBB81_149:                             ;   in Loop: Header=BB81_17 Depth=1
	v_add_u32_e32 v14, v16, v28
.LBB81_150:                             ;   in Loop: Header=BB81_17 Depth=1
	ds_read2_b64 v[18:21], v36 offset1:1
	v_lshlrev_b64 v[22:23], 4, v[14:15]
	v_mov_b32_e32 v14, s43
	v_add_co_u32_e32 v22, vcc, s42, v22
	v_addc_co_u32_e32 v23, vcc, v14, v23, vcc
	s_waitcnt lgkmcnt(0)
	global_store_dwordx4 v[22:23], v[18:21], off
	s_or_b64 exec, exec, s[8:9]
	s_and_saveexec_b64 s[8:9], s[56:57]
	s_cbranch_execz .LBB81_142
.LBB81_151:                             ;   in Loop: Header=BB81_17 Depth=1
	s_and_b64 vcc, exec, s[6:7]
	s_cbranch_vccnz .LBB81_163
; %bb.152:                              ;   in Loop: Header=BB81_17 Depth=1
	v_add_u32_e32 v14, s47, v29
	v_mad_u64_u32 v[18:19], s[10:11], v14, s38, v[12:13]
	v_mov_b32_e32 v14, v18
	s_cbranch_execnz .LBB81_154
.LBB81_153:                             ;   in Loop: Header=BB81_17 Depth=1
	v_add_u32_e32 v14, v16, v29
.LBB81_154:                             ;   in Loop: Header=BB81_17 Depth=1
	ds_read2_b64 v[18:21], v37 offset1:1
	v_lshlrev_b64 v[22:23], 4, v[14:15]
	v_mov_b32_e32 v14, s43
	v_add_co_u32_e32 v22, vcc, s42, v22
	v_addc_co_u32_e32 v23, vcc, v14, v23, vcc
	s_waitcnt lgkmcnt(0)
	global_store_dwordx4 v[22:23], v[18:21], off
	s_or_b64 exec, exec, s[8:9]
	s_and_saveexec_b64 s[8:9], s[58:59]
	s_cbranch_execz .LBB81_15
.LBB81_155:                             ;   in Loop: Header=BB81_17 Depth=1
	s_and_b64 vcc, exec, s[6:7]
	s_cbranch_vccnz .LBB81_164
; %bb.156:                              ;   in Loop: Header=BB81_17 Depth=1
	v_add_u32_e32 v14, s47, v30
	v_mad_u64_u32 v[18:19], s[6:7], v14, s38, v[12:13]
	v_mov_b32_e32 v14, v18
	s_cbranch_execnz .LBB81_14
	s_branch .LBB81_165
.LBB81_157:                             ;   in Loop: Header=BB81_17 Depth=1
	s_branch .LBB81_123
.LBB81_158:                             ;   in Loop: Header=BB81_17 Depth=1
	s_branch .LBB81_127
.LBB81_159:                             ;   in Loop: Header=BB81_17 Depth=1
	s_branch .LBB81_131
.LBB81_160:                             ;   in Loop: Header=BB81_17 Depth=1
	s_branch .LBB81_135
.LBB81_161:                             ;   in Loop: Header=BB81_17 Depth=1
	s_branch .LBB81_145
.LBB81_162:                             ;   in Loop: Header=BB81_17 Depth=1
	s_branch .LBB81_149
.LBB81_163:                             ;   in Loop: Header=BB81_17 Depth=1
	s_branch .LBB81_153
.LBB81_164:                             ;   in Loop: Header=BB81_17 Depth=1
.LBB81_165:                             ;   in Loop: Header=BB81_17 Depth=1
	v_add_u32_e32 v14, v16, v30
	s_branch .LBB81_14
.LBB81_166:
	s_endpgm
	.section	.rodata,"a",@progbits
	.p2align	6, 0x0
	.amdhsa_kernel _ZN9rocsparseL31bsrgemm_block_per_row_multipassILj256ELj2ELj32Eii21rocsparse_complex_numIdEEEv20rocsparse_direction_T3_S4_PKS4_S6_NS_24const_host_device_scalarIT4_EEPKT2_S6_PKS8_SC_S6_SE_S9_SC_S6_SE_SC_PS4_PS8_PSA_21rocsparse_index_base_SI_SI_SI_bbb
		.amdhsa_group_segment_fixed_size 36872
		.amdhsa_private_segment_fixed_size 0
		.amdhsa_kernarg_size 188
		.amdhsa_user_sgpr_count 8
		.amdhsa_user_sgpr_private_segment_buffer 1
		.amdhsa_user_sgpr_dispatch_ptr 1
		.amdhsa_user_sgpr_queue_ptr 0
		.amdhsa_user_sgpr_kernarg_segment_ptr 1
		.amdhsa_user_sgpr_dispatch_id 0
		.amdhsa_user_sgpr_flat_scratch_init 0
		.amdhsa_user_sgpr_kernarg_preload_length 0
		.amdhsa_user_sgpr_kernarg_preload_offset 0
		.amdhsa_user_sgpr_private_segment_size 0
		.amdhsa_uses_dynamic_stack 0
		.amdhsa_system_sgpr_private_segment_wavefront_offset 0
		.amdhsa_system_sgpr_workgroup_id_x 1
		.amdhsa_system_sgpr_workgroup_id_y 0
		.amdhsa_system_sgpr_workgroup_id_z 0
		.amdhsa_system_sgpr_workgroup_info 0
		.amdhsa_system_vgpr_workitem_id 2
		.amdhsa_next_free_vgpr 64
		.amdhsa_next_free_sgpr 77
		.amdhsa_accum_offset 64
		.amdhsa_reserve_vcc 1
		.amdhsa_reserve_flat_scratch 0
		.amdhsa_float_round_mode_32 0
		.amdhsa_float_round_mode_16_64 0
		.amdhsa_float_denorm_mode_32 3
		.amdhsa_float_denorm_mode_16_64 3
		.amdhsa_dx10_clamp 1
		.amdhsa_ieee_mode 1
		.amdhsa_fp16_overflow 0
		.amdhsa_tg_split 0
		.amdhsa_exception_fp_ieee_invalid_op 0
		.amdhsa_exception_fp_denorm_src 0
		.amdhsa_exception_fp_ieee_div_zero 0
		.amdhsa_exception_fp_ieee_overflow 0
		.amdhsa_exception_fp_ieee_underflow 0
		.amdhsa_exception_fp_ieee_inexact 0
		.amdhsa_exception_int_div_zero 0
	.end_amdhsa_kernel
	.section	.text._ZN9rocsparseL31bsrgemm_block_per_row_multipassILj256ELj2ELj32Eii21rocsparse_complex_numIdEEEv20rocsparse_direction_T3_S4_PKS4_S6_NS_24const_host_device_scalarIT4_EEPKT2_S6_PKS8_SC_S6_SE_S9_SC_S6_SE_SC_PS4_PS8_PSA_21rocsparse_index_base_SI_SI_SI_bbb,"axG",@progbits,_ZN9rocsparseL31bsrgemm_block_per_row_multipassILj256ELj2ELj32Eii21rocsparse_complex_numIdEEEv20rocsparse_direction_T3_S4_PKS4_S6_NS_24const_host_device_scalarIT4_EEPKT2_S6_PKS8_SC_S6_SE_S9_SC_S6_SE_SC_PS4_PS8_PSA_21rocsparse_index_base_SI_SI_SI_bbb,comdat
.Lfunc_end81:
	.size	_ZN9rocsparseL31bsrgemm_block_per_row_multipassILj256ELj2ELj32Eii21rocsparse_complex_numIdEEEv20rocsparse_direction_T3_S4_PKS4_S6_NS_24const_host_device_scalarIT4_EEPKT2_S6_PKS8_SC_S6_SE_S9_SC_S6_SE_SC_PS4_PS8_PSA_21rocsparse_index_base_SI_SI_SI_bbb, .Lfunc_end81-_ZN9rocsparseL31bsrgemm_block_per_row_multipassILj256ELj2ELj32Eii21rocsparse_complex_numIdEEEv20rocsparse_direction_T3_S4_PKS4_S6_NS_24const_host_device_scalarIT4_EEPKT2_S6_PKS8_SC_S6_SE_S9_SC_S6_SE_SC_PS4_PS8_PSA_21rocsparse_index_base_SI_SI_SI_bbb
                                        ; -- End function
	.section	.AMDGPU.csdata,"",@progbits
; Kernel info:
; codeLenInByte = 5032
; NumSgprs: 81
; NumVgprs: 64
; NumAgprs: 0
; TotalNumVgprs: 64
; ScratchSize: 0
; MemoryBound: 0
; FloatMode: 240
; IeeeMode: 1
; LDSByteSize: 36872 bytes/workgroup (compile time only)
; SGPRBlocks: 10
; VGPRBlocks: 7
; NumSGPRsForWavesPerEU: 81
; NumVGPRsForWavesPerEU: 64
; AccumOffset: 64
; Occupancy: 1
; WaveLimiterHint : 1
; COMPUTE_PGM_RSRC2:SCRATCH_EN: 0
; COMPUTE_PGM_RSRC2:USER_SGPR: 8
; COMPUTE_PGM_RSRC2:TRAP_HANDLER: 0
; COMPUTE_PGM_RSRC2:TGID_X_EN: 1
; COMPUTE_PGM_RSRC2:TGID_Y_EN: 0
; COMPUTE_PGM_RSRC2:TGID_Z_EN: 0
; COMPUTE_PGM_RSRC2:TIDIG_COMP_CNT: 2
; COMPUTE_PGM_RSRC3_GFX90A:ACCUM_OFFSET: 15
; COMPUTE_PGM_RSRC3_GFX90A:TG_SPLIT: 0
	.section	.text._ZN9rocsparseL25csrgemm_max_row_nnz_part1ILj256EllEEvT1_PKT0_PS1_,"axG",@progbits,_ZN9rocsparseL25csrgemm_max_row_nnz_part1ILj256EllEEvT1_PKT0_PS1_,comdat
	.globl	_ZN9rocsparseL25csrgemm_max_row_nnz_part1ILj256EllEEvT1_PKT0_PS1_ ; -- Begin function _ZN9rocsparseL25csrgemm_max_row_nnz_part1ILj256EllEEvT1_PKT0_PS1_
	.p2align	8
	.type	_ZN9rocsparseL25csrgemm_max_row_nnz_part1ILj256EllEEvT1_PKT0_PS1_,@function
_ZN9rocsparseL25csrgemm_max_row_nnz_part1ILj256EllEEvT1_PKT0_PS1_: ; @_ZN9rocsparseL25csrgemm_max_row_nnz_part1ILj256EllEEvT1_PKT0_PS1_
; %bb.0:
	s_load_dwordx2 s[0:1], s[4:5], 0x0
	s_load_dwordx2 s[2:3], s[4:5], 0x10
	v_lshl_or_b32 v2, s6, 8, v0
	v_mov_b32_e32 v3, 0
	v_pk_mov_b32 v[4:5], 0, 0
	s_waitcnt lgkmcnt(0)
	v_cmp_gt_i64_e32 vcc, s[0:1], v[2:3]
	s_and_saveexec_b64 s[8:9], vcc
	s_cbranch_execz .LBB82_4
; %bb.1:
	s_load_dword s7, s[4:5], 0x18
	s_load_dwordx2 s[10:11], s[4:5], 0x8
	s_mov_b32 s5, 0
	v_lshlrev_b64 v[4:5], 3, v[2:3]
	s_waitcnt lgkmcnt(0)
	s_lshl_b32 s4, s7, 8
	v_mov_b32_e32 v1, s11
	v_add_co_u32_e32 v6, vcc, s10, v4
	s_lshl_b64 s[12:13], s[4:5], 3
	v_addc_co_u32_e32 v7, vcc, v1, v5, vcc
	s_mov_b64 s[10:11], 0
	v_pk_mov_b32 v[4:5], 0, 0
	v_mov_b32_e32 v1, s5
	v_mov_b32_e32 v8, s13
.LBB82_2:                               ; =>This Inner Loop Header: Depth=1
	global_load_dwordx4 v[10:13], v[6:7], off
	v_add_co_u32_e32 v2, vcc, s4, v2
	v_addc_co_u32_e32 v3, vcc, v3, v1, vcc
	v_add_co_u32_e32 v6, vcc, s12, v6
	v_addc_co_u32_e32 v7, vcc, v7, v8, vcc
	v_cmp_le_i64_e32 vcc, s[0:1], v[2:3]
	s_or_b64 s[10:11], vcc, s[10:11]
	s_waitcnt vmcnt(0)
	v_sub_co_u32_e32 v10, vcc, v12, v10
	v_subb_co_u32_e32 v11, vcc, v13, v11, vcc
	v_cmp_gt_i64_e32 vcc, v[4:5], v[10:11]
	v_cndmask_b32_e32 v5, v11, v5, vcc
	v_cndmask_b32_e32 v4, v10, v4, vcc
	s_andn2_b64 exec, exec, s[10:11]
	s_cbranch_execnz .LBB82_2
; %bb.3:
	s_or_b64 exec, exec, s[10:11]
.LBB82_4:
	s_or_b64 exec, exec, s[8:9]
	s_movk_i32 s0, 0x80
	v_lshlrev_b32_e32 v1, 3, v0
	v_cmp_gt_u32_e32 vcc, s0, v0
	ds_write_b64 v1, v[4:5]
	s_waitcnt lgkmcnt(0)
	s_barrier
	s_and_saveexec_b64 s[0:1], vcc
	s_cbranch_execz .LBB82_6
; %bb.5:
	ds_read2st64_b64 v[2:5], v1 offset1:2
	s_waitcnt lgkmcnt(0)
	v_cmp_gt_i64_e32 vcc, v[2:3], v[4:5]
	v_cndmask_b32_e32 v3, v5, v3, vcc
	v_cndmask_b32_e32 v2, v4, v2, vcc
	ds_write_b64 v1, v[2:3]
.LBB82_6:
	s_or_b64 exec, exec, s[0:1]
	v_cmp_gt_u32_e32 vcc, 64, v0
	s_waitcnt lgkmcnt(0)
	s_barrier
	s_and_saveexec_b64 s[0:1], vcc
	s_cbranch_execz .LBB82_8
; %bb.7:
	ds_read2st64_b64 v[2:5], v1 offset1:1
	s_waitcnt lgkmcnt(0)
	v_cmp_gt_i64_e32 vcc, v[2:3], v[4:5]
	v_cndmask_b32_e32 v3, v5, v3, vcc
	v_cndmask_b32_e32 v2, v4, v2, vcc
	ds_write_b64 v1, v[2:3]
.LBB82_8:
	s_or_b64 exec, exec, s[0:1]
	v_cmp_gt_u32_e32 vcc, 32, v0
	s_waitcnt lgkmcnt(0)
	s_barrier
	s_and_saveexec_b64 s[0:1], vcc
	s_cbranch_execz .LBB82_10
; %bb.9:
	ds_read2_b64 v[2:5], v1 offset1:32
	s_waitcnt lgkmcnt(0)
	v_cmp_gt_i64_e32 vcc, v[2:3], v[4:5]
	v_cndmask_b32_e32 v3, v5, v3, vcc
	v_cndmask_b32_e32 v2, v4, v2, vcc
	ds_write_b64 v1, v[2:3]
.LBB82_10:
	s_or_b64 exec, exec, s[0:1]
	v_cmp_gt_u32_e32 vcc, 16, v0
	s_waitcnt lgkmcnt(0)
	s_barrier
	s_and_saveexec_b64 s[0:1], vcc
	s_cbranch_execz .LBB82_12
; %bb.11:
	ds_read2_b64 v[2:5], v1 offset1:16
	s_waitcnt lgkmcnt(0)
	v_cmp_gt_i64_e32 vcc, v[2:3], v[4:5]
	v_cndmask_b32_e32 v3, v5, v3, vcc
	v_cndmask_b32_e32 v2, v4, v2, vcc
	ds_write_b64 v1, v[2:3]
.LBB82_12:
	;; [unrolled: 14-line block ×5, first 2 shown]
	s_or_b64 exec, exec, s[0:1]
	v_cmp_eq_u32_e32 vcc, 0, v0
	s_waitcnt lgkmcnt(0)
	s_barrier
	s_and_saveexec_b64 s[4:5], vcc
	s_cbranch_execz .LBB82_20
; %bb.19:
	v_mov_b32_e32 v4, 0
	ds_read_b128 v[0:3], v4
	s_waitcnt lgkmcnt(0)
	v_cmp_gt_i64_e64 s[0:1], v[0:1], v[2:3]
	v_cndmask_b32_e64 v1, v3, v1, s[0:1]
	v_cndmask_b32_e64 v0, v2, v0, s[0:1]
	ds_write_b64 v4, v[0:1]
.LBB82_20:
	s_or_b64 exec, exec, s[4:5]
	s_waitcnt lgkmcnt(0)
	s_barrier
	s_and_saveexec_b64 s[0:1], vcc
	s_cbranch_execz .LBB82_22
; %bb.21:
	v_mov_b32_e32 v2, 0
	ds_read_b64 v[0:1], v2
	s_mov_b32 s7, 0
	s_lshl_b64 s[0:1], s[6:7], 3
	s_add_u32 s0, s2, s0
	s_addc_u32 s1, s3, s1
	s_waitcnt lgkmcnt(0)
	global_store_dwordx2 v2, v[0:1], s[0:1]
.LBB82_22:
	s_endpgm
	.section	.rodata,"a",@progbits
	.p2align	6, 0x0
	.amdhsa_kernel _ZN9rocsparseL25csrgemm_max_row_nnz_part1ILj256EllEEvT1_PKT0_PS1_
		.amdhsa_group_segment_fixed_size 2048
		.amdhsa_private_segment_fixed_size 0
		.amdhsa_kernarg_size 280
		.amdhsa_user_sgpr_count 6
		.amdhsa_user_sgpr_private_segment_buffer 1
		.amdhsa_user_sgpr_dispatch_ptr 0
		.amdhsa_user_sgpr_queue_ptr 0
		.amdhsa_user_sgpr_kernarg_segment_ptr 1
		.amdhsa_user_sgpr_dispatch_id 0
		.amdhsa_user_sgpr_flat_scratch_init 0
		.amdhsa_user_sgpr_kernarg_preload_length 0
		.amdhsa_user_sgpr_kernarg_preload_offset 0
		.amdhsa_user_sgpr_private_segment_size 0
		.amdhsa_uses_dynamic_stack 0
		.amdhsa_system_sgpr_private_segment_wavefront_offset 0
		.amdhsa_system_sgpr_workgroup_id_x 1
		.amdhsa_system_sgpr_workgroup_id_y 0
		.amdhsa_system_sgpr_workgroup_id_z 0
		.amdhsa_system_sgpr_workgroup_info 0
		.amdhsa_system_vgpr_workitem_id 0
		.amdhsa_next_free_vgpr 14
		.amdhsa_next_free_sgpr 14
		.amdhsa_accum_offset 16
		.amdhsa_reserve_vcc 1
		.amdhsa_reserve_flat_scratch 0
		.amdhsa_float_round_mode_32 0
		.amdhsa_float_round_mode_16_64 0
		.amdhsa_float_denorm_mode_32 3
		.amdhsa_float_denorm_mode_16_64 3
		.amdhsa_dx10_clamp 1
		.amdhsa_ieee_mode 1
		.amdhsa_fp16_overflow 0
		.amdhsa_tg_split 0
		.amdhsa_exception_fp_ieee_invalid_op 0
		.amdhsa_exception_fp_denorm_src 0
		.amdhsa_exception_fp_ieee_div_zero 0
		.amdhsa_exception_fp_ieee_overflow 0
		.amdhsa_exception_fp_ieee_underflow 0
		.amdhsa_exception_fp_ieee_inexact 0
		.amdhsa_exception_int_div_zero 0
	.end_amdhsa_kernel
	.section	.text._ZN9rocsparseL25csrgemm_max_row_nnz_part1ILj256EllEEvT1_PKT0_PS1_,"axG",@progbits,_ZN9rocsparseL25csrgemm_max_row_nnz_part1ILj256EllEEvT1_PKT0_PS1_,comdat
.Lfunc_end82:
	.size	_ZN9rocsparseL25csrgemm_max_row_nnz_part1ILj256EllEEvT1_PKT0_PS1_, .Lfunc_end82-_ZN9rocsparseL25csrgemm_max_row_nnz_part1ILj256EllEEvT1_PKT0_PS1_
                                        ; -- End function
	.section	.AMDGPU.csdata,"",@progbits
; Kernel info:
; codeLenInByte = 736
; NumSgprs: 18
; NumVgprs: 14
; NumAgprs: 0
; TotalNumVgprs: 14
; ScratchSize: 0
; MemoryBound: 0
; FloatMode: 240
; IeeeMode: 1
; LDSByteSize: 2048 bytes/workgroup (compile time only)
; SGPRBlocks: 2
; VGPRBlocks: 1
; NumSGPRsForWavesPerEU: 18
; NumVGPRsForWavesPerEU: 14
; AccumOffset: 16
; Occupancy: 8
; WaveLimiterHint : 0
; COMPUTE_PGM_RSRC2:SCRATCH_EN: 0
; COMPUTE_PGM_RSRC2:USER_SGPR: 6
; COMPUTE_PGM_RSRC2:TRAP_HANDLER: 0
; COMPUTE_PGM_RSRC2:TGID_X_EN: 1
; COMPUTE_PGM_RSRC2:TGID_Y_EN: 0
; COMPUTE_PGM_RSRC2:TGID_Z_EN: 0
; COMPUTE_PGM_RSRC2:TIDIG_COMP_CNT: 0
; COMPUTE_PGM_RSRC3_GFX90A:ACCUM_OFFSET: 3
; COMPUTE_PGM_RSRC3_GFX90A:TG_SPLIT: 0
	.section	.text._ZN9rocsparseL25csrgemm_max_row_nnz_part2ILj256ElEEvPT0_,"axG",@progbits,_ZN9rocsparseL25csrgemm_max_row_nnz_part2ILj256ElEEvPT0_,comdat
	.globl	_ZN9rocsparseL25csrgemm_max_row_nnz_part2ILj256ElEEvPT0_ ; -- Begin function _ZN9rocsparseL25csrgemm_max_row_nnz_part2ILj256ElEEvPT0_
	.p2align	8
	.type	_ZN9rocsparseL25csrgemm_max_row_nnz_part2ILj256ElEEvPT0_,@function
_ZN9rocsparseL25csrgemm_max_row_nnz_part2ILj256ElEEvPT0_: ; @_ZN9rocsparseL25csrgemm_max_row_nnz_part2ILj256ElEEvPT0_
; %bb.0:
	s_load_dwordx2 s[2:3], s[4:5], 0x0
	v_lshlrev_b32_e32 v1, 3, v0
	s_movk_i32 s0, 0x80
	v_cmp_gt_u32_e32 vcc, s0, v0
	s_waitcnt lgkmcnt(0)
	global_load_dwordx2 v[2:3], v1, s[2:3]
	s_waitcnt vmcnt(0)
	ds_write_b64 v1, v[2:3]
	s_waitcnt lgkmcnt(0)
	s_barrier
	s_and_saveexec_b64 s[0:1], vcc
	s_cbranch_execz .LBB83_2
; %bb.1:
	ds_read2st64_b64 v[2:5], v1 offset1:2
	s_waitcnt lgkmcnt(0)
	v_cmp_gt_i64_e32 vcc, v[2:3], v[4:5]
	v_cndmask_b32_e32 v3, v5, v3, vcc
	v_cndmask_b32_e32 v2, v4, v2, vcc
	ds_write_b64 v1, v[2:3]
.LBB83_2:
	s_or_b64 exec, exec, s[0:1]
	v_cmp_gt_u32_e32 vcc, 64, v0
	s_waitcnt lgkmcnt(0)
	s_barrier
	s_and_saveexec_b64 s[0:1], vcc
	s_cbranch_execz .LBB83_4
; %bb.3:
	ds_read2st64_b64 v[2:5], v1 offset1:1
	s_waitcnt lgkmcnt(0)
	v_cmp_gt_i64_e32 vcc, v[2:3], v[4:5]
	v_cndmask_b32_e32 v3, v5, v3, vcc
	v_cndmask_b32_e32 v2, v4, v2, vcc
	ds_write_b64 v1, v[2:3]
.LBB83_4:
	s_or_b64 exec, exec, s[0:1]
	v_cmp_gt_u32_e32 vcc, 32, v0
	s_waitcnt lgkmcnt(0)
	s_barrier
	s_and_saveexec_b64 s[0:1], vcc
	s_cbranch_execz .LBB83_6
; %bb.5:
	ds_read2_b64 v[2:5], v1 offset1:32
	s_waitcnt lgkmcnt(0)
	v_cmp_gt_i64_e32 vcc, v[2:3], v[4:5]
	v_cndmask_b32_e32 v3, v5, v3, vcc
	v_cndmask_b32_e32 v2, v4, v2, vcc
	ds_write_b64 v1, v[2:3]
.LBB83_6:
	s_or_b64 exec, exec, s[0:1]
	v_cmp_gt_u32_e32 vcc, 16, v0
	s_waitcnt lgkmcnt(0)
	s_barrier
	s_and_saveexec_b64 s[0:1], vcc
	s_cbranch_execz .LBB83_8
; %bb.7:
	ds_read2_b64 v[2:5], v1 offset1:16
	s_waitcnt lgkmcnt(0)
	v_cmp_gt_i64_e32 vcc, v[2:3], v[4:5]
	v_cndmask_b32_e32 v3, v5, v3, vcc
	v_cndmask_b32_e32 v2, v4, v2, vcc
	ds_write_b64 v1, v[2:3]
.LBB83_8:
	;; [unrolled: 14-line block ×5, first 2 shown]
	s_or_b64 exec, exec, s[0:1]
	v_cmp_eq_u32_e32 vcc, 0, v0
	s_waitcnt lgkmcnt(0)
	s_barrier
	s_and_saveexec_b64 s[4:5], vcc
	s_cbranch_execz .LBB83_16
; %bb.15:
	v_mov_b32_e32 v4, 0
	ds_read_b128 v[0:3], v4
	s_waitcnt lgkmcnt(0)
	v_cmp_gt_i64_e64 s[0:1], v[0:1], v[2:3]
	v_cndmask_b32_e64 v1, v3, v1, s[0:1]
	v_cndmask_b32_e64 v0, v2, v0, s[0:1]
	ds_write_b64 v4, v[0:1]
.LBB83_16:
	s_or_b64 exec, exec, s[4:5]
	s_waitcnt lgkmcnt(0)
	s_barrier
	s_and_saveexec_b64 s[0:1], vcc
	s_cbranch_execz .LBB83_18
; %bb.17:
	v_mov_b32_e32 v2, 0
	ds_read_b64 v[0:1], v2
	s_waitcnt lgkmcnt(0)
	global_store_dwordx2 v2, v[0:1], s[2:3]
.LBB83_18:
	s_endpgm
	.section	.rodata,"a",@progbits
	.p2align	6, 0x0
	.amdhsa_kernel _ZN9rocsparseL25csrgemm_max_row_nnz_part2ILj256ElEEvPT0_
		.amdhsa_group_segment_fixed_size 2048
		.amdhsa_private_segment_fixed_size 0
		.amdhsa_kernarg_size 8
		.amdhsa_user_sgpr_count 6
		.amdhsa_user_sgpr_private_segment_buffer 1
		.amdhsa_user_sgpr_dispatch_ptr 0
		.amdhsa_user_sgpr_queue_ptr 0
		.amdhsa_user_sgpr_kernarg_segment_ptr 1
		.amdhsa_user_sgpr_dispatch_id 0
		.amdhsa_user_sgpr_flat_scratch_init 0
		.amdhsa_user_sgpr_kernarg_preload_length 0
		.amdhsa_user_sgpr_kernarg_preload_offset 0
		.amdhsa_user_sgpr_private_segment_size 0
		.amdhsa_uses_dynamic_stack 0
		.amdhsa_system_sgpr_private_segment_wavefront_offset 0
		.amdhsa_system_sgpr_workgroup_id_x 1
		.amdhsa_system_sgpr_workgroup_id_y 0
		.amdhsa_system_sgpr_workgroup_id_z 0
		.amdhsa_system_sgpr_workgroup_info 0
		.amdhsa_system_vgpr_workitem_id 0
		.amdhsa_next_free_vgpr 6
		.amdhsa_next_free_sgpr 6
		.amdhsa_accum_offset 8
		.amdhsa_reserve_vcc 1
		.amdhsa_reserve_flat_scratch 0
		.amdhsa_float_round_mode_32 0
		.amdhsa_float_round_mode_16_64 0
		.amdhsa_float_denorm_mode_32 3
		.amdhsa_float_denorm_mode_16_64 3
		.amdhsa_dx10_clamp 1
		.amdhsa_ieee_mode 1
		.amdhsa_fp16_overflow 0
		.amdhsa_tg_split 0
		.amdhsa_exception_fp_ieee_invalid_op 0
		.amdhsa_exception_fp_denorm_src 0
		.amdhsa_exception_fp_ieee_div_zero 0
		.amdhsa_exception_fp_ieee_overflow 0
		.amdhsa_exception_fp_ieee_underflow 0
		.amdhsa_exception_fp_ieee_inexact 0
		.amdhsa_exception_int_div_zero 0
	.end_amdhsa_kernel
	.section	.text._ZN9rocsparseL25csrgemm_max_row_nnz_part2ILj256ElEEvPT0_,"axG",@progbits,_ZN9rocsparseL25csrgemm_max_row_nnz_part2ILj256ElEEvPT0_,comdat
.Lfunc_end83:
	.size	_ZN9rocsparseL25csrgemm_max_row_nnz_part2ILj256ElEEvPT0_, .Lfunc_end83-_ZN9rocsparseL25csrgemm_max_row_nnz_part2ILj256ElEEvPT0_
                                        ; -- End function
	.section	.AMDGPU.csdata,"",@progbits
; Kernel info:
; codeLenInByte = 548
; NumSgprs: 10
; NumVgprs: 6
; NumAgprs: 0
; TotalNumVgprs: 6
; ScratchSize: 0
; MemoryBound: 0
; FloatMode: 240
; IeeeMode: 1
; LDSByteSize: 2048 bytes/workgroup (compile time only)
; SGPRBlocks: 1
; VGPRBlocks: 0
; NumSGPRsForWavesPerEU: 10
; NumVGPRsForWavesPerEU: 6
; AccumOffset: 8
; Occupancy: 8
; WaveLimiterHint : 0
; COMPUTE_PGM_RSRC2:SCRATCH_EN: 0
; COMPUTE_PGM_RSRC2:USER_SGPR: 6
; COMPUTE_PGM_RSRC2:TRAP_HANDLER: 0
; COMPUTE_PGM_RSRC2:TGID_X_EN: 1
; COMPUTE_PGM_RSRC2:TGID_Y_EN: 0
; COMPUTE_PGM_RSRC2:TGID_Z_EN: 0
; COMPUTE_PGM_RSRC2:TIDIG_COMP_CNT: 0
; COMPUTE_PGM_RSRC3_GFX90A:ACCUM_OFFSET: 1
; COMPUTE_PGM_RSRC3_GFX90A:TG_SPLIT: 0
	.section	.text._ZN9rocsparseL26bsrgemm_group_reduce_part2ILj256ELj8ELj2EfllEEvT4_PKT3_PS1_Pi,"axG",@progbits,_ZN9rocsparseL26bsrgemm_group_reduce_part2ILj256ELj8ELj2EfllEEvT4_PKT3_PS1_Pi,comdat
	.globl	_ZN9rocsparseL26bsrgemm_group_reduce_part2ILj256ELj8ELj2EfllEEvT4_PKT3_PS1_Pi ; -- Begin function _ZN9rocsparseL26bsrgemm_group_reduce_part2ILj256ELj8ELj2EfllEEvT4_PKT3_PS1_Pi
	.p2align	8
	.type	_ZN9rocsparseL26bsrgemm_group_reduce_part2ILj256ELj8ELj2EfllEEvT4_PKT3_PS1_Pi,@function
_ZN9rocsparseL26bsrgemm_group_reduce_part2ILj256ELj8ELj2EfllEEvT4_PKT3_PS1_Pi: ; @_ZN9rocsparseL26bsrgemm_group_reduce_part2ILj256ELj8ELj2EfllEEvT4_PKT3_PS1_Pi
; %bb.0:
	s_load_dwordx2 s[10:11], s[4:5], 0x0
	s_load_dwordx2 s[8:9], s[4:5], 0x10
	s_mov_b32 s1, 0
	s_mov_b32 s2, s1
	;; [unrolled: 1-line block ×3, first 2 shown]
	v_lshl_or_b32 v2, s6, 8, v0
	s_mov_b32 s0, s1
	v_pk_mov_b32 v[6:7], s[2:3], s[2:3] op_sel:[0,1]
	v_mov_b32_e32 v3, 0
	v_lshlrev_b32_e32 v1, 6, v0
	v_pk_mov_b32 v[4:5], s[0:1], s[0:1] op_sel:[0,1]
	s_waitcnt lgkmcnt(0)
	v_cmp_gt_i64_e32 vcc, s[10:11], v[2:3]
	ds_write_b128 v1, v[4:7]
	ds_write_b128 v1, v[4:7] offset:16
	ds_write_b128 v1, v[4:7] offset:32
	;; [unrolled: 1-line block ×3, first 2 shown]
	s_waitcnt lgkmcnt(0)
	s_and_saveexec_b64 s[2:3], vcc
	s_cbranch_execz .LBB84_31
; %bb.1:
	s_load_dword s0, s[4:5], 0x20
	s_load_dwordx2 s[12:13], s[4:5], 0x18
	s_load_dwordx2 s[14:15], s[4:5], 0x8
	v_lshlrev_b64 v[4:5], 2, v[2:3]
	s_mov_b64 s[16:17], 0x80
	s_waitcnt lgkmcnt(0)
	s_lshl_b32 s0, s0, 8
	v_mov_b32_e32 v6, s13
	v_add_co_u32_e32 v4, vcc, s12, v4
	v_addc_co_u32_e32 v5, vcc, v6, v5, vcc
	v_lshlrev_b64 v[6:7], 3, v[2:3]
	s_lshl_b64 s[4:5], s[0:1], 2
	v_mov_b32_e32 v8, s15
	v_add_co_u32_e32 v6, vcc, s14, v6
	s_lshl_b64 s[12:13], s[0:1], 3
	v_addc_co_u32_e32 v7, vcc, v8, v7, vcc
	s_mov_b64 s[14:15], 0
	s_mov_b64 s[18:19], 0x100
	;; [unrolled: 1-line block ×3, first 2 shown]
	v_mov_b32_e32 v12, 7
	v_mov_b32_e32 v13, 6
	;; [unrolled: 1-line block ×10, first 2 shown]
	v_pk_mov_b32 v[8:9], v[2:3], v[2:3] op_sel:[0,1]
	s_branch .LBB84_3
.LBB84_2:                               ;   in Loop: Header=BB84_3 Depth=1
	s_or_b64 exec, exec, s[22:23]
	v_add_co_u32_e32 v8, vcc, s0, v8
	v_addc_co_u32_e32 v9, vcc, v9, v19, vcc
	v_add_co_u32_e32 v4, vcc, s4, v4
	v_addc_co_u32_e32 v5, vcc, v5, v20, vcc
	v_cmp_le_i64_e32 vcc, s[10:11], v[8:9]
	s_or_b64 s[14:15], vcc, s[14:15]
	v_add_co_u32_e32 v6, vcc, s12, v6
	v_addc_co_u32_e32 v7, vcc, v7, v21, vcc
	s_andn2_b64 exec, exec, s[14:15]
	s_cbranch_execz .LBB84_31
.LBB84_3:                               ; =>This Inner Loop Header: Depth=1
	global_load_dwordx4 v[22:25], v[6:7], off
	s_waitcnt vmcnt(0)
	v_sub_co_u32_e32 v10, vcc, v24, v22
	v_subb_co_u32_e32 v11, vcc, v25, v23, vcc
	v_cmp_lt_i64_e32 vcc, 8, v[10:11]
	s_and_saveexec_b64 s[22:23], vcc
	s_xor_b64 s[22:23], exec, s[22:23]
	s_cbranch_execz .LBB84_29
; %bb.4:                                ;   in Loop: Header=BB84_3 Depth=1
	v_cmp_lt_u64_e32 vcc, 16, v[10:11]
	s_and_saveexec_b64 s[24:25], vcc
	s_xor_b64 s[24:25], exec, s[24:25]
	s_cbranch_execz .LBB84_26
; %bb.5:                                ;   in Loop: Header=BB84_3 Depth=1
	v_cmp_lt_u64_e32 vcc, 32, v[10:11]
	;; [unrolled: 5-line block ×6, first 2 shown]
	s_and_saveexec_b64 s[36:37], vcc
	s_xor_b64 s[36:37], exec, s[36:37]
	s_cbranch_execz .LBB84_11
; %bb.10:                               ;   in Loop: Header=BB84_3 Depth=1
	ds_read_b64 v[10:11], v1 offset:56
	global_store_dword v[4:5], v12, off
	s_waitcnt lgkmcnt(0)
	v_add_co_u32_e32 v10, vcc, 1, v10
	v_addc_co_u32_e32 v11, vcc, 0, v11, vcc
	ds_write_b64 v1, v[10:11] offset:56
.LBB84_11:                              ;   in Loop: Header=BB84_3 Depth=1
	s_andn2_saveexec_b64 s[36:37], s[36:37]
	s_cbranch_execz .LBB84_13
; %bb.12:                               ;   in Loop: Header=BB84_3 Depth=1
	ds_read_b64 v[10:11], v1 offset:48
	global_store_dword v[4:5], v13, off
	s_waitcnt lgkmcnt(0)
	v_add_co_u32_e32 v10, vcc, 1, v10
	v_addc_co_u32_e32 v11, vcc, 0, v11, vcc
	ds_write_b64 v1, v[10:11] offset:48
.LBB84_13:                              ;   in Loop: Header=BB84_3 Depth=1
	s_or_b64 exec, exec, s[36:37]
.LBB84_14:                              ;   in Loop: Header=BB84_3 Depth=1
	s_andn2_saveexec_b64 s[34:35], s[34:35]
	s_cbranch_execz .LBB84_16
; %bb.15:                               ;   in Loop: Header=BB84_3 Depth=1
	ds_read_b64 v[10:11], v1 offset:40
	global_store_dword v[4:5], v14, off
	s_waitcnt lgkmcnt(0)
	v_add_co_u32_e32 v10, vcc, 1, v10
	v_addc_co_u32_e32 v11, vcc, 0, v11, vcc
	ds_write_b64 v1, v[10:11] offset:40
.LBB84_16:                              ;   in Loop: Header=BB84_3 Depth=1
	s_or_b64 exec, exec, s[34:35]
.LBB84_17:                              ;   in Loop: Header=BB84_3 Depth=1
	s_andn2_saveexec_b64 s[30:31], s[30:31]
	s_cbranch_execz .LBB84_19
; %bb.18:                               ;   in Loop: Header=BB84_3 Depth=1
	ds_read_b64 v[10:11], v1 offset:32
	global_store_dword v[4:5], v15, off
	s_waitcnt lgkmcnt(0)
	v_add_co_u32_e32 v10, vcc, 1, v10
	v_addc_co_u32_e32 v11, vcc, 0, v11, vcc
	ds_write_b64 v1, v[10:11] offset:32
.LBB84_19:                              ;   in Loop: Header=BB84_3 Depth=1
	s_or_b64 exec, exec, s[30:31]
.LBB84_20:                              ;   in Loop: Header=BB84_3 Depth=1
	s_andn2_saveexec_b64 s[28:29], s[28:29]
	s_cbranch_execz .LBB84_22
; %bb.21:                               ;   in Loop: Header=BB84_3 Depth=1
	ds_read_b64 v[10:11], v1 offset:24
	global_store_dword v[4:5], v16, off
	s_waitcnt lgkmcnt(0)
	v_add_co_u32_e32 v10, vcc, 1, v10
	v_addc_co_u32_e32 v11, vcc, 0, v11, vcc
	ds_write_b64 v1, v[10:11] offset:24
.LBB84_22:                              ;   in Loop: Header=BB84_3 Depth=1
	s_or_b64 exec, exec, s[28:29]
.LBB84_23:                              ;   in Loop: Header=BB84_3 Depth=1
	s_andn2_saveexec_b64 s[26:27], s[26:27]
	s_cbranch_execz .LBB84_25
; %bb.24:                               ;   in Loop: Header=BB84_3 Depth=1
	ds_read_b64 v[10:11], v1 offset:16
	global_store_dword v[4:5], v17, off
	s_waitcnt lgkmcnt(0)
	v_add_co_u32_e32 v10, vcc, 1, v10
	v_addc_co_u32_e32 v11, vcc, 0, v11, vcc
	ds_write_b64 v1, v[10:11] offset:16
.LBB84_25:                              ;   in Loop: Header=BB84_3 Depth=1
	s_or_b64 exec, exec, s[26:27]
.LBB84_26:                              ;   in Loop: Header=BB84_3 Depth=1
	s_andn2_saveexec_b64 s[24:25], s[24:25]
	s_cbranch_execz .LBB84_28
; %bb.27:                               ;   in Loop: Header=BB84_3 Depth=1
	ds_read_b64 v[10:11], v1 offset:8
	global_store_dword v[4:5], v18, off
	s_waitcnt lgkmcnt(0)
	v_add_co_u32_e32 v10, vcc, 1, v10
	v_addc_co_u32_e32 v11, vcc, 0, v11, vcc
	ds_write_b64 v1, v[10:11] offset:8
.LBB84_28:                              ;   in Loop: Header=BB84_3 Depth=1
	s_or_b64 exec, exec, s[24:25]
.LBB84_29:                              ;   in Loop: Header=BB84_3 Depth=1
	s_andn2_saveexec_b64 s[22:23], s[22:23]
	s_cbranch_execz .LBB84_2
; %bb.30:                               ;   in Loop: Header=BB84_3 Depth=1
	ds_read_b64 v[10:11], v1
	global_store_dword v[4:5], v3, off
	s_waitcnt lgkmcnt(0)
	v_add_co_u32_e32 v10, vcc, 1, v10
	v_addc_co_u32_e32 v11, vcc, 0, v11, vcc
	ds_write_b64 v1, v[10:11]
	s_branch .LBB84_2
.LBB84_31:
	s_or_b64 exec, exec, s[2:3]
	s_movk_i32 s0, 0x80
	v_cmp_gt_u32_e32 vcc, s0, v0
	s_waitcnt lgkmcnt(0)
	s_barrier
	s_barrier
	;; [unrolled: 1-line block ×3, first 2 shown]
	s_and_saveexec_b64 s[0:1], vcc
	s_cbranch_execz .LBB84_33
; %bb.32:
	ds_read_b128 v[2:5], v1 offset:8192
	ds_read_b128 v[6:9], v1
	ds_read_b128 v[10:13], v1 offset:16
	ds_read_b128 v[14:17], v1 offset:32
	ds_read_b128 v[18:21], v1 offset:48
	ds_read_b128 v[22:25], v1 offset:8208
	s_waitcnt lgkmcnt(4)
	v_add_co_u32_e32 v2, vcc, v6, v2
	v_addc_co_u32_e32 v3, vcc, v7, v3, vcc
	v_add_co_u32_e32 v4, vcc, v8, v4
	v_addc_co_u32_e32 v5, vcc, v9, v5, vcc
	ds_write_b128 v1, v[2:5]
	s_waitcnt lgkmcnt(1)
	v_add_co_u32_e32 v2, vcc, v10, v22
	ds_read_b128 v[6:9], v1 offset:8224
	v_addc_co_u32_e32 v3, vcc, v11, v23, vcc
	v_add_co_u32_e32 v4, vcc, v12, v24
	v_addc_co_u32_e32 v5, vcc, v13, v25, vcc
	ds_write_b128 v1, v[2:5] offset:16
	ds_read_b128 v[2:5], v1 offset:8240
	s_waitcnt lgkmcnt(2)
	v_add_co_u32_e32 v6, vcc, v14, v6
	v_addc_co_u32_e32 v7, vcc, v15, v7, vcc
	v_add_co_u32_e32 v8, vcc, v16, v8
	v_addc_co_u32_e32 v9, vcc, v17, v9, vcc
	s_waitcnt lgkmcnt(0)
	v_add_co_u32_e32 v2, vcc, v18, v2
	v_addc_co_u32_e32 v3, vcc, v19, v3, vcc
	v_add_co_u32_e32 v4, vcc, v20, v4
	v_addc_co_u32_e32 v5, vcc, v21, v5, vcc
	ds_write_b128 v1, v[6:9] offset:32
	ds_write_b128 v1, v[2:5] offset:48
.LBB84_33:
	s_or_b64 exec, exec, s[0:1]
	v_cmp_gt_u32_e32 vcc, 64, v0
	s_waitcnt lgkmcnt(0)
	s_barrier
	s_and_saveexec_b64 s[0:1], vcc
	s_cbranch_execz .LBB84_35
; %bb.34:
	ds_read_b128 v[2:5], v1 offset:4096
	ds_read_b128 v[6:9], v1
	ds_read_b128 v[10:13], v1 offset:16
	ds_read_b128 v[14:17], v1 offset:32
	ds_read_b128 v[18:21], v1 offset:48
	ds_read_b128 v[22:25], v1 offset:4112
	s_waitcnt lgkmcnt(4)
	v_add_co_u32_e32 v2, vcc, v6, v2
	v_addc_co_u32_e32 v3, vcc, v7, v3, vcc
	v_add_co_u32_e32 v4, vcc, v8, v4
	v_addc_co_u32_e32 v5, vcc, v9, v5, vcc
	ds_write_b128 v1, v[2:5]
	s_waitcnt lgkmcnt(1)
	v_add_co_u32_e32 v2, vcc, v10, v22
	ds_read_b128 v[6:9], v1 offset:4128
	v_addc_co_u32_e32 v3, vcc, v11, v23, vcc
	v_add_co_u32_e32 v4, vcc, v12, v24
	v_addc_co_u32_e32 v5, vcc, v13, v25, vcc
	ds_write_b128 v1, v[2:5] offset:16
	ds_read_b128 v[2:5], v1 offset:4144
	s_waitcnt lgkmcnt(2)
	v_add_co_u32_e32 v6, vcc, v14, v6
	v_addc_co_u32_e32 v7, vcc, v15, v7, vcc
	v_add_co_u32_e32 v8, vcc, v16, v8
	v_addc_co_u32_e32 v9, vcc, v17, v9, vcc
	s_waitcnt lgkmcnt(0)
	v_add_co_u32_e32 v2, vcc, v18, v2
	v_addc_co_u32_e32 v3, vcc, v19, v3, vcc
	v_add_co_u32_e32 v4, vcc, v20, v4
	v_addc_co_u32_e32 v5, vcc, v21, v5, vcc
	ds_write_b128 v1, v[6:9] offset:32
	ds_write_b128 v1, v[2:5] offset:48
.LBB84_35:
	s_or_b64 exec, exec, s[0:1]
	v_cmp_gt_u32_e32 vcc, 32, v0
	s_waitcnt lgkmcnt(0)
	s_barrier
	;; [unrolled: 40-line block ×4, first 2 shown]
	s_and_saveexec_b64 s[2:3], vcc
	s_cbranch_execz .LBB84_41
; %bb.40:
	ds_read_b128 v[2:5], v1 offset:512
	ds_read_b128 v[6:9], v1
	ds_read_b128 v[10:13], v1 offset:16
	ds_read_b128 v[14:17], v1 offset:32
	ds_read_b128 v[18:21], v1 offset:48
	ds_read_b128 v[22:25], v1 offset:528
	s_waitcnt lgkmcnt(4)
	v_add_co_u32_e64 v2, s[0:1], v6, v2
	v_addc_co_u32_e64 v3, s[0:1], v7, v3, s[0:1]
	v_add_co_u32_e64 v4, s[0:1], v8, v4
	v_addc_co_u32_e64 v5, s[0:1], v9, v5, s[0:1]
	ds_write_b128 v1, v[2:5]
	s_waitcnt lgkmcnt(1)
	v_add_co_u32_e64 v2, s[0:1], v10, v22
	ds_read_b128 v[6:9], v1 offset:544
	v_addc_co_u32_e64 v3, s[0:1], v11, v23, s[0:1]
	v_add_co_u32_e64 v4, s[0:1], v12, v24
	v_addc_co_u32_e64 v5, s[0:1], v13, v25, s[0:1]
	ds_write_b128 v1, v[2:5] offset:16
	ds_read_b128 v[2:5], v1 offset:560
	s_waitcnt lgkmcnt(2)
	v_add_co_u32_e64 v6, s[0:1], v14, v6
	v_addc_co_u32_e64 v7, s[0:1], v15, v7, s[0:1]
	v_add_co_u32_e64 v8, s[0:1], v16, v8
	v_addc_co_u32_e64 v9, s[0:1], v17, v9, s[0:1]
	s_waitcnt lgkmcnt(0)
	v_add_co_u32_e64 v2, s[0:1], v18, v2
	v_addc_co_u32_e64 v3, s[0:1], v19, v3, s[0:1]
	v_add_co_u32_e64 v4, s[0:1], v20, v4
	v_addc_co_u32_e64 v5, s[0:1], v21, v5, s[0:1]
	ds_write_b128 v1, v[6:9] offset:32
	ds_write_b128 v1, v[2:5] offset:48
.LBB84_41:
	s_or_b64 exec, exec, s[2:3]
	v_cmp_gt_u32_e64 s[0:1], 4, v0
	s_waitcnt lgkmcnt(0)
	s_barrier
	s_and_saveexec_b64 s[2:3], s[0:1]
	s_cbranch_execz .LBB84_43
; %bb.42:
	ds_read_b128 v[2:5], v1 offset:256
	ds_read_b128 v[6:9], v1
	ds_read_b128 v[10:13], v1 offset:16
	ds_read_b128 v[14:17], v1 offset:32
	;; [unrolled: 1-line block ×4, first 2 shown]
	s_waitcnt lgkmcnt(4)
	v_add_co_u32_e64 v2, s[0:1], v6, v2
	v_addc_co_u32_e64 v3, s[0:1], v7, v3, s[0:1]
	v_add_co_u32_e64 v4, s[0:1], v8, v4
	v_addc_co_u32_e64 v5, s[0:1], v9, v5, s[0:1]
	ds_write_b128 v1, v[2:5]
	s_waitcnt lgkmcnt(1)
	v_add_co_u32_e64 v2, s[0:1], v10, v22
	ds_read_b128 v[6:9], v1 offset:288
	v_addc_co_u32_e64 v3, s[0:1], v11, v23, s[0:1]
	v_add_co_u32_e64 v4, s[0:1], v12, v24
	v_addc_co_u32_e64 v5, s[0:1], v13, v25, s[0:1]
	ds_write_b128 v1, v[2:5] offset:16
	ds_read_b128 v[2:5], v1 offset:304
	s_waitcnt lgkmcnt(2)
	v_add_co_u32_e64 v6, s[0:1], v14, v6
	v_addc_co_u32_e64 v7, s[0:1], v15, v7, s[0:1]
	v_add_co_u32_e64 v8, s[0:1], v16, v8
	v_addc_co_u32_e64 v9, s[0:1], v17, v9, s[0:1]
	s_waitcnt lgkmcnt(0)
	v_add_co_u32_e64 v2, s[0:1], v18, v2
	v_addc_co_u32_e64 v3, s[0:1], v19, v3, s[0:1]
	v_add_co_u32_e64 v4, s[0:1], v20, v4
	v_addc_co_u32_e64 v5, s[0:1], v21, v5, s[0:1]
	ds_write_b128 v1, v[6:9] offset:32
	ds_write_b128 v1, v[2:5] offset:48
.LBB84_43:
	s_or_b64 exec, exec, s[2:3]
	v_cmp_gt_u32_e64 s[0:1], 2, v0
	s_waitcnt lgkmcnt(0)
	s_barrier
	s_and_saveexec_b64 s[2:3], s[0:1]
	s_cbranch_execz .LBB84_45
; %bb.44:
	ds_read_b128 v[2:5], v1 offset:128
	ds_read_b128 v[6:9], v1
	ds_read_b128 v[10:13], v1 offset:16
	ds_read_b128 v[14:17], v1 offset:32
	;; [unrolled: 1-line block ×4, first 2 shown]
	s_waitcnt lgkmcnt(4)
	v_add_co_u32_e64 v2, s[0:1], v6, v2
	v_addc_co_u32_e64 v3, s[0:1], v7, v3, s[0:1]
	v_add_co_u32_e64 v4, s[0:1], v8, v4
	v_addc_co_u32_e64 v5, s[0:1], v9, v5, s[0:1]
	ds_write_b128 v1, v[2:5]
	s_waitcnt lgkmcnt(1)
	v_add_co_u32_e64 v2, s[0:1], v10, v22
	ds_read_b128 v[6:9], v1 offset:160
	v_addc_co_u32_e64 v3, s[0:1], v11, v23, s[0:1]
	v_add_co_u32_e64 v4, s[0:1], v12, v24
	v_addc_co_u32_e64 v5, s[0:1], v13, v25, s[0:1]
	ds_write_b128 v1, v[2:5] offset:16
	ds_read_b128 v[2:5], v1 offset:176
	s_waitcnt lgkmcnt(2)
	v_add_co_u32_e64 v6, s[0:1], v14, v6
	v_addc_co_u32_e64 v7, s[0:1], v15, v7, s[0:1]
	v_add_co_u32_e64 v8, s[0:1], v16, v8
	v_addc_co_u32_e64 v9, s[0:1], v17, v9, s[0:1]
	s_waitcnt lgkmcnt(0)
	v_add_co_u32_e64 v2, s[0:1], v18, v2
	v_addc_co_u32_e64 v3, s[0:1], v19, v3, s[0:1]
	v_add_co_u32_e64 v4, s[0:1], v20, v4
	v_addc_co_u32_e64 v5, s[0:1], v21, v5, s[0:1]
	ds_write_b128 v1, v[6:9] offset:32
	ds_write_b128 v1, v[2:5] offset:48
.LBB84_45:
	s_or_b64 exec, exec, s[2:3]
	v_cmp_eq_u32_e64 s[0:1], 0, v0
	s_waitcnt lgkmcnt(0)
	s_barrier
	s_and_saveexec_b64 s[2:3], s[0:1]
	s_cbranch_execz .LBB84_47
; %bb.46:
	v_mov_b32_e32 v1, 0
	ds_read_b128 v[2:5], v1 offset:64
	ds_read_b128 v[6:9], v1
	ds_read_b128 v[10:13], v1 offset:16
	ds_read_b128 v[14:17], v1 offset:32
	;; [unrolled: 1-line block ×4, first 2 shown]
	s_waitcnt lgkmcnt(4)
	v_add_co_u32_e64 v2, s[0:1], v6, v2
	v_addc_co_u32_e64 v3, s[0:1], v7, v3, s[0:1]
	v_add_co_u32_e64 v4, s[0:1], v8, v4
	v_addc_co_u32_e64 v5, s[0:1], v9, v5, s[0:1]
	ds_write_b128 v1, v[2:5]
	s_waitcnt lgkmcnt(1)
	v_add_co_u32_e64 v2, s[0:1], v10, v22
	ds_read_b128 v[6:9], v1 offset:96
	v_addc_co_u32_e64 v3, s[0:1], v11, v23, s[0:1]
	v_add_co_u32_e64 v4, s[0:1], v12, v24
	v_addc_co_u32_e64 v5, s[0:1], v13, v25, s[0:1]
	ds_write_b128 v1, v[2:5] offset:16
	ds_read_b128 v[2:5], v1 offset:112
	s_waitcnt lgkmcnt(2)
	v_add_co_u32_e64 v6, s[0:1], v14, v6
	v_addc_co_u32_e64 v7, s[0:1], v15, v7, s[0:1]
	v_add_co_u32_e64 v8, s[0:1], v16, v8
	v_addc_co_u32_e64 v9, s[0:1], v17, v9, s[0:1]
	s_waitcnt lgkmcnt(0)
	v_add_co_u32_e64 v2, s[0:1], v18, v2
	v_addc_co_u32_e64 v3, s[0:1], v19, v3, s[0:1]
	v_add_co_u32_e64 v4, s[0:1], v20, v4
	v_addc_co_u32_e64 v5, s[0:1], v21, v5, s[0:1]
	ds_write_b128 v1, v[6:9] offset:32
	ds_write_b128 v1, v[2:5] offset:48
.LBB84_47:
	s_or_b64 exec, exec, s[2:3]
	s_waitcnt lgkmcnt(0)
	s_barrier
	s_and_saveexec_b64 s[0:1], vcc
	s_cbranch_execz .LBB84_49
; %bb.48:
	v_lshl_or_b32 v2, s6, 3, v0
	v_lshlrev_b32_e32 v0, 3, v0
	ds_read_b64 v[0:1], v0
	v_mov_b32_e32 v3, 0
	v_lshlrev_b64 v[2:3], 3, v[2:3]
	v_mov_b32_e32 v4, s9
	v_add_co_u32_e32 v2, vcc, s8, v2
	v_addc_co_u32_e32 v3, vcc, v4, v3, vcc
	s_waitcnt lgkmcnt(0)
	global_store_dwordx2 v[2:3], v[0:1], off
.LBB84_49:
	s_endpgm
	.section	.rodata,"a",@progbits
	.p2align	6, 0x0
	.amdhsa_kernel _ZN9rocsparseL26bsrgemm_group_reduce_part2ILj256ELj8ELj2EfllEEvT4_PKT3_PS1_Pi
		.amdhsa_group_segment_fixed_size 16384
		.amdhsa_private_segment_fixed_size 0
		.amdhsa_kernarg_size 288
		.amdhsa_user_sgpr_count 6
		.amdhsa_user_sgpr_private_segment_buffer 1
		.amdhsa_user_sgpr_dispatch_ptr 0
		.amdhsa_user_sgpr_queue_ptr 0
		.amdhsa_user_sgpr_kernarg_segment_ptr 1
		.amdhsa_user_sgpr_dispatch_id 0
		.amdhsa_user_sgpr_flat_scratch_init 0
		.amdhsa_user_sgpr_kernarg_preload_length 0
		.amdhsa_user_sgpr_kernarg_preload_offset 0
		.amdhsa_user_sgpr_private_segment_size 0
		.amdhsa_uses_dynamic_stack 0
		.amdhsa_system_sgpr_private_segment_wavefront_offset 0
		.amdhsa_system_sgpr_workgroup_id_x 1
		.amdhsa_system_sgpr_workgroup_id_y 0
		.amdhsa_system_sgpr_workgroup_id_z 0
		.amdhsa_system_sgpr_workgroup_info 0
		.amdhsa_system_vgpr_workitem_id 0
		.amdhsa_next_free_vgpr 26
		.amdhsa_next_free_sgpr 38
		.amdhsa_accum_offset 28
		.amdhsa_reserve_vcc 1
		.amdhsa_reserve_flat_scratch 0
		.amdhsa_float_round_mode_32 0
		.amdhsa_float_round_mode_16_64 0
		.amdhsa_float_denorm_mode_32 3
		.amdhsa_float_denorm_mode_16_64 3
		.amdhsa_dx10_clamp 1
		.amdhsa_ieee_mode 1
		.amdhsa_fp16_overflow 0
		.amdhsa_tg_split 0
		.amdhsa_exception_fp_ieee_invalid_op 0
		.amdhsa_exception_fp_denorm_src 0
		.amdhsa_exception_fp_ieee_div_zero 0
		.amdhsa_exception_fp_ieee_overflow 0
		.amdhsa_exception_fp_ieee_underflow 0
		.amdhsa_exception_fp_ieee_inexact 0
		.amdhsa_exception_int_div_zero 0
	.end_amdhsa_kernel
	.section	.text._ZN9rocsparseL26bsrgemm_group_reduce_part2ILj256ELj8ELj2EfllEEvT4_PKT3_PS1_Pi,"axG",@progbits,_ZN9rocsparseL26bsrgemm_group_reduce_part2ILj256ELj8ELj2EfllEEvT4_PKT3_PS1_Pi,comdat
.Lfunc_end84:
	.size	_ZN9rocsparseL26bsrgemm_group_reduce_part2ILj256ELj8ELj2EfllEEvT4_PKT3_PS1_Pi, .Lfunc_end84-_ZN9rocsparseL26bsrgemm_group_reduce_part2ILj256ELj8ELj2EfllEEvT4_PKT3_PS1_Pi
                                        ; -- End function
	.section	.AMDGPU.csdata,"",@progbits
; Kernel info:
; codeLenInByte = 2788
; NumSgprs: 42
; NumVgprs: 26
; NumAgprs: 0
; TotalNumVgprs: 26
; ScratchSize: 0
; MemoryBound: 0
; FloatMode: 240
; IeeeMode: 1
; LDSByteSize: 16384 bytes/workgroup (compile time only)
; SGPRBlocks: 5
; VGPRBlocks: 3
; NumSGPRsForWavesPerEU: 42
; NumVGPRsForWavesPerEU: 26
; AccumOffset: 28
; Occupancy: 4
; WaveLimiterHint : 0
; COMPUTE_PGM_RSRC2:SCRATCH_EN: 0
; COMPUTE_PGM_RSRC2:USER_SGPR: 6
; COMPUTE_PGM_RSRC2:TRAP_HANDLER: 0
; COMPUTE_PGM_RSRC2:TGID_X_EN: 1
; COMPUTE_PGM_RSRC2:TGID_Y_EN: 0
; COMPUTE_PGM_RSRC2:TGID_Z_EN: 0
; COMPUTE_PGM_RSRC2:TIDIG_COMP_CNT: 0
; COMPUTE_PGM_RSRC3_GFX90A:ACCUM_OFFSET: 6
; COMPUTE_PGM_RSRC3_GFX90A:TG_SPLIT: 0
	.section	.text._ZN9rocsparseL26bsrgemm_group_reduce_part2ILj256ELj8ELj8EfllEEvT4_PKT3_PS1_Pi,"axG",@progbits,_ZN9rocsparseL26bsrgemm_group_reduce_part2ILj256ELj8ELj8EfllEEvT4_PKT3_PS1_Pi,comdat
	.globl	_ZN9rocsparseL26bsrgemm_group_reduce_part2ILj256ELj8ELj8EfllEEvT4_PKT3_PS1_Pi ; -- Begin function _ZN9rocsparseL26bsrgemm_group_reduce_part2ILj256ELj8ELj8EfllEEvT4_PKT3_PS1_Pi
	.p2align	8
	.type	_ZN9rocsparseL26bsrgemm_group_reduce_part2ILj256ELj8ELj8EfllEEvT4_PKT3_PS1_Pi,@function
_ZN9rocsparseL26bsrgemm_group_reduce_part2ILj256ELj8ELj8EfllEEvT4_PKT3_PS1_Pi: ; @_ZN9rocsparseL26bsrgemm_group_reduce_part2ILj256ELj8ELj8EfllEEvT4_PKT3_PS1_Pi
; %bb.0:
	s_load_dwordx2 s[10:11], s[4:5], 0x0
	s_load_dwordx2 s[8:9], s[4:5], 0x10
	s_mov_b32 s1, 0
	s_mov_b32 s2, s1
	;; [unrolled: 1-line block ×3, first 2 shown]
	v_lshl_or_b32 v2, s6, 8, v0
	s_mov_b32 s0, s1
	v_pk_mov_b32 v[6:7], s[2:3], s[2:3] op_sel:[0,1]
	v_mov_b32_e32 v3, 0
	v_lshlrev_b32_e32 v1, 6, v0
	v_pk_mov_b32 v[4:5], s[0:1], s[0:1] op_sel:[0,1]
	s_waitcnt lgkmcnt(0)
	v_cmp_gt_i64_e32 vcc, s[10:11], v[2:3]
	ds_write_b128 v1, v[4:7]
	ds_write_b128 v1, v[4:7] offset:16
	ds_write_b128 v1, v[4:7] offset:32
	;; [unrolled: 1-line block ×3, first 2 shown]
	s_waitcnt lgkmcnt(0)
	s_and_saveexec_b64 s[2:3], vcc
	s_cbranch_execz .LBB85_31
; %bb.1:
	s_load_dword s0, s[4:5], 0x20
	s_load_dwordx2 s[12:13], s[4:5], 0x18
	s_load_dwordx2 s[14:15], s[4:5], 0x8
	v_lshlrev_b64 v[4:5], 2, v[2:3]
	s_mov_b64 s[16:17], 0x80
	s_waitcnt lgkmcnt(0)
	s_lshl_b32 s0, s0, 8
	v_mov_b32_e32 v6, s13
	v_add_co_u32_e32 v4, vcc, s12, v4
	v_addc_co_u32_e32 v5, vcc, v6, v5, vcc
	v_lshlrev_b64 v[6:7], 3, v[2:3]
	s_lshl_b64 s[4:5], s[0:1], 2
	v_mov_b32_e32 v8, s15
	v_add_co_u32_e32 v6, vcc, s14, v6
	s_lshl_b64 s[12:13], s[0:1], 3
	v_addc_co_u32_e32 v7, vcc, v8, v7, vcc
	s_mov_b64 s[14:15], 0
	s_mov_b64 s[18:19], 0x100
	s_mov_b64 s[20:21], 0x200
	v_mov_b32_e32 v12, 7
	v_mov_b32_e32 v13, 6
	v_mov_b32_e32 v14, 5
	v_mov_b32_e32 v15, 4
	v_mov_b32_e32 v16, 3
	v_mov_b32_e32 v17, 2
	v_mov_b32_e32 v18, 1
	v_mov_b32_e32 v19, s1
	v_mov_b32_e32 v20, s5
	v_mov_b32_e32 v21, s13
	v_pk_mov_b32 v[8:9], v[2:3], v[2:3] op_sel:[0,1]
	s_branch .LBB85_3
.LBB85_2:                               ;   in Loop: Header=BB85_3 Depth=1
	s_or_b64 exec, exec, s[22:23]
	v_add_co_u32_e32 v8, vcc, s0, v8
	v_addc_co_u32_e32 v9, vcc, v9, v19, vcc
	v_add_co_u32_e32 v4, vcc, s4, v4
	v_addc_co_u32_e32 v5, vcc, v5, v20, vcc
	v_cmp_le_i64_e32 vcc, s[10:11], v[8:9]
	s_or_b64 s[14:15], vcc, s[14:15]
	v_add_co_u32_e32 v6, vcc, s12, v6
	v_addc_co_u32_e32 v7, vcc, v7, v21, vcc
	s_andn2_b64 exec, exec, s[14:15]
	s_cbranch_execz .LBB85_31
.LBB85_3:                               ; =>This Inner Loop Header: Depth=1
	global_load_dwordx4 v[22:25], v[6:7], off
	s_waitcnt vmcnt(0)
	v_sub_co_u32_e32 v10, vcc, v24, v22
	v_subb_co_u32_e32 v11, vcc, v25, v23, vcc
	v_cmp_lt_i64_e32 vcc, 8, v[10:11]
	s_and_saveexec_b64 s[22:23], vcc
	s_xor_b64 s[22:23], exec, s[22:23]
	s_cbranch_execz .LBB85_29
; %bb.4:                                ;   in Loop: Header=BB85_3 Depth=1
	v_cmp_lt_u64_e32 vcc, 16, v[10:11]
	s_and_saveexec_b64 s[24:25], vcc
	s_xor_b64 s[24:25], exec, s[24:25]
	s_cbranch_execz .LBB85_26
; %bb.5:                                ;   in Loop: Header=BB85_3 Depth=1
	v_cmp_lt_u64_e32 vcc, 32, v[10:11]
	;; [unrolled: 5-line block ×6, first 2 shown]
	s_and_saveexec_b64 s[36:37], vcc
	s_xor_b64 s[36:37], exec, s[36:37]
	s_cbranch_execz .LBB85_11
; %bb.10:                               ;   in Loop: Header=BB85_3 Depth=1
	ds_read_b64 v[10:11], v1 offset:56
	global_store_dword v[4:5], v12, off
	s_waitcnt lgkmcnt(0)
	v_add_co_u32_e32 v10, vcc, 1, v10
	v_addc_co_u32_e32 v11, vcc, 0, v11, vcc
	ds_write_b64 v1, v[10:11] offset:56
.LBB85_11:                              ;   in Loop: Header=BB85_3 Depth=1
	s_andn2_saveexec_b64 s[36:37], s[36:37]
	s_cbranch_execz .LBB85_13
; %bb.12:                               ;   in Loop: Header=BB85_3 Depth=1
	ds_read_b64 v[10:11], v1 offset:48
	global_store_dword v[4:5], v13, off
	s_waitcnt lgkmcnt(0)
	v_add_co_u32_e32 v10, vcc, 1, v10
	v_addc_co_u32_e32 v11, vcc, 0, v11, vcc
	ds_write_b64 v1, v[10:11] offset:48
.LBB85_13:                              ;   in Loop: Header=BB85_3 Depth=1
	s_or_b64 exec, exec, s[36:37]
.LBB85_14:                              ;   in Loop: Header=BB85_3 Depth=1
	s_andn2_saveexec_b64 s[34:35], s[34:35]
	s_cbranch_execz .LBB85_16
; %bb.15:                               ;   in Loop: Header=BB85_3 Depth=1
	ds_read_b64 v[10:11], v1 offset:40
	global_store_dword v[4:5], v14, off
	s_waitcnt lgkmcnt(0)
	v_add_co_u32_e32 v10, vcc, 1, v10
	v_addc_co_u32_e32 v11, vcc, 0, v11, vcc
	ds_write_b64 v1, v[10:11] offset:40
.LBB85_16:                              ;   in Loop: Header=BB85_3 Depth=1
	s_or_b64 exec, exec, s[34:35]
.LBB85_17:                              ;   in Loop: Header=BB85_3 Depth=1
	s_andn2_saveexec_b64 s[30:31], s[30:31]
	s_cbranch_execz .LBB85_19
; %bb.18:                               ;   in Loop: Header=BB85_3 Depth=1
	ds_read_b64 v[10:11], v1 offset:32
	global_store_dword v[4:5], v15, off
	s_waitcnt lgkmcnt(0)
	v_add_co_u32_e32 v10, vcc, 1, v10
	v_addc_co_u32_e32 v11, vcc, 0, v11, vcc
	ds_write_b64 v1, v[10:11] offset:32
.LBB85_19:                              ;   in Loop: Header=BB85_3 Depth=1
	s_or_b64 exec, exec, s[30:31]
.LBB85_20:                              ;   in Loop: Header=BB85_3 Depth=1
	s_andn2_saveexec_b64 s[28:29], s[28:29]
	s_cbranch_execz .LBB85_22
; %bb.21:                               ;   in Loop: Header=BB85_3 Depth=1
	ds_read_b64 v[10:11], v1 offset:24
	global_store_dword v[4:5], v16, off
	s_waitcnt lgkmcnt(0)
	v_add_co_u32_e32 v10, vcc, 1, v10
	v_addc_co_u32_e32 v11, vcc, 0, v11, vcc
	ds_write_b64 v1, v[10:11] offset:24
.LBB85_22:                              ;   in Loop: Header=BB85_3 Depth=1
	s_or_b64 exec, exec, s[28:29]
.LBB85_23:                              ;   in Loop: Header=BB85_3 Depth=1
	s_andn2_saveexec_b64 s[26:27], s[26:27]
	s_cbranch_execz .LBB85_25
; %bb.24:                               ;   in Loop: Header=BB85_3 Depth=1
	ds_read_b64 v[10:11], v1 offset:16
	global_store_dword v[4:5], v17, off
	s_waitcnt lgkmcnt(0)
	v_add_co_u32_e32 v10, vcc, 1, v10
	v_addc_co_u32_e32 v11, vcc, 0, v11, vcc
	ds_write_b64 v1, v[10:11] offset:16
.LBB85_25:                              ;   in Loop: Header=BB85_3 Depth=1
	s_or_b64 exec, exec, s[26:27]
.LBB85_26:                              ;   in Loop: Header=BB85_3 Depth=1
	s_andn2_saveexec_b64 s[24:25], s[24:25]
	s_cbranch_execz .LBB85_28
; %bb.27:                               ;   in Loop: Header=BB85_3 Depth=1
	ds_read_b64 v[10:11], v1 offset:8
	global_store_dword v[4:5], v18, off
	s_waitcnt lgkmcnt(0)
	v_add_co_u32_e32 v10, vcc, 1, v10
	v_addc_co_u32_e32 v11, vcc, 0, v11, vcc
	ds_write_b64 v1, v[10:11] offset:8
.LBB85_28:                              ;   in Loop: Header=BB85_3 Depth=1
	s_or_b64 exec, exec, s[24:25]
.LBB85_29:                              ;   in Loop: Header=BB85_3 Depth=1
	s_andn2_saveexec_b64 s[22:23], s[22:23]
	s_cbranch_execz .LBB85_2
; %bb.30:                               ;   in Loop: Header=BB85_3 Depth=1
	ds_read_b64 v[10:11], v1
	global_store_dword v[4:5], v3, off
	s_waitcnt lgkmcnt(0)
	v_add_co_u32_e32 v10, vcc, 1, v10
	v_addc_co_u32_e32 v11, vcc, 0, v11, vcc
	ds_write_b64 v1, v[10:11]
	s_branch .LBB85_2
.LBB85_31:
	s_or_b64 exec, exec, s[2:3]
	s_movk_i32 s0, 0x80
	v_cmp_gt_u32_e32 vcc, s0, v0
	s_waitcnt lgkmcnt(0)
	s_barrier
	s_barrier
	;; [unrolled: 1-line block ×3, first 2 shown]
	s_and_saveexec_b64 s[0:1], vcc
	s_cbranch_execz .LBB85_33
; %bb.32:
	ds_read_b128 v[2:5], v1 offset:8192
	ds_read_b128 v[6:9], v1
	ds_read_b128 v[10:13], v1 offset:16
	ds_read_b128 v[14:17], v1 offset:32
	ds_read_b128 v[18:21], v1 offset:48
	ds_read_b128 v[22:25], v1 offset:8208
	s_waitcnt lgkmcnt(4)
	v_add_co_u32_e32 v2, vcc, v6, v2
	v_addc_co_u32_e32 v3, vcc, v7, v3, vcc
	v_add_co_u32_e32 v4, vcc, v8, v4
	v_addc_co_u32_e32 v5, vcc, v9, v5, vcc
	ds_write_b128 v1, v[2:5]
	s_waitcnt lgkmcnt(1)
	v_add_co_u32_e32 v2, vcc, v10, v22
	ds_read_b128 v[6:9], v1 offset:8224
	v_addc_co_u32_e32 v3, vcc, v11, v23, vcc
	v_add_co_u32_e32 v4, vcc, v12, v24
	v_addc_co_u32_e32 v5, vcc, v13, v25, vcc
	ds_write_b128 v1, v[2:5] offset:16
	ds_read_b128 v[2:5], v1 offset:8240
	s_waitcnt lgkmcnt(2)
	v_add_co_u32_e32 v6, vcc, v14, v6
	v_addc_co_u32_e32 v7, vcc, v15, v7, vcc
	v_add_co_u32_e32 v8, vcc, v16, v8
	v_addc_co_u32_e32 v9, vcc, v17, v9, vcc
	s_waitcnt lgkmcnt(0)
	v_add_co_u32_e32 v2, vcc, v18, v2
	v_addc_co_u32_e32 v3, vcc, v19, v3, vcc
	v_add_co_u32_e32 v4, vcc, v20, v4
	v_addc_co_u32_e32 v5, vcc, v21, v5, vcc
	ds_write_b128 v1, v[6:9] offset:32
	ds_write_b128 v1, v[2:5] offset:48
.LBB85_33:
	s_or_b64 exec, exec, s[0:1]
	v_cmp_gt_u32_e32 vcc, 64, v0
	s_waitcnt lgkmcnt(0)
	s_barrier
	s_and_saveexec_b64 s[0:1], vcc
	s_cbranch_execz .LBB85_35
; %bb.34:
	ds_read_b128 v[2:5], v1 offset:4096
	ds_read_b128 v[6:9], v1
	ds_read_b128 v[10:13], v1 offset:16
	ds_read_b128 v[14:17], v1 offset:32
	ds_read_b128 v[18:21], v1 offset:48
	ds_read_b128 v[22:25], v1 offset:4112
	s_waitcnt lgkmcnt(4)
	v_add_co_u32_e32 v2, vcc, v6, v2
	v_addc_co_u32_e32 v3, vcc, v7, v3, vcc
	v_add_co_u32_e32 v4, vcc, v8, v4
	v_addc_co_u32_e32 v5, vcc, v9, v5, vcc
	ds_write_b128 v1, v[2:5]
	s_waitcnt lgkmcnt(1)
	v_add_co_u32_e32 v2, vcc, v10, v22
	ds_read_b128 v[6:9], v1 offset:4128
	v_addc_co_u32_e32 v3, vcc, v11, v23, vcc
	v_add_co_u32_e32 v4, vcc, v12, v24
	v_addc_co_u32_e32 v5, vcc, v13, v25, vcc
	ds_write_b128 v1, v[2:5] offset:16
	ds_read_b128 v[2:5], v1 offset:4144
	s_waitcnt lgkmcnt(2)
	v_add_co_u32_e32 v6, vcc, v14, v6
	v_addc_co_u32_e32 v7, vcc, v15, v7, vcc
	v_add_co_u32_e32 v8, vcc, v16, v8
	v_addc_co_u32_e32 v9, vcc, v17, v9, vcc
	s_waitcnt lgkmcnt(0)
	v_add_co_u32_e32 v2, vcc, v18, v2
	v_addc_co_u32_e32 v3, vcc, v19, v3, vcc
	v_add_co_u32_e32 v4, vcc, v20, v4
	v_addc_co_u32_e32 v5, vcc, v21, v5, vcc
	ds_write_b128 v1, v[6:9] offset:32
	ds_write_b128 v1, v[2:5] offset:48
.LBB85_35:
	s_or_b64 exec, exec, s[0:1]
	v_cmp_gt_u32_e32 vcc, 32, v0
	s_waitcnt lgkmcnt(0)
	s_barrier
	;; [unrolled: 40-line block ×4, first 2 shown]
	s_and_saveexec_b64 s[2:3], vcc
	s_cbranch_execz .LBB85_41
; %bb.40:
	ds_read_b128 v[2:5], v1 offset:512
	ds_read_b128 v[6:9], v1
	ds_read_b128 v[10:13], v1 offset:16
	ds_read_b128 v[14:17], v1 offset:32
	;; [unrolled: 1-line block ×4, first 2 shown]
	s_waitcnt lgkmcnt(4)
	v_add_co_u32_e64 v2, s[0:1], v6, v2
	v_addc_co_u32_e64 v3, s[0:1], v7, v3, s[0:1]
	v_add_co_u32_e64 v4, s[0:1], v8, v4
	v_addc_co_u32_e64 v5, s[0:1], v9, v5, s[0:1]
	ds_write_b128 v1, v[2:5]
	s_waitcnt lgkmcnt(1)
	v_add_co_u32_e64 v2, s[0:1], v10, v22
	ds_read_b128 v[6:9], v1 offset:544
	v_addc_co_u32_e64 v3, s[0:1], v11, v23, s[0:1]
	v_add_co_u32_e64 v4, s[0:1], v12, v24
	v_addc_co_u32_e64 v5, s[0:1], v13, v25, s[0:1]
	ds_write_b128 v1, v[2:5] offset:16
	ds_read_b128 v[2:5], v1 offset:560
	s_waitcnt lgkmcnt(2)
	v_add_co_u32_e64 v6, s[0:1], v14, v6
	v_addc_co_u32_e64 v7, s[0:1], v15, v7, s[0:1]
	v_add_co_u32_e64 v8, s[0:1], v16, v8
	v_addc_co_u32_e64 v9, s[0:1], v17, v9, s[0:1]
	s_waitcnt lgkmcnt(0)
	v_add_co_u32_e64 v2, s[0:1], v18, v2
	v_addc_co_u32_e64 v3, s[0:1], v19, v3, s[0:1]
	v_add_co_u32_e64 v4, s[0:1], v20, v4
	v_addc_co_u32_e64 v5, s[0:1], v21, v5, s[0:1]
	ds_write_b128 v1, v[6:9] offset:32
	ds_write_b128 v1, v[2:5] offset:48
.LBB85_41:
	s_or_b64 exec, exec, s[2:3]
	v_cmp_gt_u32_e64 s[0:1], 4, v0
	s_waitcnt lgkmcnt(0)
	s_barrier
	s_and_saveexec_b64 s[2:3], s[0:1]
	s_cbranch_execz .LBB85_43
; %bb.42:
	ds_read_b128 v[2:5], v1 offset:256
	ds_read_b128 v[6:9], v1
	ds_read_b128 v[10:13], v1 offset:16
	ds_read_b128 v[14:17], v1 offset:32
	ds_read_b128 v[18:21], v1 offset:48
	ds_read_b128 v[22:25], v1 offset:272
	s_waitcnt lgkmcnt(4)
	v_add_co_u32_e64 v2, s[0:1], v6, v2
	v_addc_co_u32_e64 v3, s[0:1], v7, v3, s[0:1]
	v_add_co_u32_e64 v4, s[0:1], v8, v4
	v_addc_co_u32_e64 v5, s[0:1], v9, v5, s[0:1]
	ds_write_b128 v1, v[2:5]
	s_waitcnt lgkmcnt(1)
	v_add_co_u32_e64 v2, s[0:1], v10, v22
	ds_read_b128 v[6:9], v1 offset:288
	v_addc_co_u32_e64 v3, s[0:1], v11, v23, s[0:1]
	v_add_co_u32_e64 v4, s[0:1], v12, v24
	v_addc_co_u32_e64 v5, s[0:1], v13, v25, s[0:1]
	ds_write_b128 v1, v[2:5] offset:16
	ds_read_b128 v[2:5], v1 offset:304
	s_waitcnt lgkmcnt(2)
	v_add_co_u32_e64 v6, s[0:1], v14, v6
	v_addc_co_u32_e64 v7, s[0:1], v15, v7, s[0:1]
	v_add_co_u32_e64 v8, s[0:1], v16, v8
	v_addc_co_u32_e64 v9, s[0:1], v17, v9, s[0:1]
	s_waitcnt lgkmcnt(0)
	v_add_co_u32_e64 v2, s[0:1], v18, v2
	v_addc_co_u32_e64 v3, s[0:1], v19, v3, s[0:1]
	v_add_co_u32_e64 v4, s[0:1], v20, v4
	v_addc_co_u32_e64 v5, s[0:1], v21, v5, s[0:1]
	ds_write_b128 v1, v[6:9] offset:32
	ds_write_b128 v1, v[2:5] offset:48
.LBB85_43:
	s_or_b64 exec, exec, s[2:3]
	v_cmp_gt_u32_e64 s[0:1], 2, v0
	s_waitcnt lgkmcnt(0)
	s_barrier
	s_and_saveexec_b64 s[2:3], s[0:1]
	s_cbranch_execz .LBB85_45
; %bb.44:
	ds_read_b128 v[2:5], v1 offset:128
	ds_read_b128 v[6:9], v1
	ds_read_b128 v[10:13], v1 offset:16
	ds_read_b128 v[14:17], v1 offset:32
	;; [unrolled: 1-line block ×4, first 2 shown]
	s_waitcnt lgkmcnt(4)
	v_add_co_u32_e64 v2, s[0:1], v6, v2
	v_addc_co_u32_e64 v3, s[0:1], v7, v3, s[0:1]
	v_add_co_u32_e64 v4, s[0:1], v8, v4
	v_addc_co_u32_e64 v5, s[0:1], v9, v5, s[0:1]
	ds_write_b128 v1, v[2:5]
	s_waitcnt lgkmcnt(1)
	v_add_co_u32_e64 v2, s[0:1], v10, v22
	ds_read_b128 v[6:9], v1 offset:160
	v_addc_co_u32_e64 v3, s[0:1], v11, v23, s[0:1]
	v_add_co_u32_e64 v4, s[0:1], v12, v24
	v_addc_co_u32_e64 v5, s[0:1], v13, v25, s[0:1]
	ds_write_b128 v1, v[2:5] offset:16
	ds_read_b128 v[2:5], v1 offset:176
	s_waitcnt lgkmcnt(2)
	v_add_co_u32_e64 v6, s[0:1], v14, v6
	v_addc_co_u32_e64 v7, s[0:1], v15, v7, s[0:1]
	v_add_co_u32_e64 v8, s[0:1], v16, v8
	v_addc_co_u32_e64 v9, s[0:1], v17, v9, s[0:1]
	s_waitcnt lgkmcnt(0)
	v_add_co_u32_e64 v2, s[0:1], v18, v2
	v_addc_co_u32_e64 v3, s[0:1], v19, v3, s[0:1]
	v_add_co_u32_e64 v4, s[0:1], v20, v4
	v_addc_co_u32_e64 v5, s[0:1], v21, v5, s[0:1]
	ds_write_b128 v1, v[6:9] offset:32
	ds_write_b128 v1, v[2:5] offset:48
.LBB85_45:
	s_or_b64 exec, exec, s[2:3]
	v_cmp_eq_u32_e64 s[0:1], 0, v0
	s_waitcnt lgkmcnt(0)
	s_barrier
	s_and_saveexec_b64 s[2:3], s[0:1]
	s_cbranch_execz .LBB85_47
; %bb.46:
	v_mov_b32_e32 v1, 0
	ds_read_b128 v[2:5], v1 offset:64
	ds_read_b128 v[6:9], v1
	ds_read_b128 v[10:13], v1 offset:16
	ds_read_b128 v[14:17], v1 offset:32
	;; [unrolled: 1-line block ×4, first 2 shown]
	s_waitcnt lgkmcnt(4)
	v_add_co_u32_e64 v2, s[0:1], v6, v2
	v_addc_co_u32_e64 v3, s[0:1], v7, v3, s[0:1]
	v_add_co_u32_e64 v4, s[0:1], v8, v4
	v_addc_co_u32_e64 v5, s[0:1], v9, v5, s[0:1]
	ds_write_b128 v1, v[2:5]
	s_waitcnt lgkmcnt(1)
	v_add_co_u32_e64 v2, s[0:1], v10, v22
	ds_read_b128 v[6:9], v1 offset:96
	v_addc_co_u32_e64 v3, s[0:1], v11, v23, s[0:1]
	v_add_co_u32_e64 v4, s[0:1], v12, v24
	v_addc_co_u32_e64 v5, s[0:1], v13, v25, s[0:1]
	ds_write_b128 v1, v[2:5] offset:16
	ds_read_b128 v[2:5], v1 offset:112
	s_waitcnt lgkmcnt(2)
	v_add_co_u32_e64 v6, s[0:1], v14, v6
	v_addc_co_u32_e64 v7, s[0:1], v15, v7, s[0:1]
	v_add_co_u32_e64 v8, s[0:1], v16, v8
	v_addc_co_u32_e64 v9, s[0:1], v17, v9, s[0:1]
	s_waitcnt lgkmcnt(0)
	v_add_co_u32_e64 v2, s[0:1], v18, v2
	v_addc_co_u32_e64 v3, s[0:1], v19, v3, s[0:1]
	v_add_co_u32_e64 v4, s[0:1], v20, v4
	v_addc_co_u32_e64 v5, s[0:1], v21, v5, s[0:1]
	ds_write_b128 v1, v[6:9] offset:32
	ds_write_b128 v1, v[2:5] offset:48
.LBB85_47:
	s_or_b64 exec, exec, s[2:3]
	s_waitcnt lgkmcnt(0)
	s_barrier
	s_and_saveexec_b64 s[0:1], vcc
	s_cbranch_execz .LBB85_49
; %bb.48:
	v_lshl_or_b32 v2, s6, 3, v0
	v_lshlrev_b32_e32 v0, 3, v0
	ds_read_b64 v[0:1], v0
	v_mov_b32_e32 v3, 0
	v_lshlrev_b64 v[2:3], 3, v[2:3]
	v_mov_b32_e32 v4, s9
	v_add_co_u32_e32 v2, vcc, s8, v2
	v_addc_co_u32_e32 v3, vcc, v4, v3, vcc
	s_waitcnt lgkmcnt(0)
	global_store_dwordx2 v[2:3], v[0:1], off
.LBB85_49:
	s_endpgm
	.section	.rodata,"a",@progbits
	.p2align	6, 0x0
	.amdhsa_kernel _ZN9rocsparseL26bsrgemm_group_reduce_part2ILj256ELj8ELj8EfllEEvT4_PKT3_PS1_Pi
		.amdhsa_group_segment_fixed_size 16384
		.amdhsa_private_segment_fixed_size 0
		.amdhsa_kernarg_size 288
		.amdhsa_user_sgpr_count 6
		.amdhsa_user_sgpr_private_segment_buffer 1
		.amdhsa_user_sgpr_dispatch_ptr 0
		.amdhsa_user_sgpr_queue_ptr 0
		.amdhsa_user_sgpr_kernarg_segment_ptr 1
		.amdhsa_user_sgpr_dispatch_id 0
		.amdhsa_user_sgpr_flat_scratch_init 0
		.amdhsa_user_sgpr_kernarg_preload_length 0
		.amdhsa_user_sgpr_kernarg_preload_offset 0
		.amdhsa_user_sgpr_private_segment_size 0
		.amdhsa_uses_dynamic_stack 0
		.amdhsa_system_sgpr_private_segment_wavefront_offset 0
		.amdhsa_system_sgpr_workgroup_id_x 1
		.amdhsa_system_sgpr_workgroup_id_y 0
		.amdhsa_system_sgpr_workgroup_id_z 0
		.amdhsa_system_sgpr_workgroup_info 0
		.amdhsa_system_vgpr_workitem_id 0
		.amdhsa_next_free_vgpr 26
		.amdhsa_next_free_sgpr 38
		.amdhsa_accum_offset 28
		.amdhsa_reserve_vcc 1
		.amdhsa_reserve_flat_scratch 0
		.amdhsa_float_round_mode_32 0
		.amdhsa_float_round_mode_16_64 0
		.amdhsa_float_denorm_mode_32 3
		.amdhsa_float_denorm_mode_16_64 3
		.amdhsa_dx10_clamp 1
		.amdhsa_ieee_mode 1
		.amdhsa_fp16_overflow 0
		.amdhsa_tg_split 0
		.amdhsa_exception_fp_ieee_invalid_op 0
		.amdhsa_exception_fp_denorm_src 0
		.amdhsa_exception_fp_ieee_div_zero 0
		.amdhsa_exception_fp_ieee_overflow 0
		.amdhsa_exception_fp_ieee_underflow 0
		.amdhsa_exception_fp_ieee_inexact 0
		.amdhsa_exception_int_div_zero 0
	.end_amdhsa_kernel
	.section	.text._ZN9rocsparseL26bsrgemm_group_reduce_part2ILj256ELj8ELj8EfllEEvT4_PKT3_PS1_Pi,"axG",@progbits,_ZN9rocsparseL26bsrgemm_group_reduce_part2ILj256ELj8ELj8EfllEEvT4_PKT3_PS1_Pi,comdat
.Lfunc_end85:
	.size	_ZN9rocsparseL26bsrgemm_group_reduce_part2ILj256ELj8ELj8EfllEEvT4_PKT3_PS1_Pi, .Lfunc_end85-_ZN9rocsparseL26bsrgemm_group_reduce_part2ILj256ELj8ELj8EfllEEvT4_PKT3_PS1_Pi
                                        ; -- End function
	.section	.AMDGPU.csdata,"",@progbits
; Kernel info:
; codeLenInByte = 2788
; NumSgprs: 42
; NumVgprs: 26
; NumAgprs: 0
; TotalNumVgprs: 26
; ScratchSize: 0
; MemoryBound: 0
; FloatMode: 240
; IeeeMode: 1
; LDSByteSize: 16384 bytes/workgroup (compile time only)
; SGPRBlocks: 5
; VGPRBlocks: 3
; NumSGPRsForWavesPerEU: 42
; NumVGPRsForWavesPerEU: 26
; AccumOffset: 28
; Occupancy: 4
; WaveLimiterHint : 0
; COMPUTE_PGM_RSRC2:SCRATCH_EN: 0
; COMPUTE_PGM_RSRC2:USER_SGPR: 6
; COMPUTE_PGM_RSRC2:TRAP_HANDLER: 0
; COMPUTE_PGM_RSRC2:TGID_X_EN: 1
; COMPUTE_PGM_RSRC2:TGID_Y_EN: 0
; COMPUTE_PGM_RSRC2:TGID_Z_EN: 0
; COMPUTE_PGM_RSRC2:TIDIG_COMP_CNT: 0
; COMPUTE_PGM_RSRC3_GFX90A:ACCUM_OFFSET: 6
; COMPUTE_PGM_RSRC3_GFX90A:TG_SPLIT: 0
	.section	.text._ZN9rocsparseL26bsrgemm_group_reduce_part3ILj256ELj8ElEEvPT1_,"axG",@progbits,_ZN9rocsparseL26bsrgemm_group_reduce_part3ILj256ELj8ElEEvPT1_,comdat
	.globl	_ZN9rocsparseL26bsrgemm_group_reduce_part3ILj256ELj8ElEEvPT1_ ; -- Begin function _ZN9rocsparseL26bsrgemm_group_reduce_part3ILj256ELj8ElEEvPT1_
	.p2align	8
	.type	_ZN9rocsparseL26bsrgemm_group_reduce_part3ILj256ELj8ElEEvPT1_,@function
_ZN9rocsparseL26bsrgemm_group_reduce_part3ILj256ELj8ElEEvPT1_: ; @_ZN9rocsparseL26bsrgemm_group_reduce_part3ILj256ELj8ElEEvPT1_
; %bb.0:
	s_load_dwordx2 s[0:1], s[4:5], 0x0
	v_lshlrev_b32_e32 v1, 3, v0
	v_or_b32_e32 v16, 0x400, v0
	v_lshlrev_b32_e32 v17, 3, v16
	s_movk_i32 s2, 0x700
	s_waitcnt lgkmcnt(0)
	v_mov_b32_e32 v3, s1
	v_add_co_u32_e32 v2, vcc, s0, v1
	v_addc_co_u32_e32 v3, vcc, 0, v3, vcc
	v_add_co_u32_e32 v4, vcc, 0x1000, v2
	v_addc_co_u32_e32 v5, vcc, 0, v3, vcc
	global_load_dwordx2 v[6:7], v17, s[0:1]
	global_load_dwordx2 v[8:9], v1, s[0:1]
	global_load_dwordx2 v[10:11], v1, s[0:1] offset:2048
	global_load_dwordx2 v[12:13], v[4:5], off
	global_load_dwordx2 v[14:15], v[4:5], off offset:2048
	v_cmp_gt_u32_e32 vcc, s2, v16
	s_waitcnt vmcnt(2)
	ds_write2st64_b64 v1, v[8:9], v[10:11] offset1:4
	ds_write_b64 v1, v[6:7] offset:8192
	s_waitcnt vmcnt(0)
	ds_write2st64_b64 v1, v[12:13], v[14:15] offset0:8 offset1:12
	s_and_saveexec_b64 s[2:3], vcc
	s_cbranch_execz .LBB86_4
; %bb.1:
	v_add_co_u32_e32 v4, vcc, 0x2000, v2
	v_addc_co_u32_e32 v5, vcc, 0, v3, vcc
	global_load_dwordx2 v[4:5], v[4:5], off offset:2048
	s_movk_i32 s4, 0x200
	v_cmp_gt_u32_e32 vcc, s4, v0
	s_waitcnt vmcnt(0)
	ds_write_b64 v1, v[4:5] offset:10240
	s_and_saveexec_b64 s[4:5], vcc
	s_xor_b64 s[4:5], exec, s[4:5]
	s_cbranch_execz .LBB86_4
; %bb.2:
	v_mov_b32_e32 v4, 0x3000
	v_lshl_or_b32 v4, v0, 3, v4
	global_load_dwordx2 v[4:5], v4, s[0:1]
	s_movk_i32 s0, 0x100
	v_cmp_gt_u32_e32 vcc, s0, v0
	s_waitcnt vmcnt(0)
	ds_write_b64 v1, v[4:5] offset:12288
	s_and_saveexec_b64 s[0:1], vcc
	s_xor_b64 s[0:1], exec, s[0:1]
	s_cbranch_execz .LBB86_4
; %bb.3:
	v_add_co_u32_e32 v4, vcc, 0x3000, v2
	v_addc_co_u32_e32 v5, vcc, 0, v3, vcc
	global_load_dwordx2 v[4:5], v[4:5], off offset:2048
	s_waitcnt vmcnt(0)
	ds_write_b64 v1, v[4:5] offset:14336
.LBB86_4:
	s_or_b64 exec, exec, s[2:3]
	s_movk_i32 s0, 0x80
	v_cmp_gt_u32_e32 vcc, s0, v0
	s_waitcnt lgkmcnt(0)
	s_barrier
	s_barrier
	;; [unrolled: 1-line block ×3, first 2 shown]
	s_and_saveexec_b64 s[0:1], vcc
	s_cbranch_execz .LBB86_6
; %bb.5:
	v_mad_u32_u24 v28, v0, 56, v1
	ds_read_b128 v[4:7], v28 offset:8192
	ds_read_b128 v[8:11], v28
	ds_read_b128 v[12:15], v28 offset:16
	ds_read_b128 v[16:19], v28 offset:32
	ds_read_b128 v[20:23], v28 offset:48
	ds_read_b128 v[24:27], v28 offset:8208
	s_waitcnt lgkmcnt(4)
	v_add_co_u32_e32 v4, vcc, v8, v4
	v_addc_co_u32_e32 v5, vcc, v9, v5, vcc
	v_add_co_u32_e32 v6, vcc, v10, v6
	v_addc_co_u32_e32 v7, vcc, v11, v7, vcc
	ds_write_b128 v28, v[4:7]
	s_waitcnt lgkmcnt(1)
	v_add_co_u32_e32 v4, vcc, v12, v24
	ds_read_b128 v[8:11], v28 offset:8224
	v_addc_co_u32_e32 v5, vcc, v13, v25, vcc
	v_add_co_u32_e32 v6, vcc, v14, v26
	v_addc_co_u32_e32 v7, vcc, v15, v27, vcc
	ds_write_b128 v28, v[4:7] offset:16
	ds_read_b128 v[4:7], v28 offset:8240
	s_waitcnt lgkmcnt(2)
	v_add_co_u32_e32 v8, vcc, v16, v8
	v_addc_co_u32_e32 v9, vcc, v17, v9, vcc
	v_add_co_u32_e32 v10, vcc, v18, v10
	v_addc_co_u32_e32 v11, vcc, v19, v11, vcc
	s_waitcnt lgkmcnt(0)
	v_add_co_u32_e32 v4, vcc, v20, v4
	v_addc_co_u32_e32 v5, vcc, v21, v5, vcc
	v_add_co_u32_e32 v6, vcc, v22, v6
	v_addc_co_u32_e32 v7, vcc, v23, v7, vcc
	ds_write_b128 v28, v[8:11] offset:32
	ds_write_b128 v28, v[4:7] offset:48
.LBB86_6:
	s_or_b64 exec, exec, s[0:1]
	v_cmp_gt_u32_e32 vcc, 64, v0
	v_lshlrev_b32_e32 v4, 6, v0
	s_waitcnt lgkmcnt(0)
	s_barrier
	s_and_saveexec_b64 s[0:1], vcc
	s_cbranch_execz .LBB86_8
; %bb.7:
	ds_read_b128 v[6:9], v4 offset:4096
	ds_read_b128 v[10:13], v4
	ds_read_b128 v[14:17], v4 offset:16
	ds_read_b128 v[18:21], v4 offset:32
	ds_read_b128 v[22:25], v4 offset:48
	ds_read_b128 v[26:29], v4 offset:4112
	s_waitcnt lgkmcnt(4)
	v_add_co_u32_e32 v6, vcc, v10, v6
	v_addc_co_u32_e32 v7, vcc, v11, v7, vcc
	v_add_co_u32_e32 v8, vcc, v12, v8
	v_addc_co_u32_e32 v9, vcc, v13, v9, vcc
	ds_write_b128 v4, v[6:9]
	s_waitcnt lgkmcnt(1)
	v_add_co_u32_e32 v6, vcc, v14, v26
	ds_read_b128 v[10:13], v4 offset:4128
	v_addc_co_u32_e32 v7, vcc, v15, v27, vcc
	v_add_co_u32_e32 v8, vcc, v16, v28
	v_addc_co_u32_e32 v9, vcc, v17, v29, vcc
	ds_write_b128 v4, v[6:9] offset:16
	ds_read_b128 v[6:9], v4 offset:4144
	s_waitcnt lgkmcnt(2)
	v_add_co_u32_e32 v10, vcc, v18, v10
	v_addc_co_u32_e32 v11, vcc, v19, v11, vcc
	v_add_co_u32_e32 v12, vcc, v20, v12
	v_addc_co_u32_e32 v13, vcc, v21, v13, vcc
	s_waitcnt lgkmcnt(0)
	v_add_co_u32_e32 v6, vcc, v22, v6
	v_addc_co_u32_e32 v7, vcc, v23, v7, vcc
	v_add_co_u32_e32 v8, vcc, v24, v8
	v_addc_co_u32_e32 v9, vcc, v25, v9, vcc
	ds_write_b128 v4, v[10:13] offset:32
	ds_write_b128 v4, v[6:9] offset:48
.LBB86_8:
	s_or_b64 exec, exec, s[0:1]
	v_cmp_gt_u32_e32 vcc, 32, v0
	s_waitcnt lgkmcnt(0)
	s_barrier
	s_and_saveexec_b64 s[0:1], vcc
	s_cbranch_execz .LBB86_10
; %bb.9:
	ds_read_b128 v[6:9], v4 offset:2048
	ds_read_b128 v[10:13], v4
	ds_read_b128 v[14:17], v4 offset:16
	ds_read_b128 v[18:21], v4 offset:32
	ds_read_b128 v[22:25], v4 offset:48
	ds_read_b128 v[26:29], v4 offset:2064
	s_waitcnt lgkmcnt(4)
	v_add_co_u32_e32 v6, vcc, v10, v6
	v_addc_co_u32_e32 v7, vcc, v11, v7, vcc
	v_add_co_u32_e32 v8, vcc, v12, v8
	v_addc_co_u32_e32 v9, vcc, v13, v9, vcc
	ds_write_b128 v4, v[6:9]
	s_waitcnt lgkmcnt(1)
	v_add_co_u32_e32 v6, vcc, v14, v26
	ds_read_b128 v[10:13], v4 offset:2080
	v_addc_co_u32_e32 v7, vcc, v15, v27, vcc
	v_add_co_u32_e32 v8, vcc, v16, v28
	v_addc_co_u32_e32 v9, vcc, v17, v29, vcc
	ds_write_b128 v4, v[6:9] offset:16
	ds_read_b128 v[6:9], v4 offset:2096
	s_waitcnt lgkmcnt(2)
	v_add_co_u32_e32 v10, vcc, v18, v10
	v_addc_co_u32_e32 v11, vcc, v19, v11, vcc
	v_add_co_u32_e32 v12, vcc, v20, v12
	v_addc_co_u32_e32 v13, vcc, v21, v13, vcc
	s_waitcnt lgkmcnt(0)
	v_add_co_u32_e32 v6, vcc, v22, v6
	v_addc_co_u32_e32 v7, vcc, v23, v7, vcc
	v_add_co_u32_e32 v8, vcc, v24, v8
	v_addc_co_u32_e32 v9, vcc, v25, v9, vcc
	ds_write_b128 v4, v[10:13] offset:32
	ds_write_b128 v4, v[6:9] offset:48
.LBB86_10:
	s_or_b64 exec, exec, s[0:1]
	v_cmp_gt_u32_e32 vcc, 16, v0
	;; [unrolled: 40-line block ×3, first 2 shown]
	s_waitcnt lgkmcnt(0)
	s_barrier
	s_and_saveexec_b64 s[2:3], vcc
	s_cbranch_execz .LBB86_14
; %bb.13:
	ds_read_b128 v[6:9], v4 offset:512
	ds_read_b128 v[10:13], v4
	ds_read_b128 v[14:17], v4 offset:16
	ds_read_b128 v[18:21], v4 offset:32
	;; [unrolled: 1-line block ×4, first 2 shown]
	s_waitcnt lgkmcnt(4)
	v_add_co_u32_e64 v6, s[0:1], v10, v6
	v_addc_co_u32_e64 v7, s[0:1], v11, v7, s[0:1]
	v_add_co_u32_e64 v8, s[0:1], v12, v8
	v_addc_co_u32_e64 v9, s[0:1], v13, v9, s[0:1]
	ds_write_b128 v4, v[6:9]
	s_waitcnt lgkmcnt(1)
	v_add_co_u32_e64 v6, s[0:1], v14, v26
	ds_read_b128 v[10:13], v4 offset:544
	v_addc_co_u32_e64 v7, s[0:1], v15, v27, s[0:1]
	v_add_co_u32_e64 v8, s[0:1], v16, v28
	v_addc_co_u32_e64 v9, s[0:1], v17, v29, s[0:1]
	ds_write_b128 v4, v[6:9] offset:16
	ds_read_b128 v[6:9], v4 offset:560
	s_waitcnt lgkmcnt(2)
	v_add_co_u32_e64 v10, s[0:1], v18, v10
	v_addc_co_u32_e64 v11, s[0:1], v19, v11, s[0:1]
	v_add_co_u32_e64 v12, s[0:1], v20, v12
	v_addc_co_u32_e64 v13, s[0:1], v21, v13, s[0:1]
	s_waitcnt lgkmcnt(0)
	v_add_co_u32_e64 v6, s[0:1], v22, v6
	v_addc_co_u32_e64 v7, s[0:1], v23, v7, s[0:1]
	v_add_co_u32_e64 v8, s[0:1], v24, v8
	v_addc_co_u32_e64 v9, s[0:1], v25, v9, s[0:1]
	ds_write_b128 v4, v[10:13] offset:32
	ds_write_b128 v4, v[6:9] offset:48
.LBB86_14:
	s_or_b64 exec, exec, s[2:3]
	v_cmp_gt_u32_e64 s[0:1], 4, v0
	s_waitcnt lgkmcnt(0)
	s_barrier
	s_and_saveexec_b64 s[2:3], s[0:1]
	s_cbranch_execz .LBB86_16
; %bb.15:
	ds_read_b128 v[6:9], v4 offset:256
	ds_read_b128 v[10:13], v4
	ds_read_b128 v[14:17], v4 offset:16
	ds_read_b128 v[18:21], v4 offset:32
	;; [unrolled: 1-line block ×4, first 2 shown]
	s_waitcnt lgkmcnt(4)
	v_add_co_u32_e64 v6, s[0:1], v10, v6
	v_addc_co_u32_e64 v7, s[0:1], v11, v7, s[0:1]
	v_add_co_u32_e64 v8, s[0:1], v12, v8
	v_addc_co_u32_e64 v9, s[0:1], v13, v9, s[0:1]
	ds_write_b128 v4, v[6:9]
	s_waitcnt lgkmcnt(1)
	v_add_co_u32_e64 v6, s[0:1], v14, v26
	ds_read_b128 v[10:13], v4 offset:288
	v_addc_co_u32_e64 v7, s[0:1], v15, v27, s[0:1]
	v_add_co_u32_e64 v8, s[0:1], v16, v28
	v_addc_co_u32_e64 v9, s[0:1], v17, v29, s[0:1]
	ds_write_b128 v4, v[6:9] offset:16
	ds_read_b128 v[6:9], v4 offset:304
	s_waitcnt lgkmcnt(2)
	v_add_co_u32_e64 v10, s[0:1], v18, v10
	v_addc_co_u32_e64 v11, s[0:1], v19, v11, s[0:1]
	v_add_co_u32_e64 v12, s[0:1], v20, v12
	v_addc_co_u32_e64 v13, s[0:1], v21, v13, s[0:1]
	s_waitcnt lgkmcnt(0)
	v_add_co_u32_e64 v6, s[0:1], v22, v6
	v_addc_co_u32_e64 v7, s[0:1], v23, v7, s[0:1]
	v_add_co_u32_e64 v8, s[0:1], v24, v8
	v_addc_co_u32_e64 v9, s[0:1], v25, v9, s[0:1]
	ds_write_b128 v4, v[10:13] offset:32
	ds_write_b128 v4, v[6:9] offset:48
.LBB86_16:
	s_or_b64 exec, exec, s[2:3]
	v_cmp_gt_u32_e64 s[0:1], 2, v0
	s_waitcnt lgkmcnt(0)
	s_barrier
	s_and_saveexec_b64 s[2:3], s[0:1]
	s_cbranch_execz .LBB86_18
; %bb.17:
	ds_read_b128 v[6:9], v4 offset:128
	ds_read_b128 v[10:13], v4
	ds_read_b128 v[14:17], v4 offset:16
	ds_read_b128 v[18:21], v4 offset:32
	;; [unrolled: 1-line block ×4, first 2 shown]
	s_waitcnt lgkmcnt(4)
	v_add_co_u32_e64 v6, s[0:1], v10, v6
	v_addc_co_u32_e64 v7, s[0:1], v11, v7, s[0:1]
	v_add_co_u32_e64 v8, s[0:1], v12, v8
	v_addc_co_u32_e64 v9, s[0:1], v13, v9, s[0:1]
	ds_write_b128 v4, v[6:9]
	s_waitcnt lgkmcnt(1)
	v_add_co_u32_e64 v6, s[0:1], v14, v26
	ds_read_b128 v[10:13], v4 offset:160
	v_addc_co_u32_e64 v7, s[0:1], v15, v27, s[0:1]
	v_add_co_u32_e64 v8, s[0:1], v16, v28
	v_addc_co_u32_e64 v9, s[0:1], v17, v29, s[0:1]
	ds_write_b128 v4, v[6:9] offset:16
	ds_read_b128 v[6:9], v4 offset:176
	s_waitcnt lgkmcnt(2)
	v_add_co_u32_e64 v10, s[0:1], v18, v10
	v_addc_co_u32_e64 v11, s[0:1], v19, v11, s[0:1]
	v_add_co_u32_e64 v12, s[0:1], v20, v12
	v_addc_co_u32_e64 v13, s[0:1], v21, v13, s[0:1]
	s_waitcnt lgkmcnt(0)
	v_add_co_u32_e64 v6, s[0:1], v22, v6
	v_addc_co_u32_e64 v7, s[0:1], v23, v7, s[0:1]
	v_add_co_u32_e64 v8, s[0:1], v24, v8
	v_addc_co_u32_e64 v9, s[0:1], v25, v9, s[0:1]
	ds_write_b128 v4, v[10:13] offset:32
	ds_write_b128 v4, v[6:9] offset:48
.LBB86_18:
	s_or_b64 exec, exec, s[2:3]
	v_cmp_eq_u32_e64 s[0:1], 0, v0
	s_waitcnt lgkmcnt(0)
	s_barrier
	s_and_saveexec_b64 s[2:3], s[0:1]
	s_cbranch_execz .LBB86_20
; %bb.19:
	v_mov_b32_e32 v0, 0
	ds_read_b128 v[4:7], v0 offset:64
	ds_read_b128 v[8:11], v0
	ds_read_b128 v[12:15], v0 offset:16
	ds_read_b128 v[16:19], v0 offset:32
	;; [unrolled: 1-line block ×4, first 2 shown]
	s_waitcnt lgkmcnt(4)
	v_add_co_u32_e64 v4, s[0:1], v8, v4
	v_addc_co_u32_e64 v5, s[0:1], v9, v5, s[0:1]
	v_add_co_u32_e64 v6, s[0:1], v10, v6
	v_addc_co_u32_e64 v7, s[0:1], v11, v7, s[0:1]
	ds_write_b128 v0, v[4:7]
	s_waitcnt lgkmcnt(1)
	v_add_co_u32_e64 v4, s[0:1], v12, v24
	ds_read_b128 v[8:11], v0 offset:96
	v_addc_co_u32_e64 v5, s[0:1], v13, v25, s[0:1]
	v_add_co_u32_e64 v6, s[0:1], v14, v26
	v_addc_co_u32_e64 v7, s[0:1], v15, v27, s[0:1]
	ds_write_b128 v0, v[4:7] offset:16
	ds_read_b128 v[4:7], v0 offset:112
	s_waitcnt lgkmcnt(2)
	v_add_co_u32_e64 v8, s[0:1], v16, v8
	v_addc_co_u32_e64 v9, s[0:1], v17, v9, s[0:1]
	v_add_co_u32_e64 v10, s[0:1], v18, v10
	v_addc_co_u32_e64 v11, s[0:1], v19, v11, s[0:1]
	s_waitcnt lgkmcnt(0)
	v_add_co_u32_e64 v4, s[0:1], v20, v4
	v_addc_co_u32_e64 v5, s[0:1], v21, v5, s[0:1]
	v_add_co_u32_e64 v6, s[0:1], v22, v6
	v_addc_co_u32_e64 v7, s[0:1], v23, v7, s[0:1]
	ds_write_b128 v0, v[8:11] offset:32
	ds_write_b128 v0, v[4:7] offset:48
.LBB86_20:
	s_or_b64 exec, exec, s[2:3]
	s_waitcnt lgkmcnt(0)
	s_barrier
	s_and_saveexec_b64 s[0:1], vcc
	s_cbranch_execz .LBB86_22
; %bb.21:
	ds_read_b64 v[0:1], v1
	s_waitcnt lgkmcnt(0)
	global_store_dwordx2 v[2:3], v[0:1], off
.LBB86_22:
	s_endpgm
	.section	.rodata,"a",@progbits
	.p2align	6, 0x0
	.amdhsa_kernel _ZN9rocsparseL26bsrgemm_group_reduce_part3ILj256ELj8ElEEvPT1_
		.amdhsa_group_segment_fixed_size 16384
		.amdhsa_private_segment_fixed_size 0
		.amdhsa_kernarg_size 8
		.amdhsa_user_sgpr_count 6
		.amdhsa_user_sgpr_private_segment_buffer 1
		.amdhsa_user_sgpr_dispatch_ptr 0
		.amdhsa_user_sgpr_queue_ptr 0
		.amdhsa_user_sgpr_kernarg_segment_ptr 1
		.amdhsa_user_sgpr_dispatch_id 0
		.amdhsa_user_sgpr_flat_scratch_init 0
		.amdhsa_user_sgpr_kernarg_preload_length 0
		.amdhsa_user_sgpr_kernarg_preload_offset 0
		.amdhsa_user_sgpr_private_segment_size 0
		.amdhsa_uses_dynamic_stack 0
		.amdhsa_system_sgpr_private_segment_wavefront_offset 0
		.amdhsa_system_sgpr_workgroup_id_x 1
		.amdhsa_system_sgpr_workgroup_id_y 0
		.amdhsa_system_sgpr_workgroup_id_z 0
		.amdhsa_system_sgpr_workgroup_info 0
		.amdhsa_system_vgpr_workitem_id 0
		.amdhsa_next_free_vgpr 30
		.amdhsa_next_free_sgpr 6
		.amdhsa_accum_offset 32
		.amdhsa_reserve_vcc 1
		.amdhsa_reserve_flat_scratch 0
		.amdhsa_float_round_mode_32 0
		.amdhsa_float_round_mode_16_64 0
		.amdhsa_float_denorm_mode_32 3
		.amdhsa_float_denorm_mode_16_64 3
		.amdhsa_dx10_clamp 1
		.amdhsa_ieee_mode 1
		.amdhsa_fp16_overflow 0
		.amdhsa_tg_split 0
		.amdhsa_exception_fp_ieee_invalid_op 0
		.amdhsa_exception_fp_denorm_src 0
		.amdhsa_exception_fp_ieee_div_zero 0
		.amdhsa_exception_fp_ieee_overflow 0
		.amdhsa_exception_fp_ieee_underflow 0
		.amdhsa_exception_fp_ieee_inexact 0
		.amdhsa_exception_int_div_zero 0
	.end_amdhsa_kernel
	.section	.text._ZN9rocsparseL26bsrgemm_group_reduce_part3ILj256ELj8ElEEvPT1_,"axG",@progbits,_ZN9rocsparseL26bsrgemm_group_reduce_part3ILj256ELj8ElEEvPT1_,comdat
.Lfunc_end86:
	.size	_ZN9rocsparseL26bsrgemm_group_reduce_part3ILj256ELj8ElEEvPT1_, .Lfunc_end86-_ZN9rocsparseL26bsrgemm_group_reduce_part3ILj256ELj8ElEEvPT1_
                                        ; -- End function
	.section	.AMDGPU.csdata,"",@progbits
; Kernel info:
; codeLenInByte = 2220
; NumSgprs: 10
; NumVgprs: 30
; NumAgprs: 0
; TotalNumVgprs: 30
; ScratchSize: 0
; MemoryBound: 1
; FloatMode: 240
; IeeeMode: 1
; LDSByteSize: 16384 bytes/workgroup (compile time only)
; SGPRBlocks: 1
; VGPRBlocks: 3
; NumSGPRsForWavesPerEU: 10
; NumVGPRsForWavesPerEU: 30
; AccumOffset: 32
; Occupancy: 4
; WaveLimiterHint : 1
; COMPUTE_PGM_RSRC2:SCRATCH_EN: 0
; COMPUTE_PGM_RSRC2:USER_SGPR: 6
; COMPUTE_PGM_RSRC2:TRAP_HANDLER: 0
; COMPUTE_PGM_RSRC2:TGID_X_EN: 1
; COMPUTE_PGM_RSRC2:TGID_Y_EN: 0
; COMPUTE_PGM_RSRC2:TGID_Z_EN: 0
; COMPUTE_PGM_RSRC2:TIDIG_COMP_CNT: 0
; COMPUTE_PGM_RSRC3_GFX90A:ACCUM_OFFSET: 7
; COMPUTE_PGM_RSRC3_GFX90A:TG_SPLIT: 0
	.section	.text._ZN9rocsparseL27bsrgemm_fill_wf_per_row_2x2ILj256ELj16ELj8ELj137EllfEEv20rocsparse_direction_T4_S2_PKS2_S4_NS_24const_host_device_scalarIT5_EEPKT3_S4_PKS6_SA_S4_SC_S7_SA_S4_SC_SA_PS2_PS6_21rocsparse_index_base_SF_SF_SF_bbb,"axG",@progbits,_ZN9rocsparseL27bsrgemm_fill_wf_per_row_2x2ILj256ELj16ELj8ELj137EllfEEv20rocsparse_direction_T4_S2_PKS2_S4_NS_24const_host_device_scalarIT5_EEPKT3_S4_PKS6_SA_S4_SC_S7_SA_S4_SC_SA_PS2_PS6_21rocsparse_index_base_SF_SF_SF_bbb,comdat
	.globl	_ZN9rocsparseL27bsrgemm_fill_wf_per_row_2x2ILj256ELj16ELj8ELj137EllfEEv20rocsparse_direction_T4_S2_PKS2_S4_NS_24const_host_device_scalarIT5_EEPKT3_S4_PKS6_SA_S4_SC_S7_SA_S4_SC_SA_PS2_PS6_21rocsparse_index_base_SF_SF_SF_bbb ; -- Begin function _ZN9rocsparseL27bsrgemm_fill_wf_per_row_2x2ILj256ELj16ELj8ELj137EllfEEv20rocsparse_direction_T4_S2_PKS2_S4_NS_24const_host_device_scalarIT5_EEPKT3_S4_PKS6_SA_S4_SC_S7_SA_S4_SC_SA_PS2_PS6_21rocsparse_index_base_SF_SF_SF_bbb
	.p2align	8
	.type	_ZN9rocsparseL27bsrgemm_fill_wf_per_row_2x2ILj256ELj16ELj8ELj137EllfEEv20rocsparse_direction_T4_S2_PKS2_S4_NS_24const_host_device_scalarIT5_EEPKT3_S4_PKS6_SA_S4_SC_S7_SA_S4_SC_SA_PS2_PS6_21rocsparse_index_base_SF_SF_SF_bbb,@function
_ZN9rocsparseL27bsrgemm_fill_wf_per_row_2x2ILj256ELj16ELj8ELj137EllfEEv20rocsparse_direction_T4_S2_PKS2_S4_NS_24const_host_device_scalarIT5_EEPKT3_S4_PKS6_SA_S4_SC_S7_SA_S4_SC_SA_PS2_PS6_21rocsparse_index_base_SF_SF_SF_bbb: ; @_ZN9rocsparseL27bsrgemm_fill_wf_per_row_2x2ILj256ELj16ELj8ELj137EllfEEv20rocsparse_direction_T4_S2_PKS2_S4_NS_24const_host_device_scalarIT5_EEPKT3_S4_PKS6_SA_S4_SC_S7_SA_S4_SC_SA_PS2_PS6_21rocsparse_index_base_SF_SF_SF_bbb
; %bb.0:
	s_load_dword s7, s[4:5], 0xa8
	s_load_dwordx2 s[2:3], s[4:5], 0x28
	s_load_dwordx2 s[0:1], s[4:5], 0x60
	s_waitcnt lgkmcnt(0)
	s_bitcmp1_b32 s7, 0
	s_cselect_b64 s[8:9], -1, 0
	s_bitcmp1_b32 s7, 16
	s_cselect_b64 s[10:11], -1, 0
	s_xor_b64 s[12:13], s[8:9], -1
	s_or_b64 s[12:13], s[12:13], s[10:11]
	s_and_b64 vcc, exec, s[12:13]
	s_cbranch_vccnz .LBB87_2
; %bb.1:
	s_load_dword s2, s[2:3], 0x0
	s_waitcnt lgkmcnt(0)
	v_mov_b32_e32 v13, s2
	s_branch .LBB87_3
.LBB87_2:
	v_mov_b32_e32 v1, s2
	v_cndmask_b32_e64 v13, 0, v1, s[8:9]
.LBB87_3:
	s_bitcmp1_b32 s7, 8
	s_cselect_b64 s[2:3], -1, 0
	s_xor_b64 s[12:13], s[2:3], -1
	s_or_b64 s[10:11], s[12:13], s[10:11]
	s_and_b64 vcc, exec, s[10:11]
	s_cbranch_vccnz .LBB87_5
; %bb.4:
	s_load_dword s0, s[0:1], 0x0
	s_waitcnt lgkmcnt(0)
	v_mov_b32_e32 v21, s0
	s_branch .LBB87_6
.LBB87_5:
	v_mov_b32_e32 v1, s0
	v_cndmask_b32_e64 v21, 0, v1, s[2:3]
.LBB87_6:
	s_load_dwordx4 s[20:23], s[4:5], 0x8
	v_and_b32_e32 v18, 15, v0
	v_lshrrev_b32_e32 v0, 4, v0
	v_mov_b32_e32 v1, 0x800
	v_lshl_or_b32 v20, v0, 6, v1
	v_cmp_gt_u32_e64 s[0:1], 8, v18
	s_and_saveexec_b64 s[10:11], s[0:1]
	s_cbranch_execz .LBB87_8
; %bb.7:
	v_lshl_add_u32 v1, v18, 3, v20
	s_waitcnt lgkmcnt(0)
	v_pk_mov_b32 v[2:3], s[22:23], s[22:23] op_sel:[0,1]
	ds_write_b64 v1, v[2:3]
.LBB87_8:
	s_or_b64 exec, exec, s[10:11]
	v_lshl_or_b32 v4, s6, 4, v0
	v_mov_b32_e32 v5, 0
	v_lshlrev_b32_e32 v19, 7, v0
	v_lshl_or_b32 v0, v18, 2, v19
	s_waitcnt lgkmcnt(0)
	v_cmp_gt_i64_e32 vcc, s[20:21], v[4:5]
	ds_write2_b32 v0, v5, v5 offset1:16
	s_waitcnt lgkmcnt(0)
	s_barrier
	s_and_saveexec_b64 s[6:7], vcc
	s_cbranch_execz .LBB87_14
; %bb.9:
	s_load_dwordx2 s[6:7], s[4:5], 0x20
	s_load_dwordx4 s[16:19], s[4:5], 0x98
	s_waitcnt lgkmcnt(0)
	s_cmp_eq_u64 s[6:7], 0
	s_cbranch_scc1 .LBB87_11
; %bb.10:
	s_load_dwordx2 s[10:11], s[4:5], 0x18
	v_lshlrev_b64 v[0:1], 3, v[4:5]
	s_waitcnt lgkmcnt(0)
	s_load_dwordx2 s[10:11], s[10:11], 0x0
	s_waitcnt lgkmcnt(0)
	s_lshl_b64 s[10:11], s[10:11], 3
	s_add_u32 s6, s6, s10
	s_addc_u32 s7, s7, s11
	v_mov_b32_e32 v2, s7
	v_add_co_u32_e32 v0, vcc, s6, v0
	v_addc_co_u32_e32 v1, vcc, v2, v1, vcc
	global_load_dwordx2 v[4:5], v[0:1], off
.LBB87_11:
	s_load_dword s33, s[4:5], 0x0
	s_andn2_b64 vcc, exec, s[8:9]
	s_cbranch_vccz .LBB87_15
; %bb.12:
	s_andn2_b64 vcc, exec, s[2:3]
	s_waitcnt lgkmcnt(0)
	s_cbranch_vccz .LBB87_70
.LBB87_13:
	s_and_b64 exec, exec, s[0:1]
	s_cbranch_execnz .LBB87_122
.LBB87_14:
	s_endpgm
.LBB87_15:
	s_load_dwordx2 s[6:7], s[4:5], 0x30
	s_waitcnt vmcnt(0)
	v_lshlrev_b64 v[0:1], 3, v[4:5]
	s_mov_b32 s24, 0
	s_waitcnt lgkmcnt(0)
	v_mov_b32_e32 v2, s7
	v_add_co_u32_e32 v0, vcc, s6, v0
	v_addc_co_u32_e32 v1, vcc, v2, v1, vcc
	global_load_dwordx4 v[0:3], v[0:1], off
	v_subrev_co_u32_e32 v8, vcc, s16, v18
	v_subb_co_u32_e64 v9, s[6:7], 0, 0, vcc
	s_waitcnt vmcnt(0)
	v_subrev_co_u32_e32 v6, vcc, s16, v2
	v_subbrev_co_u32_e32 v7, vcc, 0, v3, vcc
	v_add_co_u32_e32 v8, vcc, v0, v8
	v_addc_co_u32_e32 v9, vcc, v1, v9, vcc
	v_cmp_lt_i64_e32 vcc, v[8:9], v[6:7]
	s_and_saveexec_b64 s[6:7], vcc
	s_cbranch_execz .LBB87_69
; %bb.16:
	s_load_dwordx2 s[20:21], s[4:5], 0x58
	s_load_dwordx8 s[8:15], s[4:5], 0x38
	s_cmp_eq_u32 s33, 0
	s_mov_b32 s42, s16
	s_mov_b32 s43, s17
	s_mov_b32 s44, s24
	s_cselect_b32 s45, 1, 2
	s_cselect_b32 s46, 2, 1
	s_mov_b64 s[16:17], 0
	s_waitcnt lgkmcnt(0)
	v_mov_b32_e32 v22, s9
	v_mov_b32_e32 v23, s24
	;; [unrolled: 1-line block ×3, first 2 shown]
	s_branch .LBB87_18
.LBB87_17:                              ;   in Loop: Header=BB87_18 Depth=1
	s_or_b64 exec, exec, s[24:25]
	v_add_co_u32_e32 v8, vcc, 16, v8
	v_addc_co_u32_e32 v9, vcc, 0, v9, vcc
	v_cmp_ge_i64_e32 vcc, v[8:9], v[6:7]
	s_or_b64 s[16:17], vcc, s[16:17]
	s_andn2_b64 exec, exec, s[16:17]
	s_cbranch_execz .LBB87_69
.LBB87_18:                              ; =>This Loop Header: Depth=1
                                        ;     Child Loop BB87_21 Depth 2
                                        ;       Child Loop BB87_23 Depth 3
                                        ;       Child Loop BB87_35 Depth 3
	;; [unrolled: 1-line block ×4, first 2 shown]
	v_lshlrev_b64 v[0:1], 3, v[8:9]
	v_add_co_u32_e32 v0, vcc, s8, v0
	v_addc_co_u32_e32 v1, vcc, v22, v1, vcc
	global_load_dwordx2 v[0:1], v[0:1], off
	s_waitcnt vmcnt(0)
	v_subrev_co_u32_e32 v0, vcc, s42, v0
	v_subb_co_u32_e32 v1, vcc, v1, v23, vcc
	v_lshlrev_b64 v[0:1], 3, v[0:1]
	v_add_co_u32_e32 v0, vcc, s12, v0
	v_addc_co_u32_e32 v1, vcc, v24, v1, vcc
	global_load_dwordx4 v[0:3], v[0:1], off
	s_waitcnt vmcnt(0)
	v_cmp_lt_i64_e32 vcc, v[0:1], v[2:3]
	s_and_saveexec_b64 s[24:25], vcc
	s_cbranch_execz .LBB87_17
; %bb.19:                               ;   in Loop: Header=BB87_18 Depth=1
	v_lshlrev_b64 v[10:11], 2, v[8:9]
	v_lshlrev_b64 v[16:17], 4, v[8:9]
	v_or_b32_e32 v15, 0, v11
	v_or_b32_e32 v14, s45, v10
	;; [unrolled: 1-line block ×4, first 2 shown]
	v_mov_b32_e32 v12, s11
	v_add_co_u32_e32 v16, vcc, s10, v16
	v_addc_co_u32_e32 v17, vcc, v12, v17, vcc
	v_lshlrev_b64 v[10:11], 2, v[10:11]
	v_add_co_u32_e32 v10, vcc, s10, v10
	v_addc_co_u32_e32 v11, vcc, v12, v11, vcc
	v_lshlrev_b64 v[14:15], 2, v[14:15]
	v_add_co_u32_e32 v14, vcc, s10, v14
	v_addc_co_u32_e32 v15, vcc, v12, v15, vcc
	global_load_dword v12, v[16:17], off offset:12
	global_load_dword v26, v[10:11], off
	global_load_dword v28, v[14:15], off
	global_load_dword v27, v[16:17], off
	v_mov_b32_e32 v10, s44
	v_subrev_co_u32_e32 v2, vcc, s43, v2
	v_subb_co_u32_e32 v3, vcc, v3, v10, vcc
	v_subrev_co_u32_e32 v0, vcc, s43, v0
	v_subb_co_u32_e32 v1, vcc, v1, v10, vcc
	s_mov_b64 s[26:27], 0
	s_waitcnt vmcnt(3)
	v_mul_f32_e32 v25, v13, v12
	s_waitcnt vmcnt(2)
	v_mul_f32_e32 v26, v13, v26
	;; [unrolled: 2-line block ×4, first 2 shown]
	s_branch .LBB87_21
.LBB87_20:                              ;   in Loop: Header=BB87_21 Depth=2
	s_or_b64 exec, exec, s[28:29]
	v_add_co_u32_e32 v0, vcc, 1, v0
	v_addc_co_u32_e32 v1, vcc, 0, v1, vcc
	v_cmp_ge_i64_e32 vcc, v[0:1], v[2:3]
	s_or_b64 s[26:27], vcc, s[26:27]
	s_andn2_b64 exec, exec, s[26:27]
	s_cbranch_execz .LBB87_17
.LBB87_21:                              ;   Parent Loop BB87_18 Depth=1
                                        ; =>  This Loop Header: Depth=2
                                        ;       Child Loop BB87_23 Depth 3
                                        ;       Child Loop BB87_35 Depth 3
	;; [unrolled: 1-line block ×4, first 2 shown]
	v_lshlrev_b64 v[10:11], 3, v[0:1]
	v_mov_b32_e32 v12, s15
	v_add_co_u32_e32 v10, vcc, s14, v10
	v_addc_co_u32_e32 v11, vcc, v12, v11, vcc
	v_lshlrev_b64 v[14:15], 2, v[0:1]
	v_lshlrev_b64 v[30:31], 4, v[0:1]
	v_or_b32_e32 v17, 0, v15
	v_or_b32_e32 v16, s45, v14
	v_or_b32_e32 v15, 0, v15
	v_or_b32_e32 v14, s46, v14
	v_mov_b32_e32 v12, s21
	v_add_co_u32_e32 v34, vcc, s20, v30
	v_addc_co_u32_e32 v35, vcc, v12, v31, vcc
	v_lshlrev_b64 v[14:15], 2, v[14:15]
	v_add_co_u32_e32 v14, vcc, s20, v14
	global_load_dwordx2 v[10:11], v[10:11], off
	v_lshlrev_b64 v[16:17], 2, v[16:17]
	v_addc_co_u32_e32 v15, vcc, v12, v15, vcc
	global_load_dword v31, v[34:35], off
	global_load_dword v32, v[14:15], off
	v_add_co_u32_e32 v14, vcc, s20, v16
	v_addc_co_u32_e32 v15, vcc, v12, v17, vcc
	global_load_dword v29, v[14:15], off
	global_load_dword v30, v[34:35], off offset:12
	v_mov_b32_e32 v12, s44
	s_mov_b64 s[28:29], 0
	s_waitcnt vmcnt(4)
	v_subrev_co_u32_e32 v10, vcc, s43, v10
	v_subb_co_u32_e32 v11, vcc, v11, v12, vcc
	v_and_b32_e32 v12, 7, v10
	s_waitcnt vmcnt(2)
	v_mul_f32_e32 v33, v28, v32
	v_fmac_f32_e32 v33, v27, v31
	v_pk_mov_b32 v[14:15], v[12:13], v[12:13] op_sel:[0,1]
	s_branch .LBB87_23
.LBB87_22:                              ;   in Loop: Header=BB87_23 Depth=3
	s_or_b64 exec, exec, s[30:31]
	s_xor_b64 s[30:31], s[34:35], -1
	s_and_b64 s[30:31], exec, s[30:31]
	s_or_b64 s[28:29], s[30:31], s[28:29]
	s_andn2_b64 exec, exec, s[28:29]
	s_cbranch_execz .LBB87_33
.LBB87_23:                              ;   Parent Loop BB87_18 Depth=1
                                        ;     Parent Loop BB87_21 Depth=2
                                        ; =>    This Inner Loop Header: Depth=3
	v_lshl_add_u32 v15, v14, 3, v20
	ds_read_b64 v[16:17], v15
                                        ; implicit-def: $sgpr34_sgpr35
	s_waitcnt lgkmcnt(0)
	v_cmp_ne_u64_e32 vcc, v[16:17], v[10:11]
	s_and_saveexec_b64 s[30:31], vcc
	s_xor_b64 s[30:31], exec, s[30:31]
	s_cbranch_execz .LBB87_31
; %bb.24:                               ;   in Loop: Header=BB87_23 Depth=3
	v_cmp_ne_u64_e32 vcc, s[22:23], v[16:17]
                                        ; implicit-def: $sgpr34_sgpr35
	s_and_saveexec_b64 s[36:37], vcc
	s_xor_b64 s[36:37], exec, s[36:37]
; %bb.25:                               ;   in Loop: Header=BB87_23 Depth=3
	v_add_u32_e32 v14, 1, v14
	v_and_b32_e32 v14, 7, v14
	s_mov_b64 s[34:35], -1
                                        ; implicit-def: $vgpr15
; %bb.26:                               ;   in Loop: Header=BB87_23 Depth=3
	s_andn2_saveexec_b64 s[36:37], s[36:37]
	s_cbranch_execz .LBB87_30
; %bb.27:                               ;   in Loop: Header=BB87_23 Depth=3
	v_pk_mov_b32 v[16:17], s[22:23], s[22:23] op_sel:[0,1]
	ds_cmpst_rtn_b64 v[16:17], v15, v[16:17], v[10:11]
	s_mov_b64 s[38:39], -1
	s_waitcnt lgkmcnt(0)
	v_cmp_eq_u64_e32 vcc, s[22:23], v[16:17]
	s_and_saveexec_b64 s[40:41], vcc
	s_cbranch_execz .LBB87_29
; %bb.28:                               ;   in Loop: Header=BB87_23 Depth=3
	v_lshl_add_u32 v15, v14, 4, v19
	ds_add_f32 v15, v33
	s_xor_b64 s[38:39], exec, -1
.LBB87_29:                              ;   in Loop: Header=BB87_23 Depth=3
	s_or_b64 exec, exec, s[40:41]
	s_andn2_b64 s[34:35], s[34:35], exec
	s_and_b64 s[38:39], s[38:39], exec
	s_or_b64 s[34:35], s[34:35], s[38:39]
.LBB87_30:                              ;   in Loop: Header=BB87_23 Depth=3
	s_or_b64 exec, exec, s[36:37]
	s_and_b64 s[34:35], s[34:35], exec
.LBB87_31:                              ;   in Loop: Header=BB87_23 Depth=3
	s_andn2_saveexec_b64 s[30:31], s[30:31]
	s_cbranch_execz .LBB87_22
; %bb.32:                               ;   in Loop: Header=BB87_23 Depth=3
	v_lshl_add_u32 v15, v14, 4, v19
	ds_add_f32 v15, v33
	s_andn2_b64 s[34:35], s[34:35], exec
	s_branch .LBB87_22
.LBB87_33:                              ;   in Loop: Header=BB87_21 Depth=2
	s_or_b64 exec, exec, s[28:29]
	s_waitcnt vmcnt(0)
	v_mul_f32_e32 v33, v28, v30
	v_fmac_f32_e32 v33, v27, v29
	s_mov_b64 s[28:29], 0
	v_pk_mov_b32 v[14:15], v[12:13], v[12:13] op_sel:[0,1]
	s_branch .LBB87_35
.LBB87_34:                              ;   in Loop: Header=BB87_35 Depth=3
	s_or_b64 exec, exec, s[30:31]
	s_xor_b64 s[30:31], s[34:35], -1
	s_and_b64 s[30:31], exec, s[30:31]
	s_or_b64 s[28:29], s[30:31], s[28:29]
	s_andn2_b64 exec, exec, s[28:29]
	s_cbranch_execz .LBB87_45
.LBB87_35:                              ;   Parent Loop BB87_18 Depth=1
                                        ;     Parent Loop BB87_21 Depth=2
                                        ; =>    This Inner Loop Header: Depth=3
	v_lshl_add_u32 v15, v14, 3, v20
	ds_read_b64 v[16:17], v15
                                        ; implicit-def: $sgpr34_sgpr35
	s_waitcnt lgkmcnt(0)
	v_cmp_ne_u64_e32 vcc, v[16:17], v[10:11]
	s_and_saveexec_b64 s[30:31], vcc
	s_xor_b64 s[30:31], exec, s[30:31]
	s_cbranch_execz .LBB87_43
; %bb.36:                               ;   in Loop: Header=BB87_35 Depth=3
	v_cmp_ne_u64_e32 vcc, s[22:23], v[16:17]
                                        ; implicit-def: $sgpr34_sgpr35
	s_and_saveexec_b64 s[36:37], vcc
	s_xor_b64 s[36:37], exec, s[36:37]
; %bb.37:                               ;   in Loop: Header=BB87_35 Depth=3
	v_add_u32_e32 v14, 1, v14
	v_and_b32_e32 v14, 7, v14
	s_mov_b64 s[34:35], -1
                                        ; implicit-def: $vgpr15
; %bb.38:                               ;   in Loop: Header=BB87_35 Depth=3
	s_andn2_saveexec_b64 s[36:37], s[36:37]
	s_cbranch_execz .LBB87_42
; %bb.39:                               ;   in Loop: Header=BB87_35 Depth=3
	v_pk_mov_b32 v[16:17], s[22:23], s[22:23] op_sel:[0,1]
	ds_cmpst_rtn_b64 v[16:17], v15, v[16:17], v[10:11]
	s_mov_b64 s[38:39], -1
	s_waitcnt lgkmcnt(0)
	v_cmp_eq_u64_e32 vcc, s[22:23], v[16:17]
	s_and_saveexec_b64 s[40:41], vcc
	s_cbranch_execz .LBB87_41
; %bb.40:                               ;   in Loop: Header=BB87_35 Depth=3
	v_lshl_add_u32 v15, v14, 4, v19
	ds_add_f32 v15, v33 offset:4
	s_xor_b64 s[38:39], exec, -1
.LBB87_41:                              ;   in Loop: Header=BB87_35 Depth=3
	s_or_b64 exec, exec, s[40:41]
	s_andn2_b64 s[34:35], s[34:35], exec
	s_and_b64 s[38:39], s[38:39], exec
	s_or_b64 s[34:35], s[34:35], s[38:39]
.LBB87_42:                              ;   in Loop: Header=BB87_35 Depth=3
	s_or_b64 exec, exec, s[36:37]
	s_and_b64 s[34:35], s[34:35], exec
.LBB87_43:                              ;   in Loop: Header=BB87_35 Depth=3
	s_andn2_saveexec_b64 s[30:31], s[30:31]
	s_cbranch_execz .LBB87_34
; %bb.44:                               ;   in Loop: Header=BB87_35 Depth=3
	v_lshl_add_u32 v15, v14, 4, v19
	ds_add_f32 v15, v33 offset:4
	s_andn2_b64 s[34:35], s[34:35], exec
	s_branch .LBB87_34
.LBB87_45:                              ;   in Loop: Header=BB87_21 Depth=2
	s_or_b64 exec, exec, s[28:29]
	v_mul_f32_e32 v32, v25, v32
	v_fmac_f32_e32 v32, v26, v31
	s_mov_b64 s[28:29], 0
	v_pk_mov_b32 v[14:15], v[12:13], v[12:13] op_sel:[0,1]
	s_branch .LBB87_47
.LBB87_46:                              ;   in Loop: Header=BB87_47 Depth=3
	s_or_b64 exec, exec, s[30:31]
	s_xor_b64 s[30:31], s[34:35], -1
	s_and_b64 s[30:31], exec, s[30:31]
	s_or_b64 s[28:29], s[30:31], s[28:29]
	s_andn2_b64 exec, exec, s[28:29]
	s_cbranch_execz .LBB87_57
.LBB87_47:                              ;   Parent Loop BB87_18 Depth=1
                                        ;     Parent Loop BB87_21 Depth=2
                                        ; =>    This Inner Loop Header: Depth=3
	v_lshl_add_u32 v15, v14, 3, v20
	ds_read_b64 v[16:17], v15
                                        ; implicit-def: $sgpr34_sgpr35
	s_waitcnt lgkmcnt(0)
	v_cmp_ne_u64_e32 vcc, v[16:17], v[10:11]
	s_and_saveexec_b64 s[30:31], vcc
	s_xor_b64 s[30:31], exec, s[30:31]
	s_cbranch_execz .LBB87_55
; %bb.48:                               ;   in Loop: Header=BB87_47 Depth=3
	v_cmp_ne_u64_e32 vcc, s[22:23], v[16:17]
                                        ; implicit-def: $sgpr34_sgpr35
	s_and_saveexec_b64 s[36:37], vcc
	s_xor_b64 s[36:37], exec, s[36:37]
; %bb.49:                               ;   in Loop: Header=BB87_47 Depth=3
	v_add_u32_e32 v14, 1, v14
	v_and_b32_e32 v14, 7, v14
	s_mov_b64 s[34:35], -1
                                        ; implicit-def: $vgpr15
; %bb.50:                               ;   in Loop: Header=BB87_47 Depth=3
	s_andn2_saveexec_b64 s[36:37], s[36:37]
	s_cbranch_execz .LBB87_54
; %bb.51:                               ;   in Loop: Header=BB87_47 Depth=3
	v_pk_mov_b32 v[16:17], s[22:23], s[22:23] op_sel:[0,1]
	ds_cmpst_rtn_b64 v[16:17], v15, v[16:17], v[10:11]
	s_mov_b64 s[38:39], -1
	s_waitcnt lgkmcnt(0)
	v_cmp_eq_u64_e32 vcc, s[22:23], v[16:17]
	s_and_saveexec_b64 s[40:41], vcc
	s_cbranch_execz .LBB87_53
; %bb.52:                               ;   in Loop: Header=BB87_47 Depth=3
	v_lshl_add_u32 v15, v14, 4, v19
	ds_add_f32 v15, v32 offset:8
	s_xor_b64 s[38:39], exec, -1
.LBB87_53:                              ;   in Loop: Header=BB87_47 Depth=3
	s_or_b64 exec, exec, s[40:41]
	s_andn2_b64 s[34:35], s[34:35], exec
	s_and_b64 s[38:39], s[38:39], exec
	s_or_b64 s[34:35], s[34:35], s[38:39]
.LBB87_54:                              ;   in Loop: Header=BB87_47 Depth=3
	s_or_b64 exec, exec, s[36:37]
	s_and_b64 s[34:35], s[34:35], exec
.LBB87_55:                              ;   in Loop: Header=BB87_47 Depth=3
	s_andn2_saveexec_b64 s[30:31], s[30:31]
	s_cbranch_execz .LBB87_46
; %bb.56:                               ;   in Loop: Header=BB87_47 Depth=3
	v_lshl_add_u32 v15, v14, 4, v19
	ds_add_f32 v15, v32 offset:8
	s_andn2_b64 s[34:35], s[34:35], exec
	s_branch .LBB87_46
.LBB87_57:                              ;   in Loop: Header=BB87_21 Depth=2
	s_or_b64 exec, exec, s[28:29]
	v_mul_f32_e32 v16, v25, v30
	v_fmac_f32_e32 v16, v26, v29
	s_mov_b64 s[28:29], 0
	s_branch .LBB87_59
.LBB87_58:                              ;   in Loop: Header=BB87_59 Depth=3
	s_or_b64 exec, exec, s[30:31]
	s_xor_b64 s[30:31], s[34:35], -1
	s_and_b64 s[30:31], exec, s[30:31]
	s_or_b64 s[28:29], s[30:31], s[28:29]
	s_andn2_b64 exec, exec, s[28:29]
	s_cbranch_execz .LBB87_20
.LBB87_59:                              ;   Parent Loop BB87_18 Depth=1
                                        ;     Parent Loop BB87_21 Depth=2
                                        ; =>    This Inner Loop Header: Depth=3
	v_lshl_add_u32 v17, v12, 3, v20
	ds_read_b64 v[14:15], v17
                                        ; implicit-def: $sgpr34_sgpr35
	s_waitcnt lgkmcnt(0)
	v_cmp_ne_u64_e32 vcc, v[14:15], v[10:11]
	s_and_saveexec_b64 s[30:31], vcc
	s_xor_b64 s[30:31], exec, s[30:31]
	s_cbranch_execz .LBB87_67
; %bb.60:                               ;   in Loop: Header=BB87_59 Depth=3
	v_cmp_ne_u64_e32 vcc, s[22:23], v[14:15]
                                        ; implicit-def: $sgpr34_sgpr35
	s_and_saveexec_b64 s[36:37], vcc
	s_xor_b64 s[36:37], exec, s[36:37]
; %bb.61:                               ;   in Loop: Header=BB87_59 Depth=3
	v_add_u32_e32 v12, 1, v12
	v_and_b32_e32 v12, 7, v12
	s_mov_b64 s[34:35], -1
                                        ; implicit-def: $vgpr17
; %bb.62:                               ;   in Loop: Header=BB87_59 Depth=3
	s_andn2_saveexec_b64 s[36:37], s[36:37]
	s_cbranch_execz .LBB87_66
; %bb.63:                               ;   in Loop: Header=BB87_59 Depth=3
	v_pk_mov_b32 v[14:15], s[22:23], s[22:23] op_sel:[0,1]
	ds_cmpst_rtn_b64 v[14:15], v17, v[14:15], v[10:11]
	s_mov_b64 s[38:39], -1
	s_waitcnt lgkmcnt(0)
	v_cmp_eq_u64_e32 vcc, s[22:23], v[14:15]
	s_and_saveexec_b64 s[40:41], vcc
	s_cbranch_execz .LBB87_65
; %bb.64:                               ;   in Loop: Header=BB87_59 Depth=3
	v_lshl_add_u32 v14, v12, 4, v19
	ds_add_f32 v14, v16 offset:12
	s_xor_b64 s[38:39], exec, -1
.LBB87_65:                              ;   in Loop: Header=BB87_59 Depth=3
	s_or_b64 exec, exec, s[40:41]
	s_andn2_b64 s[34:35], s[34:35], exec
	s_and_b64 s[38:39], s[38:39], exec
	s_or_b64 s[34:35], s[34:35], s[38:39]
.LBB87_66:                              ;   in Loop: Header=BB87_59 Depth=3
	s_or_b64 exec, exec, s[36:37]
	s_and_b64 s[34:35], s[34:35], exec
.LBB87_67:                              ;   in Loop: Header=BB87_59 Depth=3
	s_andn2_saveexec_b64 s[30:31], s[30:31]
	s_cbranch_execz .LBB87_58
; %bb.68:                               ;   in Loop: Header=BB87_59 Depth=3
	v_lshl_add_u32 v14, v12, 4, v19
	ds_add_f32 v14, v16 offset:12
	s_andn2_b64 s[34:35], s[34:35], exec
	s_branch .LBB87_58
.LBB87_69:
	s_or_b64 exec, exec, s[6:7]
	s_andn2_b64 vcc, exec, s[2:3]
	s_waitcnt lgkmcnt(0)
	s_cbranch_vccnz .LBB87_13
.LBB87_70:
	s_load_dwordx2 s[2:3], s[4:5], 0x68
	s_waitcnt vmcnt(0)
	v_lshlrev_b64 v[0:1], 3, v[4:5]
	s_mov_b32 s12, 0
	s_waitcnt lgkmcnt(0)
	v_mov_b32_e32 v2, s3
	v_add_co_u32_e32 v0, vcc, s2, v0
	v_addc_co_u32_e32 v1, vcc, v2, v1, vcc
	global_load_dwordx4 v[6:9], v[0:1], off
	v_subrev_co_u32_e32 v2, vcc, s19, v18
	v_subb_co_u32_e64 v3, s[2:3], 0, 0, vcc
	s_waitcnt vmcnt(0)
	v_subrev_co_u32_e32 v0, vcc, s19, v8
	v_subbrev_co_u32_e32 v1, vcc, 0, v9, vcc
	v_add_co_u32_e32 v2, vcc, v6, v2
	v_addc_co_u32_e32 v3, vcc, v7, v3, vcc
	v_cmp_lt_i64_e32 vcc, v[2:3], v[0:1]
	s_and_saveexec_b64 s[2:3], vcc
	s_cbranch_execz .LBB87_121
; %bb.71:
	s_load_dwordx4 s[8:11], s[4:5], 0x70
	s_cmp_eq_u32 s33, 0
	s_mov_b32 s28, s19
	s_mov_b64 s[6:7], 0
	s_cselect_b32 s19, 1, 2
	s_cselect_b32 s29, 2, 1
	s_waitcnt lgkmcnt(0)
	v_mov_b32_e32 v9, s11
	v_mov_b32_e32 v14, s9
	;; [unrolled: 1-line block ×3, first 2 shown]
	s_branch .LBB87_73
.LBB87_72:                              ;   in Loop: Header=BB87_73 Depth=1
	s_or_b64 exec, exec, s[12:13]
	v_add_co_u32_e32 v2, vcc, 16, v2
	v_addc_co_u32_e32 v3, vcc, 0, v3, vcc
	v_cmp_ge_i64_e32 vcc, v[2:3], v[0:1]
	s_or_b64 s[6:7], vcc, s[6:7]
	s_andn2_b64 exec, exec, s[6:7]
	s_cbranch_execz .LBB87_121
.LBB87_73:                              ; =>This Loop Header: Depth=1
                                        ;     Child Loop BB87_75 Depth 2
                                        ;     Child Loop BB87_87 Depth 2
	;; [unrolled: 1-line block ×4, first 2 shown]
	v_lshlrev_b64 v[6:7], 2, v[2:3]
	v_lshlrev_b64 v[12:13], 4, v[2:3]
	v_or_b32_e32 v11, 0, v7
	v_or_b32_e32 v10, s19, v6
	v_add_co_u32_e32 v12, vcc, s10, v12
	v_addc_co_u32_e32 v13, vcc, v9, v13, vcc
	v_lshlrev_b64 v[10:11], 2, v[10:11]
	v_add_co_u32_e32 v10, vcc, s10, v10
	v_addc_co_u32_e32 v11, vcc, v9, v11, vcc
	v_lshlrev_b64 v[16:17], 3, v[2:3]
	v_or_b32_e32 v7, 0, v7
	v_or_b32_e32 v6, s29, v6
	v_add_co_u32_e32 v16, vcc, s8, v16
	v_lshlrev_b64 v[6:7], 2, v[6:7]
	v_addc_co_u32_e32 v17, vcc, v14, v17, vcc
	global_load_dwordx2 v[24:25], v[16:17], off
	v_add_co_u32_e32 v6, vcc, s10, v6
	global_load_dword v8, v[12:13], off
	v_addc_co_u32_e32 v7, vcc, v9, v7, vcc
	global_load_dword v17, v[6:7], off
	global_load_dword v22, v[10:11], off
	global_load_dword v16, v[12:13], off offset:12
	s_mov_b64 s[12:13], 0
	s_waitcnt vmcnt(4)
	v_subrev_co_u32_e32 v6, vcc, s28, v24
	v_subb_co_u32_e32 v7, vcc, v25, v15, vcc
	s_waitcnt vmcnt(3)
	v_mul_f32_e32 v23, v21, v8
	v_and_b32_e32 v8, 7, v6
	v_pk_mov_b32 v[10:11], v[8:9], v[8:9] op_sel:[0,1]
	s_branch .LBB87_75
.LBB87_74:                              ;   in Loop: Header=BB87_75 Depth=2
	s_or_b64 exec, exec, s[14:15]
	s_xor_b64 s[14:15], s[16:17], -1
	s_and_b64 s[14:15], exec, s[14:15]
	s_or_b64 s[12:13], s[14:15], s[12:13]
	s_andn2_b64 exec, exec, s[12:13]
	s_cbranch_execz .LBB87_85
.LBB87_75:                              ;   Parent Loop BB87_73 Depth=1
                                        ; =>  This Inner Loop Header: Depth=2
	v_lshl_add_u32 v11, v10, 3, v20
	ds_read_b64 v[12:13], v11
                                        ; implicit-def: $sgpr16_sgpr17
	s_waitcnt lgkmcnt(0)
	v_cmp_ne_u64_e32 vcc, v[12:13], v[6:7]
	s_and_saveexec_b64 s[14:15], vcc
	s_xor_b64 s[14:15], exec, s[14:15]
	s_cbranch_execz .LBB87_83
; %bb.76:                               ;   in Loop: Header=BB87_75 Depth=2
	v_cmp_ne_u64_e32 vcc, s[22:23], v[12:13]
                                        ; implicit-def: $sgpr16_sgpr17
	s_and_saveexec_b64 s[20:21], vcc
	s_xor_b64 s[20:21], exec, s[20:21]
; %bb.77:                               ;   in Loop: Header=BB87_75 Depth=2
	v_add_u32_e32 v10, 1, v10
	v_and_b32_e32 v10, 7, v10
	s_mov_b64 s[16:17], -1
                                        ; implicit-def: $vgpr11
; %bb.78:                               ;   in Loop: Header=BB87_75 Depth=2
	s_andn2_saveexec_b64 s[20:21], s[20:21]
	s_cbranch_execz .LBB87_82
; %bb.79:                               ;   in Loop: Header=BB87_75 Depth=2
	v_pk_mov_b32 v[12:13], s[22:23], s[22:23] op_sel:[0,1]
	ds_cmpst_rtn_b64 v[12:13], v11, v[12:13], v[6:7]
	s_mov_b64 s[24:25], -1
	s_waitcnt lgkmcnt(0)
	v_cmp_eq_u64_e32 vcc, s[22:23], v[12:13]
	s_and_saveexec_b64 s[26:27], vcc
	s_cbranch_execz .LBB87_81
; %bb.80:                               ;   in Loop: Header=BB87_75 Depth=2
	v_lshl_add_u32 v11, v10, 4, v19
	ds_add_f32 v11, v23
	s_xor_b64 s[24:25], exec, -1
.LBB87_81:                              ;   in Loop: Header=BB87_75 Depth=2
	s_or_b64 exec, exec, s[26:27]
	s_andn2_b64 s[16:17], s[16:17], exec
	s_and_b64 s[24:25], s[24:25], exec
	s_or_b64 s[16:17], s[16:17], s[24:25]
.LBB87_82:                              ;   in Loop: Header=BB87_75 Depth=2
	s_or_b64 exec, exec, s[20:21]
	s_and_b64 s[16:17], s[16:17], exec
.LBB87_83:                              ;   in Loop: Header=BB87_75 Depth=2
	s_andn2_saveexec_b64 s[14:15], s[14:15]
	s_cbranch_execz .LBB87_74
; %bb.84:                               ;   in Loop: Header=BB87_75 Depth=2
	v_lshl_add_u32 v11, v10, 4, v19
	ds_add_f32 v11, v23
	s_andn2_b64 s[16:17], s[16:17], exec
	s_branch .LBB87_74
.LBB87_85:                              ;   in Loop: Header=BB87_73 Depth=1
	s_or_b64 exec, exec, s[12:13]
	s_waitcnt vmcnt(1)
	v_mul_f32_e32 v22, v21, v22
	s_mov_b64 s[12:13], 0
	v_pk_mov_b32 v[10:11], v[8:9], v[8:9] op_sel:[0,1]
	s_branch .LBB87_87
.LBB87_86:                              ;   in Loop: Header=BB87_87 Depth=2
	s_or_b64 exec, exec, s[14:15]
	s_xor_b64 s[14:15], s[16:17], -1
	s_and_b64 s[14:15], exec, s[14:15]
	s_or_b64 s[12:13], s[14:15], s[12:13]
	s_andn2_b64 exec, exec, s[12:13]
	s_cbranch_execz .LBB87_97
.LBB87_87:                              ;   Parent Loop BB87_73 Depth=1
                                        ; =>  This Inner Loop Header: Depth=2
	v_lshl_add_u32 v11, v10, 3, v20
	ds_read_b64 v[12:13], v11
                                        ; implicit-def: $sgpr16_sgpr17
	s_waitcnt lgkmcnt(0)
	v_cmp_ne_u64_e32 vcc, v[12:13], v[6:7]
	s_and_saveexec_b64 s[14:15], vcc
	s_xor_b64 s[14:15], exec, s[14:15]
	s_cbranch_execz .LBB87_95
; %bb.88:                               ;   in Loop: Header=BB87_87 Depth=2
	v_cmp_ne_u64_e32 vcc, s[22:23], v[12:13]
                                        ; implicit-def: $sgpr16_sgpr17
	s_and_saveexec_b64 s[20:21], vcc
	s_xor_b64 s[20:21], exec, s[20:21]
; %bb.89:                               ;   in Loop: Header=BB87_87 Depth=2
	v_add_u32_e32 v10, 1, v10
	v_and_b32_e32 v10, 7, v10
	s_mov_b64 s[16:17], -1
                                        ; implicit-def: $vgpr11
; %bb.90:                               ;   in Loop: Header=BB87_87 Depth=2
	s_andn2_saveexec_b64 s[20:21], s[20:21]
	s_cbranch_execz .LBB87_94
; %bb.91:                               ;   in Loop: Header=BB87_87 Depth=2
	v_pk_mov_b32 v[12:13], s[22:23], s[22:23] op_sel:[0,1]
	ds_cmpst_rtn_b64 v[12:13], v11, v[12:13], v[6:7]
	s_mov_b64 s[24:25], -1
	s_waitcnt lgkmcnt(0)
	v_cmp_eq_u64_e32 vcc, s[22:23], v[12:13]
	s_and_saveexec_b64 s[26:27], vcc
	s_cbranch_execz .LBB87_93
; %bb.92:                               ;   in Loop: Header=BB87_87 Depth=2
	v_lshl_add_u32 v11, v10, 4, v19
	ds_add_f32 v11, v22 offset:4
	s_xor_b64 s[24:25], exec, -1
.LBB87_93:                              ;   in Loop: Header=BB87_87 Depth=2
	s_or_b64 exec, exec, s[26:27]
	s_andn2_b64 s[16:17], s[16:17], exec
	s_and_b64 s[24:25], s[24:25], exec
	s_or_b64 s[16:17], s[16:17], s[24:25]
.LBB87_94:                              ;   in Loop: Header=BB87_87 Depth=2
	s_or_b64 exec, exec, s[20:21]
	s_and_b64 s[16:17], s[16:17], exec
.LBB87_95:                              ;   in Loop: Header=BB87_87 Depth=2
	s_andn2_saveexec_b64 s[14:15], s[14:15]
	s_cbranch_execz .LBB87_86
; %bb.96:                               ;   in Loop: Header=BB87_87 Depth=2
	v_lshl_add_u32 v11, v10, 4, v19
	ds_add_f32 v11, v22 offset:4
	s_andn2_b64 s[16:17], s[16:17], exec
	s_branch .LBB87_86
.LBB87_97:                              ;   in Loop: Header=BB87_73 Depth=1
	s_or_b64 exec, exec, s[12:13]
	v_mul_f32_e32 v17, v21, v17
	s_mov_b64 s[12:13], 0
	v_pk_mov_b32 v[10:11], v[8:9], v[8:9] op_sel:[0,1]
	s_branch .LBB87_99
.LBB87_98:                              ;   in Loop: Header=BB87_99 Depth=2
	s_or_b64 exec, exec, s[14:15]
	s_xor_b64 s[14:15], s[16:17], -1
	s_and_b64 s[14:15], exec, s[14:15]
	s_or_b64 s[12:13], s[14:15], s[12:13]
	s_andn2_b64 exec, exec, s[12:13]
	s_cbranch_execz .LBB87_109
.LBB87_99:                              ;   Parent Loop BB87_73 Depth=1
                                        ; =>  This Inner Loop Header: Depth=2
	v_lshl_add_u32 v11, v10, 3, v20
	ds_read_b64 v[12:13], v11
                                        ; implicit-def: $sgpr16_sgpr17
	s_waitcnt lgkmcnt(0)
	v_cmp_ne_u64_e32 vcc, v[12:13], v[6:7]
	s_and_saveexec_b64 s[14:15], vcc
	s_xor_b64 s[14:15], exec, s[14:15]
	s_cbranch_execz .LBB87_107
; %bb.100:                              ;   in Loop: Header=BB87_99 Depth=2
	v_cmp_ne_u64_e32 vcc, s[22:23], v[12:13]
                                        ; implicit-def: $sgpr16_sgpr17
	s_and_saveexec_b64 s[20:21], vcc
	s_xor_b64 s[20:21], exec, s[20:21]
; %bb.101:                              ;   in Loop: Header=BB87_99 Depth=2
	v_add_u32_e32 v10, 1, v10
	v_and_b32_e32 v10, 7, v10
	s_mov_b64 s[16:17], -1
                                        ; implicit-def: $vgpr11
; %bb.102:                              ;   in Loop: Header=BB87_99 Depth=2
	s_andn2_saveexec_b64 s[20:21], s[20:21]
	s_cbranch_execz .LBB87_106
; %bb.103:                              ;   in Loop: Header=BB87_99 Depth=2
	v_pk_mov_b32 v[12:13], s[22:23], s[22:23] op_sel:[0,1]
	ds_cmpst_rtn_b64 v[12:13], v11, v[12:13], v[6:7]
	s_mov_b64 s[24:25], -1
	s_waitcnt lgkmcnt(0)
	v_cmp_eq_u64_e32 vcc, s[22:23], v[12:13]
	s_and_saveexec_b64 s[26:27], vcc
	s_cbranch_execz .LBB87_105
; %bb.104:                              ;   in Loop: Header=BB87_99 Depth=2
	v_lshl_add_u32 v11, v10, 4, v19
	ds_add_f32 v11, v17 offset:8
	s_xor_b64 s[24:25], exec, -1
.LBB87_105:                             ;   in Loop: Header=BB87_99 Depth=2
	s_or_b64 exec, exec, s[26:27]
	s_andn2_b64 s[16:17], s[16:17], exec
	s_and_b64 s[24:25], s[24:25], exec
	s_or_b64 s[16:17], s[16:17], s[24:25]
.LBB87_106:                             ;   in Loop: Header=BB87_99 Depth=2
	s_or_b64 exec, exec, s[20:21]
	s_and_b64 s[16:17], s[16:17], exec
.LBB87_107:                             ;   in Loop: Header=BB87_99 Depth=2
	s_andn2_saveexec_b64 s[14:15], s[14:15]
	s_cbranch_execz .LBB87_98
; %bb.108:                              ;   in Loop: Header=BB87_99 Depth=2
	v_lshl_add_u32 v11, v10, 4, v19
	ds_add_f32 v11, v17 offset:8
	s_andn2_b64 s[16:17], s[16:17], exec
	s_branch .LBB87_98
.LBB87_109:                             ;   in Loop: Header=BB87_73 Depth=1
	s_or_b64 exec, exec, s[12:13]
	s_waitcnt vmcnt(0)
	v_mul_f32_e32 v12, v21, v16
	s_mov_b64 s[12:13], 0
	s_branch .LBB87_111
.LBB87_110:                             ;   in Loop: Header=BB87_111 Depth=2
	s_or_b64 exec, exec, s[14:15]
	s_xor_b64 s[14:15], s[16:17], -1
	s_and_b64 s[14:15], exec, s[14:15]
	s_or_b64 s[12:13], s[14:15], s[12:13]
	s_andn2_b64 exec, exec, s[12:13]
	s_cbranch_execz .LBB87_72
.LBB87_111:                             ;   Parent Loop BB87_73 Depth=1
                                        ; =>  This Inner Loop Header: Depth=2
	v_lshl_add_u32 v13, v8, 3, v20
	ds_read_b64 v[10:11], v13
                                        ; implicit-def: $sgpr16_sgpr17
	s_waitcnt lgkmcnt(0)
	v_cmp_ne_u64_e32 vcc, v[10:11], v[6:7]
	s_and_saveexec_b64 s[14:15], vcc
	s_xor_b64 s[14:15], exec, s[14:15]
	s_cbranch_execz .LBB87_119
; %bb.112:                              ;   in Loop: Header=BB87_111 Depth=2
	v_cmp_ne_u64_e32 vcc, s[22:23], v[10:11]
                                        ; implicit-def: $sgpr16_sgpr17
	s_and_saveexec_b64 s[20:21], vcc
	s_xor_b64 s[20:21], exec, s[20:21]
; %bb.113:                              ;   in Loop: Header=BB87_111 Depth=2
	v_add_u32_e32 v8, 1, v8
	v_and_b32_e32 v8, 7, v8
	s_mov_b64 s[16:17], -1
                                        ; implicit-def: $vgpr13
; %bb.114:                              ;   in Loop: Header=BB87_111 Depth=2
	s_andn2_saveexec_b64 s[20:21], s[20:21]
	s_cbranch_execz .LBB87_118
; %bb.115:                              ;   in Loop: Header=BB87_111 Depth=2
	v_pk_mov_b32 v[10:11], s[22:23], s[22:23] op_sel:[0,1]
	ds_cmpst_rtn_b64 v[10:11], v13, v[10:11], v[6:7]
	s_mov_b64 s[24:25], -1
	s_waitcnt lgkmcnt(0)
	v_cmp_eq_u64_e32 vcc, s[22:23], v[10:11]
	s_and_saveexec_b64 s[26:27], vcc
	s_cbranch_execz .LBB87_117
; %bb.116:                              ;   in Loop: Header=BB87_111 Depth=2
	v_lshl_add_u32 v10, v8, 4, v19
	ds_add_f32 v10, v12 offset:12
	s_xor_b64 s[24:25], exec, -1
.LBB87_117:                             ;   in Loop: Header=BB87_111 Depth=2
	s_or_b64 exec, exec, s[26:27]
	s_andn2_b64 s[16:17], s[16:17], exec
	s_and_b64 s[24:25], s[24:25], exec
	s_or_b64 s[16:17], s[16:17], s[24:25]
.LBB87_118:                             ;   in Loop: Header=BB87_111 Depth=2
	s_or_b64 exec, exec, s[20:21]
	s_and_b64 s[16:17], s[16:17], exec
.LBB87_119:                             ;   in Loop: Header=BB87_111 Depth=2
	s_andn2_saveexec_b64 s[14:15], s[14:15]
	s_cbranch_execz .LBB87_110
; %bb.120:                              ;   in Loop: Header=BB87_111 Depth=2
	v_lshl_add_u32 v10, v8, 4, v19
	ds_add_f32 v10, v12 offset:12
	s_andn2_b64 s[16:17], s[16:17], exec
	s_branch .LBB87_110
.LBB87_121:
	s_or_b64 exec, exec, s[2:3]
	s_waitcnt lgkmcnt(0)
	s_and_b64 exec, exec, s[0:1]
	s_cbranch_execz .LBB87_14
.LBB87_122:
	v_lshl_add_u32 v0, v18, 3, v20
	ds_read_b64 v[0:1], v0
	s_waitcnt lgkmcnt(0)
	v_cmp_gt_i64_e32 vcc, s[22:23], v[0:1]
	s_and_b64 exec, exec, vcc
	s_cbranch_execz .LBB87_14
; %bb.123:
	s_load_dwordx4 s[0:3], s[4:5], 0x80
	s_waitcnt vmcnt(0)
	v_lshlrev_b64 v[2:3], 3, v[4:5]
	s_cmp_eq_u32 s33, 0
	s_waitcnt lgkmcnt(0)
	v_mov_b32_e32 v4, s1
	v_add_co_u32_e32 v2, vcc, s0, v2
	v_addc_co_u32_e32 v3, vcc, v4, v3, vcc
	global_load_dwordx2 v[22:23], v[2:3], off
	ds_read_b128 v[2:5], v20
	ds_read_b128 v[6:9], v20 offset:16
	ds_read_b128 v[10:13], v20 offset:32
	;; [unrolled: 1-line block ×3, first 2 shown]
	v_add_co_u32_e32 v24, vcc, s18, v0
	v_addc_co_u32_e32 v25, vcc, 0, v1, vcc
	s_waitcnt lgkmcnt(3)
	v_cmp_gt_i64_e32 vcc, v[0:1], v[2:3]
	v_cndmask_b32_e64 v2, 0, 1, vcc
	v_cmp_gt_i64_e32 vcc, v[0:1], v[4:5]
	v_cndmask_b32_e64 v3, 0, 1, vcc
	s_waitcnt lgkmcnt(2)
	v_cmp_gt_i64_e32 vcc, v[0:1], v[6:7]
	v_cndmask_b32_e64 v4, 0, 1, vcc
	v_cmp_gt_i64_e32 vcc, v[0:1], v[8:9]
	v_cndmask_b32_e64 v5, 0, 1, vcc
	;; [unrolled: 5-line block ×4, first 2 shown]
	s_load_dwordx2 s[0:1], s[4:5], 0x90
	v_lshlrev_b32_e32 v20, 2, v18
	v_lshl_add_u32 v18, v18, 4, v19
	s_cselect_b32 s4, 1, 2
	s_cselect_b32 s5, 2, 1
	ds_read2_b32 v[26:27], v18 offset1:3
	v_or_b32_e32 v18, s4, v20
	v_or_b32_e32 v20, s5, v20
	v_lshl_add_u32 v18, v18, 2, v19
	v_lshl_add_u32 v20, v20, 2, v19
	ds_read_b32 v19, v18
	ds_read_b32 v20, v20
	v_mov_b32_e32 v9, s3
	s_waitcnt lgkmcnt(0)
	v_mov_b32_e32 v10, s1
	v_mov_b32_e32 v18, v26
	;; [unrolled: 1-line block ×3, first 2 shown]
	s_waitcnt vmcnt(0)
	v_subrev_co_u32_e32 v1, vcc, s18, v22
	v_subbrev_co_u32_e32 v11, vcc, 0, v23, vcc
	v_add_co_u32_e32 v1, vcc, v1, v2
	v_addc_co_u32_e32 v2, vcc, 0, v11, vcc
	v_add_co_u32_e32 v1, vcc, v1, v3
	v_addc_co_u32_e32 v2, vcc, 0, v2, vcc
	;; [unrolled: 2-line block ×8, first 2 shown]
	v_lshlrev_b64 v[2:3], 3, v[0:1]
	v_add_co_u32_e32 v2, vcc, s2, v2
	v_lshlrev_b64 v[0:1], 4, v[0:1]
	v_addc_co_u32_e32 v3, vcc, v9, v3, vcc
	v_add_co_u32_e32 v0, vcc, s0, v0
	v_addc_co_u32_e32 v1, vcc, v10, v1, vcc
	global_store_dwordx2 v[2:3], v[24:25], off
	global_store_dwordx4 v[0:1], v[18:21], off
	s_endpgm
	.section	.rodata,"a",@progbits
	.p2align	6, 0x0
	.amdhsa_kernel _ZN9rocsparseL27bsrgemm_fill_wf_per_row_2x2ILj256ELj16ELj8ELj137EllfEEv20rocsparse_direction_T4_S2_PKS2_S4_NS_24const_host_device_scalarIT5_EEPKT3_S4_PKS6_SA_S4_SC_S7_SA_S4_SC_SA_PS2_PS6_21rocsparse_index_base_SF_SF_SF_bbb
		.amdhsa_group_segment_fixed_size 3072
		.amdhsa_private_segment_fixed_size 0
		.amdhsa_kernarg_size 172
		.amdhsa_user_sgpr_count 6
		.amdhsa_user_sgpr_private_segment_buffer 1
		.amdhsa_user_sgpr_dispatch_ptr 0
		.amdhsa_user_sgpr_queue_ptr 0
		.amdhsa_user_sgpr_kernarg_segment_ptr 1
		.amdhsa_user_sgpr_dispatch_id 0
		.amdhsa_user_sgpr_flat_scratch_init 0
		.amdhsa_user_sgpr_kernarg_preload_length 0
		.amdhsa_user_sgpr_kernarg_preload_offset 0
		.amdhsa_user_sgpr_private_segment_size 0
		.amdhsa_uses_dynamic_stack 0
		.amdhsa_system_sgpr_private_segment_wavefront_offset 0
		.amdhsa_system_sgpr_workgroup_id_x 1
		.amdhsa_system_sgpr_workgroup_id_y 0
		.amdhsa_system_sgpr_workgroup_id_z 0
		.amdhsa_system_sgpr_workgroup_info 0
		.amdhsa_system_vgpr_workitem_id 0
		.amdhsa_next_free_vgpr 36
		.amdhsa_next_free_sgpr 47
		.amdhsa_accum_offset 36
		.amdhsa_reserve_vcc 1
		.amdhsa_reserve_flat_scratch 0
		.amdhsa_float_round_mode_32 0
		.amdhsa_float_round_mode_16_64 0
		.amdhsa_float_denorm_mode_32 3
		.amdhsa_float_denorm_mode_16_64 3
		.amdhsa_dx10_clamp 1
		.amdhsa_ieee_mode 1
		.amdhsa_fp16_overflow 0
		.amdhsa_tg_split 0
		.amdhsa_exception_fp_ieee_invalid_op 0
		.amdhsa_exception_fp_denorm_src 0
		.amdhsa_exception_fp_ieee_div_zero 0
		.amdhsa_exception_fp_ieee_overflow 0
		.amdhsa_exception_fp_ieee_underflow 0
		.amdhsa_exception_fp_ieee_inexact 0
		.amdhsa_exception_int_div_zero 0
	.end_amdhsa_kernel
	.section	.text._ZN9rocsparseL27bsrgemm_fill_wf_per_row_2x2ILj256ELj16ELj8ELj137EllfEEv20rocsparse_direction_T4_S2_PKS2_S4_NS_24const_host_device_scalarIT5_EEPKT3_S4_PKS6_SA_S4_SC_S7_SA_S4_SC_SA_PS2_PS6_21rocsparse_index_base_SF_SF_SF_bbb,"axG",@progbits,_ZN9rocsparseL27bsrgemm_fill_wf_per_row_2x2ILj256ELj16ELj8ELj137EllfEEv20rocsparse_direction_T4_S2_PKS2_S4_NS_24const_host_device_scalarIT5_EEPKT3_S4_PKS6_SA_S4_SC_S7_SA_S4_SC_SA_PS2_PS6_21rocsparse_index_base_SF_SF_SF_bbb,comdat
.Lfunc_end87:
	.size	_ZN9rocsparseL27bsrgemm_fill_wf_per_row_2x2ILj256ELj16ELj8ELj137EllfEEv20rocsparse_direction_T4_S2_PKS2_S4_NS_24const_host_device_scalarIT5_EEPKT3_S4_PKS6_SA_S4_SC_S7_SA_S4_SC_SA_PS2_PS6_21rocsparse_index_base_SF_SF_SF_bbb, .Lfunc_end87-_ZN9rocsparseL27bsrgemm_fill_wf_per_row_2x2ILj256ELj16ELj8ELj137EllfEEv20rocsparse_direction_T4_S2_PKS2_S4_NS_24const_host_device_scalarIT5_EEPKT3_S4_PKS6_SA_S4_SC_S7_SA_S4_SC_SA_PS2_PS6_21rocsparse_index_base_SF_SF_SF_bbb
                                        ; -- End function
	.section	.AMDGPU.csdata,"",@progbits
; Kernel info:
; codeLenInByte = 3664
; NumSgprs: 51
; NumVgprs: 36
; NumAgprs: 0
; TotalNumVgprs: 36
; ScratchSize: 0
; MemoryBound: 0
; FloatMode: 240
; IeeeMode: 1
; LDSByteSize: 3072 bytes/workgroup (compile time only)
; SGPRBlocks: 6
; VGPRBlocks: 4
; NumSGPRsForWavesPerEU: 51
; NumVGPRsForWavesPerEU: 36
; AccumOffset: 36
; Occupancy: 8
; WaveLimiterHint : 1
; COMPUTE_PGM_RSRC2:SCRATCH_EN: 0
; COMPUTE_PGM_RSRC2:USER_SGPR: 6
; COMPUTE_PGM_RSRC2:TRAP_HANDLER: 0
; COMPUTE_PGM_RSRC2:TGID_X_EN: 1
; COMPUTE_PGM_RSRC2:TGID_Y_EN: 0
; COMPUTE_PGM_RSRC2:TGID_Z_EN: 0
; COMPUTE_PGM_RSRC2:TIDIG_COMP_CNT: 0
; COMPUTE_PGM_RSRC3_GFX90A:ACCUM_OFFSET: 8
; COMPUTE_PGM_RSRC3_GFX90A:TG_SPLIT: 0
	.section	.text._ZN9rocsparseL27bsrgemm_fill_wf_per_row_2x2ILj256ELj16ELj16ELj137EllfEEv20rocsparse_direction_T4_S2_PKS2_S4_NS_24const_host_device_scalarIT5_EEPKT3_S4_PKS6_SA_S4_SC_S7_SA_S4_SC_SA_PS2_PS6_21rocsparse_index_base_SF_SF_SF_bbb,"axG",@progbits,_ZN9rocsparseL27bsrgemm_fill_wf_per_row_2x2ILj256ELj16ELj16ELj137EllfEEv20rocsparse_direction_T4_S2_PKS2_S4_NS_24const_host_device_scalarIT5_EEPKT3_S4_PKS6_SA_S4_SC_S7_SA_S4_SC_SA_PS2_PS6_21rocsparse_index_base_SF_SF_SF_bbb,comdat
	.globl	_ZN9rocsparseL27bsrgemm_fill_wf_per_row_2x2ILj256ELj16ELj16ELj137EllfEEv20rocsparse_direction_T4_S2_PKS2_S4_NS_24const_host_device_scalarIT5_EEPKT3_S4_PKS6_SA_S4_SC_S7_SA_S4_SC_SA_PS2_PS6_21rocsparse_index_base_SF_SF_SF_bbb ; -- Begin function _ZN9rocsparseL27bsrgemm_fill_wf_per_row_2x2ILj256ELj16ELj16ELj137EllfEEv20rocsparse_direction_T4_S2_PKS2_S4_NS_24const_host_device_scalarIT5_EEPKT3_S4_PKS6_SA_S4_SC_S7_SA_S4_SC_SA_PS2_PS6_21rocsparse_index_base_SF_SF_SF_bbb
	.p2align	8
	.type	_ZN9rocsparseL27bsrgemm_fill_wf_per_row_2x2ILj256ELj16ELj16ELj137EllfEEv20rocsparse_direction_T4_S2_PKS2_S4_NS_24const_host_device_scalarIT5_EEPKT3_S4_PKS6_SA_S4_SC_S7_SA_S4_SC_SA_PS2_PS6_21rocsparse_index_base_SF_SF_SF_bbb,@function
_ZN9rocsparseL27bsrgemm_fill_wf_per_row_2x2ILj256ELj16ELj16ELj137EllfEEv20rocsparse_direction_T4_S2_PKS2_S4_NS_24const_host_device_scalarIT5_EEPKT3_S4_PKS6_SA_S4_SC_S7_SA_S4_SC_SA_PS2_PS6_21rocsparse_index_base_SF_SF_SF_bbb: ; @_ZN9rocsparseL27bsrgemm_fill_wf_per_row_2x2ILj256ELj16ELj16ELj137EllfEEv20rocsparse_direction_T4_S2_PKS2_S4_NS_24const_host_device_scalarIT5_EEPKT3_S4_PKS6_SA_S4_SC_S7_SA_S4_SC_SA_PS2_PS6_21rocsparse_index_base_SF_SF_SF_bbb
; %bb.0:
	s_load_dword s7, s[4:5], 0xa8
	s_load_dwordx2 s[0:1], s[4:5], 0x28
	s_load_dwordx2 s[8:9], s[4:5], 0x60
	s_waitcnt lgkmcnt(0)
	s_bitcmp1_b32 s7, 0
	s_cselect_b64 s[2:3], -1, 0
	s_bitcmp1_b32 s7, 16
	s_cselect_b64 s[10:11], -1, 0
	s_xor_b64 s[12:13], s[2:3], -1
	s_or_b64 s[12:13], s[12:13], s[10:11]
	s_and_b64 vcc, exec, s[12:13]
	s_cbranch_vccnz .LBB88_2
; %bb.1:
	s_load_dword s0, s[0:1], 0x0
	s_waitcnt lgkmcnt(0)
	v_mov_b32_e32 v13, s0
	s_branch .LBB88_3
.LBB88_2:
	v_mov_b32_e32 v1, s0
	v_cndmask_b32_e64 v13, 0, v1, s[2:3]
.LBB88_3:
	s_bitcmp1_b32 s7, 8
	s_cselect_b64 s[0:1], -1, 0
	s_xor_b64 s[12:13], s[0:1], -1
	s_or_b64 s[10:11], s[12:13], s[10:11]
	s_and_b64 vcc, exec, s[10:11]
	s_cbranch_vccnz .LBB88_5
; %bb.4:
	s_load_dword s7, s[8:9], 0x0
	s_waitcnt lgkmcnt(0)
	v_mov_b32_e32 v21, s7
	s_branch .LBB88_6
.LBB88_5:
	v_mov_b32_e32 v1, s8
	v_cndmask_b32_e64 v21, 0, v1, s[0:1]
.LBB88_6:
	s_load_dwordx4 s[20:23], s[4:5], 0x8
	v_and_b32_e32 v19, 15, v0
	v_lshrrev_b32_e32 v2, 4, v0
	v_and_b32_e32 v0, 0xf0, v0
	v_mov_b32_e32 v1, 0x1000
	v_lshl_or_b32 v20, v0, 3, v1
	v_lshl_or_b32 v22, v19, 3, v20
	s_waitcnt lgkmcnt(0)
	v_pk_mov_b32 v[0:1], s[22:23], s[22:23] op_sel:[0,1]
	v_lshlrev_b32_e32 v18, 8, v2
	ds_write_b64 v22, v[0:1]
	v_lshl_or_b32 v0, v19, 2, v18
	v_mov_b32_e32 v1, 0
	ds_write2_b32 v0, v1, v1 offset1:16
	ds_write2_b32 v0, v1, v1 offset0:32 offset1:48
	v_lshl_or_b32 v0, s6, 4, v2
	v_cmp_gt_i64_e32 vcc, s[20:21], v[0:1]
	s_waitcnt lgkmcnt(0)
	s_barrier
	s_and_saveexec_b64 s[6:7], vcc
	s_cbranch_execz .LBB88_120
; %bb.7:
	s_load_dwordx2 s[6:7], s[4:5], 0x20
	s_load_dwordx4 s[16:19], s[4:5], 0x98
	s_waitcnt lgkmcnt(0)
	s_cmp_eq_u64 s[6:7], 0
	s_cbranch_scc1 .LBB88_9
; %bb.8:
	s_load_dwordx2 s[8:9], s[4:5], 0x18
	v_lshlrev_b64 v[0:1], 3, v[0:1]
	s_waitcnt lgkmcnt(0)
	s_load_dwordx2 s[8:9], s[8:9], 0x0
	s_waitcnt lgkmcnt(0)
	s_lshl_b64 s[8:9], s[8:9], 3
	s_add_u32 s6, s6, s8
	s_addc_u32 s7, s7, s9
	v_mov_b32_e32 v2, s7
	v_add_co_u32_e32 v0, vcc, s6, v0
	v_addc_co_u32_e32 v1, vcc, v2, v1, vcc
	global_load_dwordx2 v[0:1], v[0:1], off
.LBB88_9:
	s_load_dword s33, s[4:5], 0x0
	s_andn2_b64 vcc, exec, s[2:3]
	s_waitcnt vmcnt(0)
	v_lshlrev_b64 v[4:5], 3, v[0:1]
	s_cbranch_vccnz .LBB88_65
; %bb.10:
	s_load_dwordx2 s[2:3], s[4:5], 0x30
	s_mov_b32 s20, 0
	s_waitcnt lgkmcnt(0)
	v_mov_b32_e32 v1, s3
	v_add_co_u32_e32 v0, vcc, s2, v4
	v_addc_co_u32_e32 v1, vcc, v1, v5, vcc
	global_load_dwordx4 v[0:3], v[0:1], off
	v_subrev_co_u32_e32 v8, vcc, s16, v19
	v_subb_co_u32_e64 v9, s[2:3], 0, 0, vcc
	s_waitcnt vmcnt(0)
	v_subrev_co_u32_e32 v6, vcc, s16, v2
	v_subbrev_co_u32_e32 v7, vcc, 0, v3, vcc
	v_add_co_u32_e32 v8, vcc, v0, v8
	v_addc_co_u32_e32 v9, vcc, v1, v9, vcc
	v_cmp_lt_i64_e32 vcc, v[8:9], v[6:7]
	s_and_saveexec_b64 s[2:3], vcc
	s_cbranch_execz .LBB88_64
; %bb.11:
	s_load_dwordx2 s[6:7], s[4:5], 0x58
	s_load_dwordx8 s[8:15], s[4:5], 0x38
	s_cmp_eq_u32 s33, 0
	s_mov_b32 s40, s16
	s_mov_b32 s41, s17
	;; [unrolled: 1-line block ×3, first 2 shown]
	s_cselect_b32 s43, 1, 2
	s_cselect_b32 s44, 2, 1
	s_mov_b64 s[16:17], 0
	s_waitcnt lgkmcnt(0)
	v_mov_b32_e32 v23, s9
	v_mov_b32_e32 v24, s20
	;; [unrolled: 1-line block ×3, first 2 shown]
	s_branch .LBB88_13
.LBB88_12:                              ;   in Loop: Header=BB88_13 Depth=1
	s_or_b64 exec, exec, s[20:21]
	v_add_co_u32_e32 v8, vcc, 16, v8
	v_addc_co_u32_e32 v9, vcc, 0, v9, vcc
	v_cmp_ge_i64_e32 vcc, v[8:9], v[6:7]
	s_or_b64 s[16:17], vcc, s[16:17]
	s_andn2_b64 exec, exec, s[16:17]
	s_cbranch_execz .LBB88_64
.LBB88_13:                              ; =>This Loop Header: Depth=1
                                        ;     Child Loop BB88_16 Depth 2
                                        ;       Child Loop BB88_18 Depth 3
                                        ;       Child Loop BB88_30 Depth 3
	;; [unrolled: 1-line block ×4, first 2 shown]
	v_lshlrev_b64 v[0:1], 3, v[8:9]
	v_add_co_u32_e32 v0, vcc, s8, v0
	v_addc_co_u32_e32 v1, vcc, v23, v1, vcc
	global_load_dwordx2 v[0:1], v[0:1], off
	s_waitcnt vmcnt(0)
	v_subrev_co_u32_e32 v0, vcc, s40, v0
	v_subb_co_u32_e32 v1, vcc, v1, v24, vcc
	v_lshlrev_b64 v[0:1], 3, v[0:1]
	v_add_co_u32_e32 v0, vcc, s12, v0
	v_addc_co_u32_e32 v1, vcc, v25, v1, vcc
	global_load_dwordx4 v[0:3], v[0:1], off
	s_waitcnt vmcnt(0)
	v_cmp_lt_i64_e32 vcc, v[0:1], v[2:3]
	s_and_saveexec_b64 s[20:21], vcc
	s_cbranch_execz .LBB88_12
; %bb.14:                               ;   in Loop: Header=BB88_13 Depth=1
	v_lshlrev_b64 v[10:11], 2, v[8:9]
	v_lshlrev_b64 v[16:17], 4, v[8:9]
	v_or_b32_e32 v15, 0, v11
	v_or_b32_e32 v14, s43, v10
	;; [unrolled: 1-line block ×4, first 2 shown]
	v_mov_b32_e32 v12, s11
	v_add_co_u32_e32 v16, vcc, s10, v16
	v_addc_co_u32_e32 v17, vcc, v12, v17, vcc
	v_lshlrev_b64 v[10:11], 2, v[10:11]
	v_add_co_u32_e32 v10, vcc, s10, v10
	v_addc_co_u32_e32 v11, vcc, v12, v11, vcc
	v_lshlrev_b64 v[14:15], 2, v[14:15]
	v_add_co_u32_e32 v14, vcc, s10, v14
	v_addc_co_u32_e32 v15, vcc, v12, v15, vcc
	global_load_dword v12, v[16:17], off offset:12
	global_load_dword v27, v[10:11], off
	global_load_dword v29, v[14:15], off
	;; [unrolled: 1-line block ×3, first 2 shown]
	v_mov_b32_e32 v10, s42
	v_subrev_co_u32_e32 v2, vcc, s41, v2
	v_subb_co_u32_e32 v3, vcc, v3, v10, vcc
	v_subrev_co_u32_e32 v0, vcc, s41, v0
	v_subb_co_u32_e32 v1, vcc, v1, v10, vcc
	s_mov_b64 s[24:25], 0
	s_waitcnt vmcnt(3)
	v_mul_f32_e32 v26, v13, v12
	s_waitcnt vmcnt(2)
	v_mul_f32_e32 v27, v13, v27
	;; [unrolled: 2-line block ×4, first 2 shown]
	s_branch .LBB88_16
.LBB88_15:                              ;   in Loop: Header=BB88_16 Depth=2
	s_or_b64 exec, exec, s[26:27]
	v_add_co_u32_e32 v0, vcc, 1, v0
	v_addc_co_u32_e32 v1, vcc, 0, v1, vcc
	v_cmp_ge_i64_e32 vcc, v[0:1], v[2:3]
	s_or_b64 s[24:25], vcc, s[24:25]
	s_andn2_b64 exec, exec, s[24:25]
	s_cbranch_execz .LBB88_12
.LBB88_16:                              ;   Parent Loop BB88_13 Depth=1
                                        ; =>  This Loop Header: Depth=2
                                        ;       Child Loop BB88_18 Depth 3
                                        ;       Child Loop BB88_30 Depth 3
	;; [unrolled: 1-line block ×4, first 2 shown]
	v_lshlrev_b64 v[10:11], 3, v[0:1]
	v_mov_b32_e32 v12, s15
	v_add_co_u32_e32 v10, vcc, s14, v10
	v_addc_co_u32_e32 v11, vcc, v12, v11, vcc
	v_lshlrev_b64 v[14:15], 2, v[0:1]
	v_lshlrev_b64 v[30:31], 4, v[0:1]
	v_or_b32_e32 v17, 0, v15
	v_or_b32_e32 v16, s43, v14
	;; [unrolled: 1-line block ×4, first 2 shown]
	v_mov_b32_e32 v12, s7
	v_add_co_u32_e32 v34, vcc, s6, v30
	v_addc_co_u32_e32 v35, vcc, v12, v31, vcc
	v_lshlrev_b64 v[14:15], 2, v[14:15]
	global_load_dwordx2 v[10:11], v[10:11], off
	v_add_co_u32_e32 v14, vcc, s6, v14
	v_lshlrev_b64 v[16:17], 2, v[16:17]
	v_addc_co_u32_e32 v15, vcc, v12, v15, vcc
	global_load_dword v32, v[34:35], off
	global_load_dword v33, v[14:15], off
	v_add_co_u32_e32 v14, vcc, s6, v16
	v_addc_co_u32_e32 v15, vcc, v12, v17, vcc
	global_load_dword v30, v[14:15], off
	global_load_dword v31, v[34:35], off offset:12
	v_mov_b32_e32 v12, s42
	s_mov_b64 s[26:27], 0
	s_waitcnt vmcnt(4)
	v_subrev_co_u32_e32 v10, vcc, s41, v10
	v_subb_co_u32_e32 v11, vcc, v11, v12, vcc
	v_lshl_add_u32 v12, v10, 3, v10
	v_and_b32_e32 v12, 15, v12
	v_pk_mov_b32 v[14:15], v[12:13], v[12:13] op_sel:[0,1]
	s_waitcnt vmcnt(2)
	v_mul_f32_e32 v34, v29, v33
	v_fmac_f32_e32 v34, v28, v32
	s_branch .LBB88_18
.LBB88_17:                              ;   in Loop: Header=BB88_18 Depth=3
	s_or_b64 exec, exec, s[28:29]
	s_xor_b64 s[28:29], s[30:31], -1
	s_and_b64 s[28:29], exec, s[28:29]
	s_or_b64 s[26:27], s[28:29], s[26:27]
	s_andn2_b64 exec, exec, s[26:27]
	s_cbranch_execz .LBB88_28
.LBB88_18:                              ;   Parent Loop BB88_13 Depth=1
                                        ;     Parent Loop BB88_16 Depth=2
                                        ; =>    This Inner Loop Header: Depth=3
	v_lshl_add_u32 v15, v14, 3, v20
	ds_read_b64 v[16:17], v15
                                        ; implicit-def: $sgpr30_sgpr31
	s_waitcnt lgkmcnt(0)
	v_cmp_ne_u64_e32 vcc, v[16:17], v[10:11]
	s_and_saveexec_b64 s[28:29], vcc
	s_xor_b64 s[28:29], exec, s[28:29]
	s_cbranch_execz .LBB88_26
; %bb.19:                               ;   in Loop: Header=BB88_18 Depth=3
	v_cmp_ne_u64_e32 vcc, s[22:23], v[16:17]
                                        ; implicit-def: $sgpr30_sgpr31
	s_and_saveexec_b64 s[34:35], vcc
	s_xor_b64 s[34:35], exec, s[34:35]
; %bb.20:                               ;   in Loop: Header=BB88_18 Depth=3
	v_add_u32_e32 v14, 1, v14
	v_and_b32_e32 v14, 15, v14
	s_mov_b64 s[30:31], -1
                                        ; implicit-def: $vgpr15
; %bb.21:                               ;   in Loop: Header=BB88_18 Depth=3
	s_andn2_saveexec_b64 s[34:35], s[34:35]
	s_cbranch_execz .LBB88_25
; %bb.22:                               ;   in Loop: Header=BB88_18 Depth=3
	v_pk_mov_b32 v[16:17], s[22:23], s[22:23] op_sel:[0,1]
	ds_cmpst_rtn_b64 v[16:17], v15, v[16:17], v[10:11]
	s_mov_b64 s[36:37], -1
	s_waitcnt lgkmcnt(0)
	v_cmp_eq_u64_e32 vcc, s[22:23], v[16:17]
	s_and_saveexec_b64 s[38:39], vcc
	s_cbranch_execz .LBB88_24
; %bb.23:                               ;   in Loop: Header=BB88_18 Depth=3
	v_lshl_add_u32 v15, v14, 4, v18
	ds_add_f32 v15, v34
	s_xor_b64 s[36:37], exec, -1
.LBB88_24:                              ;   in Loop: Header=BB88_18 Depth=3
	s_or_b64 exec, exec, s[38:39]
	s_andn2_b64 s[30:31], s[30:31], exec
	s_and_b64 s[36:37], s[36:37], exec
	s_or_b64 s[30:31], s[30:31], s[36:37]
.LBB88_25:                              ;   in Loop: Header=BB88_18 Depth=3
	s_or_b64 exec, exec, s[34:35]
	s_and_b64 s[30:31], s[30:31], exec
.LBB88_26:                              ;   in Loop: Header=BB88_18 Depth=3
	s_andn2_saveexec_b64 s[28:29], s[28:29]
	s_cbranch_execz .LBB88_17
; %bb.27:                               ;   in Loop: Header=BB88_18 Depth=3
	v_lshl_add_u32 v15, v14, 4, v18
	ds_add_f32 v15, v34
	s_andn2_b64 s[30:31], s[30:31], exec
	s_branch .LBB88_17
.LBB88_28:                              ;   in Loop: Header=BB88_16 Depth=2
	s_or_b64 exec, exec, s[26:27]
	s_waitcnt vmcnt(0)
	v_mul_f32_e32 v34, v29, v31
	v_fmac_f32_e32 v34, v28, v30
	s_mov_b64 s[26:27], 0
	v_pk_mov_b32 v[14:15], v[12:13], v[12:13] op_sel:[0,1]
	s_branch .LBB88_30
.LBB88_29:                              ;   in Loop: Header=BB88_30 Depth=3
	s_or_b64 exec, exec, s[28:29]
	s_xor_b64 s[28:29], s[30:31], -1
	s_and_b64 s[28:29], exec, s[28:29]
	s_or_b64 s[26:27], s[28:29], s[26:27]
	s_andn2_b64 exec, exec, s[26:27]
	s_cbranch_execz .LBB88_40
.LBB88_30:                              ;   Parent Loop BB88_13 Depth=1
                                        ;     Parent Loop BB88_16 Depth=2
                                        ; =>    This Inner Loop Header: Depth=3
	v_lshl_add_u32 v15, v14, 3, v20
	ds_read_b64 v[16:17], v15
                                        ; implicit-def: $sgpr30_sgpr31
	s_waitcnt lgkmcnt(0)
	v_cmp_ne_u64_e32 vcc, v[16:17], v[10:11]
	s_and_saveexec_b64 s[28:29], vcc
	s_xor_b64 s[28:29], exec, s[28:29]
	s_cbranch_execz .LBB88_38
; %bb.31:                               ;   in Loop: Header=BB88_30 Depth=3
	v_cmp_ne_u64_e32 vcc, s[22:23], v[16:17]
                                        ; implicit-def: $sgpr30_sgpr31
	s_and_saveexec_b64 s[34:35], vcc
	s_xor_b64 s[34:35], exec, s[34:35]
; %bb.32:                               ;   in Loop: Header=BB88_30 Depth=3
	v_add_u32_e32 v14, 1, v14
	v_and_b32_e32 v14, 15, v14
	s_mov_b64 s[30:31], -1
                                        ; implicit-def: $vgpr15
; %bb.33:                               ;   in Loop: Header=BB88_30 Depth=3
	s_andn2_saveexec_b64 s[34:35], s[34:35]
	s_cbranch_execz .LBB88_37
; %bb.34:                               ;   in Loop: Header=BB88_30 Depth=3
	v_pk_mov_b32 v[16:17], s[22:23], s[22:23] op_sel:[0,1]
	ds_cmpst_rtn_b64 v[16:17], v15, v[16:17], v[10:11]
	s_mov_b64 s[36:37], -1
	s_waitcnt lgkmcnt(0)
	v_cmp_eq_u64_e32 vcc, s[22:23], v[16:17]
	s_and_saveexec_b64 s[38:39], vcc
	s_cbranch_execz .LBB88_36
; %bb.35:                               ;   in Loop: Header=BB88_30 Depth=3
	v_lshl_add_u32 v15, v14, 4, v18
	ds_add_f32 v15, v34 offset:4
	s_xor_b64 s[36:37], exec, -1
.LBB88_36:                              ;   in Loop: Header=BB88_30 Depth=3
	s_or_b64 exec, exec, s[38:39]
	s_andn2_b64 s[30:31], s[30:31], exec
	s_and_b64 s[36:37], s[36:37], exec
	s_or_b64 s[30:31], s[30:31], s[36:37]
.LBB88_37:                              ;   in Loop: Header=BB88_30 Depth=3
	s_or_b64 exec, exec, s[34:35]
	s_and_b64 s[30:31], s[30:31], exec
.LBB88_38:                              ;   in Loop: Header=BB88_30 Depth=3
	s_andn2_saveexec_b64 s[28:29], s[28:29]
	s_cbranch_execz .LBB88_29
; %bb.39:                               ;   in Loop: Header=BB88_30 Depth=3
	v_lshl_add_u32 v15, v14, 4, v18
	ds_add_f32 v15, v34 offset:4
	s_andn2_b64 s[30:31], s[30:31], exec
	s_branch .LBB88_29
.LBB88_40:                              ;   in Loop: Header=BB88_16 Depth=2
	s_or_b64 exec, exec, s[26:27]
	v_mul_f32_e32 v33, v26, v33
	v_fmac_f32_e32 v33, v27, v32
	s_mov_b64 s[26:27], 0
	v_pk_mov_b32 v[14:15], v[12:13], v[12:13] op_sel:[0,1]
	s_branch .LBB88_42
.LBB88_41:                              ;   in Loop: Header=BB88_42 Depth=3
	s_or_b64 exec, exec, s[28:29]
	s_xor_b64 s[28:29], s[30:31], -1
	s_and_b64 s[28:29], exec, s[28:29]
	s_or_b64 s[26:27], s[28:29], s[26:27]
	s_andn2_b64 exec, exec, s[26:27]
	s_cbranch_execz .LBB88_52
.LBB88_42:                              ;   Parent Loop BB88_13 Depth=1
                                        ;     Parent Loop BB88_16 Depth=2
                                        ; =>    This Inner Loop Header: Depth=3
	v_lshl_add_u32 v15, v14, 3, v20
	ds_read_b64 v[16:17], v15
                                        ; implicit-def: $sgpr30_sgpr31
	s_waitcnt lgkmcnt(0)
	v_cmp_ne_u64_e32 vcc, v[16:17], v[10:11]
	s_and_saveexec_b64 s[28:29], vcc
	s_xor_b64 s[28:29], exec, s[28:29]
	s_cbranch_execz .LBB88_50
; %bb.43:                               ;   in Loop: Header=BB88_42 Depth=3
	v_cmp_ne_u64_e32 vcc, s[22:23], v[16:17]
                                        ; implicit-def: $sgpr30_sgpr31
	s_and_saveexec_b64 s[34:35], vcc
	s_xor_b64 s[34:35], exec, s[34:35]
; %bb.44:                               ;   in Loop: Header=BB88_42 Depth=3
	v_add_u32_e32 v14, 1, v14
	v_and_b32_e32 v14, 15, v14
	s_mov_b64 s[30:31], -1
                                        ; implicit-def: $vgpr15
; %bb.45:                               ;   in Loop: Header=BB88_42 Depth=3
	s_andn2_saveexec_b64 s[34:35], s[34:35]
	s_cbranch_execz .LBB88_49
; %bb.46:                               ;   in Loop: Header=BB88_42 Depth=3
	v_pk_mov_b32 v[16:17], s[22:23], s[22:23] op_sel:[0,1]
	ds_cmpst_rtn_b64 v[16:17], v15, v[16:17], v[10:11]
	s_mov_b64 s[36:37], -1
	s_waitcnt lgkmcnt(0)
	v_cmp_eq_u64_e32 vcc, s[22:23], v[16:17]
	s_and_saveexec_b64 s[38:39], vcc
	s_cbranch_execz .LBB88_48
; %bb.47:                               ;   in Loop: Header=BB88_42 Depth=3
	v_lshl_add_u32 v15, v14, 4, v18
	ds_add_f32 v15, v33 offset:8
	s_xor_b64 s[36:37], exec, -1
.LBB88_48:                              ;   in Loop: Header=BB88_42 Depth=3
	s_or_b64 exec, exec, s[38:39]
	s_andn2_b64 s[30:31], s[30:31], exec
	s_and_b64 s[36:37], s[36:37], exec
	s_or_b64 s[30:31], s[30:31], s[36:37]
.LBB88_49:                              ;   in Loop: Header=BB88_42 Depth=3
	s_or_b64 exec, exec, s[34:35]
	s_and_b64 s[30:31], s[30:31], exec
.LBB88_50:                              ;   in Loop: Header=BB88_42 Depth=3
	s_andn2_saveexec_b64 s[28:29], s[28:29]
	s_cbranch_execz .LBB88_41
; %bb.51:                               ;   in Loop: Header=BB88_42 Depth=3
	v_lshl_add_u32 v15, v14, 4, v18
	ds_add_f32 v15, v33 offset:8
	s_andn2_b64 s[30:31], s[30:31], exec
	s_branch .LBB88_41
.LBB88_52:                              ;   in Loop: Header=BB88_16 Depth=2
	s_or_b64 exec, exec, s[26:27]
	v_mul_f32_e32 v16, v26, v31
	v_fmac_f32_e32 v16, v27, v30
	s_mov_b64 s[26:27], 0
	s_branch .LBB88_54
.LBB88_53:                              ;   in Loop: Header=BB88_54 Depth=3
	s_or_b64 exec, exec, s[28:29]
	s_xor_b64 s[28:29], s[30:31], -1
	s_and_b64 s[28:29], exec, s[28:29]
	s_or_b64 s[26:27], s[28:29], s[26:27]
	s_andn2_b64 exec, exec, s[26:27]
	s_cbranch_execz .LBB88_15
.LBB88_54:                              ;   Parent Loop BB88_13 Depth=1
                                        ;     Parent Loop BB88_16 Depth=2
                                        ; =>    This Inner Loop Header: Depth=3
	v_lshl_add_u32 v17, v12, 3, v20
	ds_read_b64 v[14:15], v17
                                        ; implicit-def: $sgpr30_sgpr31
	s_waitcnt lgkmcnt(0)
	v_cmp_ne_u64_e32 vcc, v[14:15], v[10:11]
	s_and_saveexec_b64 s[28:29], vcc
	s_xor_b64 s[28:29], exec, s[28:29]
	s_cbranch_execz .LBB88_62
; %bb.55:                               ;   in Loop: Header=BB88_54 Depth=3
	v_cmp_ne_u64_e32 vcc, s[22:23], v[14:15]
                                        ; implicit-def: $sgpr30_sgpr31
	s_and_saveexec_b64 s[34:35], vcc
	s_xor_b64 s[34:35], exec, s[34:35]
; %bb.56:                               ;   in Loop: Header=BB88_54 Depth=3
	v_add_u32_e32 v12, 1, v12
	v_and_b32_e32 v12, 15, v12
	s_mov_b64 s[30:31], -1
                                        ; implicit-def: $vgpr17
; %bb.57:                               ;   in Loop: Header=BB88_54 Depth=3
	s_andn2_saveexec_b64 s[34:35], s[34:35]
	s_cbranch_execz .LBB88_61
; %bb.58:                               ;   in Loop: Header=BB88_54 Depth=3
	v_pk_mov_b32 v[14:15], s[22:23], s[22:23] op_sel:[0,1]
	ds_cmpst_rtn_b64 v[14:15], v17, v[14:15], v[10:11]
	s_mov_b64 s[36:37], -1
	s_waitcnt lgkmcnt(0)
	v_cmp_eq_u64_e32 vcc, s[22:23], v[14:15]
	s_and_saveexec_b64 s[38:39], vcc
	s_cbranch_execz .LBB88_60
; %bb.59:                               ;   in Loop: Header=BB88_54 Depth=3
	v_lshl_add_u32 v14, v12, 4, v18
	ds_add_f32 v14, v16 offset:12
	s_xor_b64 s[36:37], exec, -1
.LBB88_60:                              ;   in Loop: Header=BB88_54 Depth=3
	s_or_b64 exec, exec, s[38:39]
	s_andn2_b64 s[30:31], s[30:31], exec
	s_and_b64 s[36:37], s[36:37], exec
	s_or_b64 s[30:31], s[30:31], s[36:37]
.LBB88_61:                              ;   in Loop: Header=BB88_54 Depth=3
	s_or_b64 exec, exec, s[34:35]
	s_and_b64 s[30:31], s[30:31], exec
.LBB88_62:                              ;   in Loop: Header=BB88_54 Depth=3
	s_andn2_saveexec_b64 s[28:29], s[28:29]
	s_cbranch_execz .LBB88_53
; %bb.63:                               ;   in Loop: Header=BB88_54 Depth=3
	v_lshl_add_u32 v14, v12, 4, v18
	ds_add_f32 v14, v16 offset:12
	s_andn2_b64 s[30:31], s[30:31], exec
	s_branch .LBB88_53
.LBB88_64:
	s_or_b64 exec, exec, s[2:3]
.LBB88_65:
	s_andn2_b64 vcc, exec, s[0:1]
	s_waitcnt lgkmcnt(0)
	s_cbranch_vccnz .LBB88_118
; %bb.66:
	s_load_dwordx2 s[0:1], s[4:5], 0x68
	s_mov_b32 s10, 0
	s_waitcnt lgkmcnt(0)
	v_mov_b32_e32 v1, s1
	v_add_co_u32_e32 v0, vcc, s0, v4
	v_addc_co_u32_e32 v1, vcc, v1, v5, vcc
	global_load_dwordx4 v[6:9], v[0:1], off
	v_subrev_co_u32_e32 v2, vcc, s19, v19
	v_subb_co_u32_e64 v3, s[0:1], 0, 0, vcc
	s_waitcnt vmcnt(0)
	v_subrev_co_u32_e32 v0, vcc, s19, v8
	v_subbrev_co_u32_e32 v1, vcc, 0, v9, vcc
	v_add_co_u32_e32 v2, vcc, v6, v2
	v_addc_co_u32_e32 v3, vcc, v7, v3, vcc
	v_cmp_lt_i64_e32 vcc, v[2:3], v[0:1]
	s_and_saveexec_b64 s[6:7], vcc
	s_cbranch_execz .LBB88_117
; %bb.67:
	s_load_dwordx4 s[0:3], s[4:5], 0x70
	s_cmp_eq_u32 s33, 0
	s_mov_b32 s26, s19
	s_mov_b64 s[8:9], 0
	s_cselect_b32 s19, 1, 2
	s_cselect_b32 s27, 2, 1
	s_waitcnt lgkmcnt(0)
	v_mov_b32_e32 v9, s3
	v_mov_b32_e32 v14, s1
	;; [unrolled: 1-line block ×3, first 2 shown]
	s_branch .LBB88_69
.LBB88_68:                              ;   in Loop: Header=BB88_69 Depth=1
	s_or_b64 exec, exec, s[10:11]
	v_add_co_u32_e32 v2, vcc, 16, v2
	v_addc_co_u32_e32 v3, vcc, 0, v3, vcc
	v_cmp_ge_i64_e32 vcc, v[2:3], v[0:1]
	s_or_b64 s[8:9], vcc, s[8:9]
	s_andn2_b64 exec, exec, s[8:9]
	s_cbranch_execz .LBB88_117
.LBB88_69:                              ; =>This Loop Header: Depth=1
                                        ;     Child Loop BB88_71 Depth 2
                                        ;     Child Loop BB88_83 Depth 2
	;; [unrolled: 1-line block ×4, first 2 shown]
	v_lshlrev_b64 v[6:7], 2, v[2:3]
	v_lshlrev_b64 v[12:13], 4, v[2:3]
	v_or_b32_e32 v11, 0, v7
	v_or_b32_e32 v10, s19, v6
	v_add_co_u32_e32 v12, vcc, s2, v12
	v_addc_co_u32_e32 v13, vcc, v9, v13, vcc
	v_lshlrev_b64 v[10:11], 2, v[10:11]
	v_add_co_u32_e32 v10, vcc, s2, v10
	v_addc_co_u32_e32 v11, vcc, v9, v11, vcc
	v_lshlrev_b64 v[16:17], 3, v[2:3]
	v_add_co_u32_e32 v16, vcc, s0, v16
	v_or_b32_e32 v7, 0, v7
	v_or_b32_e32 v6, s27, v6
	v_addc_co_u32_e32 v17, vcc, v14, v17, vcc
	v_lshlrev_b64 v[6:7], 2, v[6:7]
	global_load_dwordx2 v[26:27], v[16:17], off
	global_load_dword v8, v[12:13], off
	v_add_co_u32_e32 v6, vcc, s2, v6
	v_addc_co_u32_e32 v7, vcc, v9, v7, vcc
	global_load_dword v17, v[6:7], off
	global_load_dword v23, v[10:11], off
	global_load_dword v16, v[12:13], off offset:12
	s_mov_b64 s[10:11], 0
	s_waitcnt vmcnt(4)
	v_subrev_co_u32_e32 v6, vcc, s26, v26
	s_waitcnt vmcnt(3)
	v_mul_f32_e32 v24, v21, v8
	v_lshl_add_u32 v8, v6, 3, v6
	v_and_b32_e32 v8, 15, v8
	v_subb_co_u32_e32 v7, vcc, v27, v15, vcc
	v_pk_mov_b32 v[10:11], v[8:9], v[8:9] op_sel:[0,1]
	s_branch .LBB88_71
.LBB88_70:                              ;   in Loop: Header=BB88_71 Depth=2
	s_or_b64 exec, exec, s[12:13]
	s_xor_b64 s[12:13], s[14:15], -1
	s_and_b64 s[12:13], exec, s[12:13]
	s_or_b64 s[10:11], s[12:13], s[10:11]
	s_andn2_b64 exec, exec, s[10:11]
	s_cbranch_execz .LBB88_81
.LBB88_71:                              ;   Parent Loop BB88_69 Depth=1
                                        ; =>  This Inner Loop Header: Depth=2
	v_lshl_add_u32 v11, v10, 3, v20
	ds_read_b64 v[12:13], v11
                                        ; implicit-def: $sgpr14_sgpr15
	s_waitcnt lgkmcnt(0)
	v_cmp_ne_u64_e32 vcc, v[12:13], v[6:7]
	s_and_saveexec_b64 s[12:13], vcc
	s_xor_b64 s[12:13], exec, s[12:13]
	s_cbranch_execz .LBB88_79
; %bb.72:                               ;   in Loop: Header=BB88_71 Depth=2
	v_cmp_ne_u64_e32 vcc, s[22:23], v[12:13]
                                        ; implicit-def: $sgpr14_sgpr15
	s_and_saveexec_b64 s[16:17], vcc
	s_xor_b64 s[16:17], exec, s[16:17]
; %bb.73:                               ;   in Loop: Header=BB88_71 Depth=2
	v_add_u32_e32 v10, 1, v10
	v_and_b32_e32 v10, 15, v10
	s_mov_b64 s[14:15], -1
                                        ; implicit-def: $vgpr11
; %bb.74:                               ;   in Loop: Header=BB88_71 Depth=2
	s_andn2_saveexec_b64 s[16:17], s[16:17]
	s_cbranch_execz .LBB88_78
; %bb.75:                               ;   in Loop: Header=BB88_71 Depth=2
	v_pk_mov_b32 v[12:13], s[22:23], s[22:23] op_sel:[0,1]
	ds_cmpst_rtn_b64 v[12:13], v11, v[12:13], v[6:7]
	s_mov_b64 s[20:21], -1
	s_waitcnt lgkmcnt(0)
	v_cmp_eq_u64_e32 vcc, s[22:23], v[12:13]
	s_and_saveexec_b64 s[24:25], vcc
	s_cbranch_execz .LBB88_77
; %bb.76:                               ;   in Loop: Header=BB88_71 Depth=2
	v_lshl_add_u32 v11, v10, 4, v18
	ds_add_f32 v11, v24
	s_xor_b64 s[20:21], exec, -1
.LBB88_77:                              ;   in Loop: Header=BB88_71 Depth=2
	s_or_b64 exec, exec, s[24:25]
	s_andn2_b64 s[14:15], s[14:15], exec
	s_and_b64 s[20:21], s[20:21], exec
	s_or_b64 s[14:15], s[14:15], s[20:21]
.LBB88_78:                              ;   in Loop: Header=BB88_71 Depth=2
	s_or_b64 exec, exec, s[16:17]
	s_and_b64 s[14:15], s[14:15], exec
.LBB88_79:                              ;   in Loop: Header=BB88_71 Depth=2
	s_andn2_saveexec_b64 s[12:13], s[12:13]
	s_cbranch_execz .LBB88_70
; %bb.80:                               ;   in Loop: Header=BB88_71 Depth=2
	v_lshl_add_u32 v11, v10, 4, v18
	ds_add_f32 v11, v24
	s_andn2_b64 s[14:15], s[14:15], exec
	s_branch .LBB88_70
.LBB88_81:                              ;   in Loop: Header=BB88_69 Depth=1
	s_or_b64 exec, exec, s[10:11]
	s_waitcnt vmcnt(1)
	v_mul_f32_e32 v23, v21, v23
	s_mov_b64 s[10:11], 0
	v_pk_mov_b32 v[10:11], v[8:9], v[8:9] op_sel:[0,1]
	s_branch .LBB88_83
.LBB88_82:                              ;   in Loop: Header=BB88_83 Depth=2
	s_or_b64 exec, exec, s[12:13]
	s_xor_b64 s[12:13], s[14:15], -1
	s_and_b64 s[12:13], exec, s[12:13]
	s_or_b64 s[10:11], s[12:13], s[10:11]
	s_andn2_b64 exec, exec, s[10:11]
	s_cbranch_execz .LBB88_93
.LBB88_83:                              ;   Parent Loop BB88_69 Depth=1
                                        ; =>  This Inner Loop Header: Depth=2
	v_lshl_add_u32 v11, v10, 3, v20
	ds_read_b64 v[12:13], v11
                                        ; implicit-def: $sgpr14_sgpr15
	s_waitcnt lgkmcnt(0)
	v_cmp_ne_u64_e32 vcc, v[12:13], v[6:7]
	s_and_saveexec_b64 s[12:13], vcc
	s_xor_b64 s[12:13], exec, s[12:13]
	s_cbranch_execz .LBB88_91
; %bb.84:                               ;   in Loop: Header=BB88_83 Depth=2
	v_cmp_ne_u64_e32 vcc, s[22:23], v[12:13]
                                        ; implicit-def: $sgpr14_sgpr15
	s_and_saveexec_b64 s[16:17], vcc
	s_xor_b64 s[16:17], exec, s[16:17]
; %bb.85:                               ;   in Loop: Header=BB88_83 Depth=2
	v_add_u32_e32 v10, 1, v10
	v_and_b32_e32 v10, 15, v10
	s_mov_b64 s[14:15], -1
                                        ; implicit-def: $vgpr11
; %bb.86:                               ;   in Loop: Header=BB88_83 Depth=2
	s_andn2_saveexec_b64 s[16:17], s[16:17]
	s_cbranch_execz .LBB88_90
; %bb.87:                               ;   in Loop: Header=BB88_83 Depth=2
	v_pk_mov_b32 v[12:13], s[22:23], s[22:23] op_sel:[0,1]
	ds_cmpst_rtn_b64 v[12:13], v11, v[12:13], v[6:7]
	s_mov_b64 s[20:21], -1
	s_waitcnt lgkmcnt(0)
	v_cmp_eq_u64_e32 vcc, s[22:23], v[12:13]
	s_and_saveexec_b64 s[24:25], vcc
	s_cbranch_execz .LBB88_89
; %bb.88:                               ;   in Loop: Header=BB88_83 Depth=2
	v_lshl_add_u32 v11, v10, 4, v18
	ds_add_f32 v11, v23 offset:4
	s_xor_b64 s[20:21], exec, -1
.LBB88_89:                              ;   in Loop: Header=BB88_83 Depth=2
	s_or_b64 exec, exec, s[24:25]
	s_andn2_b64 s[14:15], s[14:15], exec
	s_and_b64 s[20:21], s[20:21], exec
	s_or_b64 s[14:15], s[14:15], s[20:21]
.LBB88_90:                              ;   in Loop: Header=BB88_83 Depth=2
	s_or_b64 exec, exec, s[16:17]
	s_and_b64 s[14:15], s[14:15], exec
.LBB88_91:                              ;   in Loop: Header=BB88_83 Depth=2
	s_andn2_saveexec_b64 s[12:13], s[12:13]
	s_cbranch_execz .LBB88_82
; %bb.92:                               ;   in Loop: Header=BB88_83 Depth=2
	v_lshl_add_u32 v11, v10, 4, v18
	ds_add_f32 v11, v23 offset:4
	s_andn2_b64 s[14:15], s[14:15], exec
	s_branch .LBB88_82
.LBB88_93:                              ;   in Loop: Header=BB88_69 Depth=1
	s_or_b64 exec, exec, s[10:11]
	v_mul_f32_e32 v17, v21, v17
	s_mov_b64 s[10:11], 0
	v_pk_mov_b32 v[10:11], v[8:9], v[8:9] op_sel:[0,1]
	s_branch .LBB88_95
.LBB88_94:                              ;   in Loop: Header=BB88_95 Depth=2
	s_or_b64 exec, exec, s[12:13]
	s_xor_b64 s[12:13], s[14:15], -1
	s_and_b64 s[12:13], exec, s[12:13]
	s_or_b64 s[10:11], s[12:13], s[10:11]
	s_andn2_b64 exec, exec, s[10:11]
	s_cbranch_execz .LBB88_105
.LBB88_95:                              ;   Parent Loop BB88_69 Depth=1
                                        ; =>  This Inner Loop Header: Depth=2
	v_lshl_add_u32 v11, v10, 3, v20
	ds_read_b64 v[12:13], v11
                                        ; implicit-def: $sgpr14_sgpr15
	s_waitcnt lgkmcnt(0)
	v_cmp_ne_u64_e32 vcc, v[12:13], v[6:7]
	s_and_saveexec_b64 s[12:13], vcc
	s_xor_b64 s[12:13], exec, s[12:13]
	s_cbranch_execz .LBB88_103
; %bb.96:                               ;   in Loop: Header=BB88_95 Depth=2
	v_cmp_ne_u64_e32 vcc, s[22:23], v[12:13]
                                        ; implicit-def: $sgpr14_sgpr15
	s_and_saveexec_b64 s[16:17], vcc
	s_xor_b64 s[16:17], exec, s[16:17]
; %bb.97:                               ;   in Loop: Header=BB88_95 Depth=2
	v_add_u32_e32 v10, 1, v10
	v_and_b32_e32 v10, 15, v10
	s_mov_b64 s[14:15], -1
                                        ; implicit-def: $vgpr11
; %bb.98:                               ;   in Loop: Header=BB88_95 Depth=2
	s_andn2_saveexec_b64 s[16:17], s[16:17]
	s_cbranch_execz .LBB88_102
; %bb.99:                               ;   in Loop: Header=BB88_95 Depth=2
	v_pk_mov_b32 v[12:13], s[22:23], s[22:23] op_sel:[0,1]
	ds_cmpst_rtn_b64 v[12:13], v11, v[12:13], v[6:7]
	s_mov_b64 s[20:21], -1
	s_waitcnt lgkmcnt(0)
	v_cmp_eq_u64_e32 vcc, s[22:23], v[12:13]
	s_and_saveexec_b64 s[24:25], vcc
	s_cbranch_execz .LBB88_101
; %bb.100:                              ;   in Loop: Header=BB88_95 Depth=2
	v_lshl_add_u32 v11, v10, 4, v18
	ds_add_f32 v11, v17 offset:8
	s_xor_b64 s[20:21], exec, -1
.LBB88_101:                             ;   in Loop: Header=BB88_95 Depth=2
	s_or_b64 exec, exec, s[24:25]
	s_andn2_b64 s[14:15], s[14:15], exec
	s_and_b64 s[20:21], s[20:21], exec
	s_or_b64 s[14:15], s[14:15], s[20:21]
.LBB88_102:                             ;   in Loop: Header=BB88_95 Depth=2
	s_or_b64 exec, exec, s[16:17]
	s_and_b64 s[14:15], s[14:15], exec
.LBB88_103:                             ;   in Loop: Header=BB88_95 Depth=2
	s_andn2_saveexec_b64 s[12:13], s[12:13]
	s_cbranch_execz .LBB88_94
; %bb.104:                              ;   in Loop: Header=BB88_95 Depth=2
	v_lshl_add_u32 v11, v10, 4, v18
	ds_add_f32 v11, v17 offset:8
	s_andn2_b64 s[14:15], s[14:15], exec
	s_branch .LBB88_94
.LBB88_105:                             ;   in Loop: Header=BB88_69 Depth=1
	s_or_b64 exec, exec, s[10:11]
	s_waitcnt vmcnt(0)
	v_mul_f32_e32 v12, v21, v16
	s_mov_b64 s[10:11], 0
	s_branch .LBB88_107
.LBB88_106:                             ;   in Loop: Header=BB88_107 Depth=2
	s_or_b64 exec, exec, s[12:13]
	s_xor_b64 s[12:13], s[14:15], -1
	s_and_b64 s[12:13], exec, s[12:13]
	s_or_b64 s[10:11], s[12:13], s[10:11]
	s_andn2_b64 exec, exec, s[10:11]
	s_cbranch_execz .LBB88_68
.LBB88_107:                             ;   Parent Loop BB88_69 Depth=1
                                        ; =>  This Inner Loop Header: Depth=2
	v_lshl_add_u32 v13, v8, 3, v20
	ds_read_b64 v[10:11], v13
                                        ; implicit-def: $sgpr14_sgpr15
	s_waitcnt lgkmcnt(0)
	v_cmp_ne_u64_e32 vcc, v[10:11], v[6:7]
	s_and_saveexec_b64 s[12:13], vcc
	s_xor_b64 s[12:13], exec, s[12:13]
	s_cbranch_execz .LBB88_115
; %bb.108:                              ;   in Loop: Header=BB88_107 Depth=2
	v_cmp_ne_u64_e32 vcc, s[22:23], v[10:11]
                                        ; implicit-def: $sgpr14_sgpr15
	s_and_saveexec_b64 s[16:17], vcc
	s_xor_b64 s[16:17], exec, s[16:17]
; %bb.109:                              ;   in Loop: Header=BB88_107 Depth=2
	v_add_u32_e32 v8, 1, v8
	v_and_b32_e32 v8, 15, v8
	s_mov_b64 s[14:15], -1
                                        ; implicit-def: $vgpr13
; %bb.110:                              ;   in Loop: Header=BB88_107 Depth=2
	s_andn2_saveexec_b64 s[16:17], s[16:17]
	s_cbranch_execz .LBB88_114
; %bb.111:                              ;   in Loop: Header=BB88_107 Depth=2
	v_pk_mov_b32 v[10:11], s[22:23], s[22:23] op_sel:[0,1]
	ds_cmpst_rtn_b64 v[10:11], v13, v[10:11], v[6:7]
	s_mov_b64 s[20:21], -1
	s_waitcnt lgkmcnt(0)
	v_cmp_eq_u64_e32 vcc, s[22:23], v[10:11]
	s_and_saveexec_b64 s[24:25], vcc
	s_cbranch_execz .LBB88_113
; %bb.112:                              ;   in Loop: Header=BB88_107 Depth=2
	v_lshl_add_u32 v10, v8, 4, v18
	ds_add_f32 v10, v12 offset:12
	s_xor_b64 s[20:21], exec, -1
.LBB88_113:                             ;   in Loop: Header=BB88_107 Depth=2
	s_or_b64 exec, exec, s[24:25]
	s_andn2_b64 s[14:15], s[14:15], exec
	s_and_b64 s[20:21], s[20:21], exec
	s_or_b64 s[14:15], s[14:15], s[20:21]
.LBB88_114:                             ;   in Loop: Header=BB88_107 Depth=2
	s_or_b64 exec, exec, s[16:17]
	s_and_b64 s[14:15], s[14:15], exec
.LBB88_115:                             ;   in Loop: Header=BB88_107 Depth=2
	s_andn2_saveexec_b64 s[12:13], s[12:13]
	s_cbranch_execz .LBB88_106
; %bb.116:                              ;   in Loop: Header=BB88_107 Depth=2
	v_lshl_add_u32 v10, v8, 4, v18
	ds_add_f32 v10, v12 offset:12
	s_andn2_b64 s[14:15], s[14:15], exec
	s_branch .LBB88_106
.LBB88_117:
	s_or_b64 exec, exec, s[6:7]
.LBB88_118:
	s_waitcnt lgkmcnt(0)
	ds_read_b64 v[0:1], v22
	s_waitcnt lgkmcnt(0)
	v_cmp_gt_i64_e32 vcc, s[22:23], v[0:1]
	s_and_b64 exec, exec, vcc
	s_cbranch_execz .LBB88_120
; %bb.119:
	s_load_dwordx4 s[0:3], s[4:5], 0x80
	s_cmp_eq_u32 s33, 0
	s_waitcnt lgkmcnt(0)
	v_mov_b32_e32 v3, s1
	v_add_co_u32_e32 v2, vcc, s0, v4
	v_addc_co_u32_e32 v3, vcc, v3, v5, vcc
	global_load_dwordx2 v[38:39], v[2:3], off
	ds_read_b128 v[2:5], v20
	ds_read_b128 v[6:9], v20 offset:16
	ds_read_b128 v[10:13], v20 offset:32
	ds_read_b128 v[14:17], v20 offset:48
	ds_read_b128 v[22:25], v20 offset:64
	ds_read_b128 v[26:29], v20 offset:80
	ds_read_b128 v[30:33], v20 offset:96
	ds_read_b128 v[34:37], v20 offset:112
	s_waitcnt lgkmcnt(7)
	v_cmp_gt_i64_e32 vcc, v[0:1], v[2:3]
	v_cndmask_b32_e64 v2, 0, 1, vcc
	v_cmp_gt_i64_e32 vcc, v[0:1], v[4:5]
	v_cndmask_b32_e64 v3, 0, 1, vcc
	s_waitcnt lgkmcnt(6)
	v_cmp_gt_i64_e32 vcc, v[0:1], v[6:7]
	v_cndmask_b32_e64 v4, 0, 1, vcc
	v_cmp_gt_i64_e32 vcc, v[0:1], v[8:9]
	v_cndmask_b32_e64 v5, 0, 1, vcc
	;; [unrolled: 5-line block ×7, first 2 shown]
	s_load_dwordx2 s[0:1], s[4:5], 0x90
	s_waitcnt vmcnt(0)
	v_subrev_co_u32_e32 v16, vcc, s18, v38
	v_subbrev_co_u32_e32 v17, vcc, 0, v39, vcc
	v_add_co_u32_e32 v2, vcc, v16, v2
	v_addc_co_u32_e32 v16, vcc, 0, v17, vcc
	v_add_co_u32_e32 v2, vcc, v2, v3
	v_addc_co_u32_e32 v3, vcc, 0, v16, vcc
	;; [unrolled: 2-line block ×14, first 2 shown]
	s_waitcnt lgkmcnt(0)
	v_cmp_gt_i64_e32 vcc, v[0:1], v[34:35]
	v_cndmask_b32_e64 v4, 0, 1, vcc
	v_add_co_u32_e32 v2, vcc, v2, v4
	v_addc_co_u32_e32 v3, vcc, 0, v3, vcc
	v_cmp_gt_i64_e32 vcc, v[0:1], v[36:37]
	v_cndmask_b32_e64 v4, 0, 1, vcc
	v_add_co_u32_e32 v2, vcc, v2, v4
	v_addc_co_u32_e32 v3, vcc, 0, v3, vcc
	v_add_co_u32_e32 v0, vcc, s18, v0
	v_addc_co_u32_e32 v1, vcc, 0, v1, vcc
	v_lshlrev_b64 v[4:5], 3, v[2:3]
	v_mov_b32_e32 v6, s3
	v_add_co_u32_e32 v4, vcc, s2, v4
	v_addc_co_u32_e32 v5, vcc, v6, v5, vcc
	global_store_dwordx2 v[4:5], v[0:1], off
	v_lshlrev_b32_e32 v0, 2, v19
	v_lshlrev_b64 v[4:5], 4, v[2:3]
	v_mov_b32_e32 v3, s1
	s_cselect_b32 s1, 1, 2
	s_cselect_b32 s2, 2, 1
	v_or_b32_e32 v1, s1, v0
	v_lshl_add_u32 v6, v19, 4, v18
	v_lshl_add_u32 v1, v1, 2, v18
	v_or_b32_e32 v0, s2, v0
	v_lshl_add_u32 v0, v0, 2, v18
	ds_read_b32 v1, v1
	ds_read_b32 v2, v0
	ds_read2_b32 v[6:7], v6 offset1:3
	v_add_co_u32_e32 v4, vcc, s0, v4
	v_addc_co_u32_e32 v5, vcc, v3, v5, vcc
	s_waitcnt lgkmcnt(0)
	v_mov_b32_e32 v0, v6
	v_mov_b32_e32 v3, v7
	global_store_dwordx4 v[4:5], v[0:3], off
.LBB88_120:
	s_endpgm
	.section	.rodata,"a",@progbits
	.p2align	6, 0x0
	.amdhsa_kernel _ZN9rocsparseL27bsrgemm_fill_wf_per_row_2x2ILj256ELj16ELj16ELj137EllfEEv20rocsparse_direction_T4_S2_PKS2_S4_NS_24const_host_device_scalarIT5_EEPKT3_S4_PKS6_SA_S4_SC_S7_SA_S4_SC_SA_PS2_PS6_21rocsparse_index_base_SF_SF_SF_bbb
		.amdhsa_group_segment_fixed_size 6144
		.amdhsa_private_segment_fixed_size 0
		.amdhsa_kernarg_size 172
		.amdhsa_user_sgpr_count 6
		.amdhsa_user_sgpr_private_segment_buffer 1
		.amdhsa_user_sgpr_dispatch_ptr 0
		.amdhsa_user_sgpr_queue_ptr 0
		.amdhsa_user_sgpr_kernarg_segment_ptr 1
		.amdhsa_user_sgpr_dispatch_id 0
		.amdhsa_user_sgpr_flat_scratch_init 0
		.amdhsa_user_sgpr_kernarg_preload_length 0
		.amdhsa_user_sgpr_kernarg_preload_offset 0
		.amdhsa_user_sgpr_private_segment_size 0
		.amdhsa_uses_dynamic_stack 0
		.amdhsa_system_sgpr_private_segment_wavefront_offset 0
		.amdhsa_system_sgpr_workgroup_id_x 1
		.amdhsa_system_sgpr_workgroup_id_y 0
		.amdhsa_system_sgpr_workgroup_id_z 0
		.amdhsa_system_sgpr_workgroup_info 0
		.amdhsa_system_vgpr_workitem_id 0
		.amdhsa_next_free_vgpr 40
		.amdhsa_next_free_sgpr 45
		.amdhsa_accum_offset 40
		.amdhsa_reserve_vcc 1
		.amdhsa_reserve_flat_scratch 0
		.amdhsa_float_round_mode_32 0
		.amdhsa_float_round_mode_16_64 0
		.amdhsa_float_denorm_mode_32 3
		.amdhsa_float_denorm_mode_16_64 3
		.amdhsa_dx10_clamp 1
		.amdhsa_ieee_mode 1
		.amdhsa_fp16_overflow 0
		.amdhsa_tg_split 0
		.amdhsa_exception_fp_ieee_invalid_op 0
		.amdhsa_exception_fp_denorm_src 0
		.amdhsa_exception_fp_ieee_div_zero 0
		.amdhsa_exception_fp_ieee_overflow 0
		.amdhsa_exception_fp_ieee_underflow 0
		.amdhsa_exception_fp_ieee_inexact 0
		.amdhsa_exception_int_div_zero 0
	.end_amdhsa_kernel
	.section	.text._ZN9rocsparseL27bsrgemm_fill_wf_per_row_2x2ILj256ELj16ELj16ELj137EllfEEv20rocsparse_direction_T4_S2_PKS2_S4_NS_24const_host_device_scalarIT5_EEPKT3_S4_PKS6_SA_S4_SC_S7_SA_S4_SC_SA_PS2_PS6_21rocsparse_index_base_SF_SF_SF_bbb,"axG",@progbits,_ZN9rocsparseL27bsrgemm_fill_wf_per_row_2x2ILj256ELj16ELj16ELj137EllfEEv20rocsparse_direction_T4_S2_PKS2_S4_NS_24const_host_device_scalarIT5_EEPKT3_S4_PKS6_SA_S4_SC_S7_SA_S4_SC_SA_PS2_PS6_21rocsparse_index_base_SF_SF_SF_bbb,comdat
.Lfunc_end88:
	.size	_ZN9rocsparseL27bsrgemm_fill_wf_per_row_2x2ILj256ELj16ELj16ELj137EllfEEv20rocsparse_direction_T4_S2_PKS2_S4_NS_24const_host_device_scalarIT5_EEPKT3_S4_PKS6_SA_S4_SC_S7_SA_S4_SC_SA_PS2_PS6_21rocsparse_index_base_SF_SF_SF_bbb, .Lfunc_end88-_ZN9rocsparseL27bsrgemm_fill_wf_per_row_2x2ILj256ELj16ELj16ELj137EllfEEv20rocsparse_direction_T4_S2_PKS2_S4_NS_24const_host_device_scalarIT5_EEPKT3_S4_PKS6_SA_S4_SC_S7_SA_S4_SC_SA_PS2_PS6_21rocsparse_index_base_SF_SF_SF_bbb
                                        ; -- End function
	.section	.AMDGPU.csdata,"",@progbits
; Kernel info:
; codeLenInByte = 3816
; NumSgprs: 49
; NumVgprs: 40
; NumAgprs: 0
; TotalNumVgprs: 40
; ScratchSize: 0
; MemoryBound: 0
; FloatMode: 240
; IeeeMode: 1
; LDSByteSize: 6144 bytes/workgroup (compile time only)
; SGPRBlocks: 6
; VGPRBlocks: 4
; NumSGPRsForWavesPerEU: 49
; NumVGPRsForWavesPerEU: 40
; AccumOffset: 40
; Occupancy: 8
; WaveLimiterHint : 1
; COMPUTE_PGM_RSRC2:SCRATCH_EN: 0
; COMPUTE_PGM_RSRC2:USER_SGPR: 6
; COMPUTE_PGM_RSRC2:TRAP_HANDLER: 0
; COMPUTE_PGM_RSRC2:TGID_X_EN: 1
; COMPUTE_PGM_RSRC2:TGID_Y_EN: 0
; COMPUTE_PGM_RSRC2:TGID_Z_EN: 0
; COMPUTE_PGM_RSRC2:TIDIG_COMP_CNT: 0
; COMPUTE_PGM_RSRC3_GFX90A:ACCUM_OFFSET: 9
; COMPUTE_PGM_RSRC3_GFX90A:TG_SPLIT: 0
	.section	.text._ZN9rocsparseL27bsrgemm_fill_wf_per_row_2x2ILj256ELj16ELj32ELj137EllfEEv20rocsparse_direction_T4_S2_PKS2_S4_NS_24const_host_device_scalarIT5_EEPKT3_S4_PKS6_SA_S4_SC_S7_SA_S4_SC_SA_PS2_PS6_21rocsparse_index_base_SF_SF_SF_bbb,"axG",@progbits,_ZN9rocsparseL27bsrgemm_fill_wf_per_row_2x2ILj256ELj16ELj32ELj137EllfEEv20rocsparse_direction_T4_S2_PKS2_S4_NS_24const_host_device_scalarIT5_EEPKT3_S4_PKS6_SA_S4_SC_S7_SA_S4_SC_SA_PS2_PS6_21rocsparse_index_base_SF_SF_SF_bbb,comdat
	.globl	_ZN9rocsparseL27bsrgemm_fill_wf_per_row_2x2ILj256ELj16ELj32ELj137EllfEEv20rocsparse_direction_T4_S2_PKS2_S4_NS_24const_host_device_scalarIT5_EEPKT3_S4_PKS6_SA_S4_SC_S7_SA_S4_SC_SA_PS2_PS6_21rocsparse_index_base_SF_SF_SF_bbb ; -- Begin function _ZN9rocsparseL27bsrgemm_fill_wf_per_row_2x2ILj256ELj16ELj32ELj137EllfEEv20rocsparse_direction_T4_S2_PKS2_S4_NS_24const_host_device_scalarIT5_EEPKT3_S4_PKS6_SA_S4_SC_S7_SA_S4_SC_SA_PS2_PS6_21rocsparse_index_base_SF_SF_SF_bbb
	.p2align	8
	.type	_ZN9rocsparseL27bsrgemm_fill_wf_per_row_2x2ILj256ELj16ELj32ELj137EllfEEv20rocsparse_direction_T4_S2_PKS2_S4_NS_24const_host_device_scalarIT5_EEPKT3_S4_PKS6_SA_S4_SC_S7_SA_S4_SC_SA_PS2_PS6_21rocsparse_index_base_SF_SF_SF_bbb,@function
_ZN9rocsparseL27bsrgemm_fill_wf_per_row_2x2ILj256ELj16ELj32ELj137EllfEEv20rocsparse_direction_T4_S2_PKS2_S4_NS_24const_host_device_scalarIT5_EEPKT3_S4_PKS6_SA_S4_SC_S7_SA_S4_SC_SA_PS2_PS6_21rocsparse_index_base_SF_SF_SF_bbb: ; @_ZN9rocsparseL27bsrgemm_fill_wf_per_row_2x2ILj256ELj16ELj32ELj137EllfEEv20rocsparse_direction_T4_S2_PKS2_S4_NS_24const_host_device_scalarIT5_EEPKT3_S4_PKS6_SA_S4_SC_S7_SA_S4_SC_SA_PS2_PS6_21rocsparse_index_base_SF_SF_SF_bbb
; %bb.0:
	s_load_dword s7, s[4:5], 0xa8
	s_load_dwordx4 s[24:27], s[4:5], 0x98
	s_load_dwordx2 s[0:1], s[4:5], 0x28
	s_load_dwordx2 s[34:35], s[4:5], 0x60
	s_waitcnt lgkmcnt(0)
	s_bitcmp1_b32 s7, 0
	s_cselect_b64 s[2:3], -1, 0
	s_bitcmp1_b32 s7, 16
	s_cselect_b64 s[36:37], -1, 0
	s_xor_b64 s[8:9], s[2:3], -1
	s_or_b64 s[8:9], s[8:9], s[36:37]
	s_and_b64 vcc, exec, s[8:9]
	s_cbranch_vccnz .LBB89_2
; %bb.1:
	s_load_dword s0, s[0:1], 0x0
	s_waitcnt lgkmcnt(0)
	v_mov_b32_e32 v13, s0
	s_branch .LBB89_3
.LBB89_2:
	v_mov_b32_e32 v1, s0
	v_cndmask_b32_e64 v13, 0, v1, s[2:3]
.LBB89_3:
	s_load_dwordx4 s[28:31], s[4:5], 0x88
	s_load_dwordx8 s[8:15], s[4:5], 0x68
	s_load_dwordx4 s[40:43], s[4:5], 0x50
	s_load_dwordx4 s[44:47], s[4:5], 0x18
	s_load_dwordx8 s[16:23], s[4:5], 0x30
	s_bitcmp1_b32 s7, 8
	s_cselect_b64 s[0:1], -1, 0
	s_xor_b64 s[38:39], s[0:1], -1
	s_or_b64 s[36:37], s[38:39], s[36:37]
	s_and_b64 vcc, exec, s[36:37]
	s_cbranch_vccnz .LBB89_5
; %bb.4:
	s_load_dword s7, s[34:35], 0x0
	s_waitcnt lgkmcnt(0)
	v_mov_b32_e32 v22, s7
	s_branch .LBB89_6
.LBB89_5:
	v_mov_b32_e32 v1, s34
	v_cndmask_b32_e64 v22, 0, v1, s[0:1]
.LBB89_6:
	s_load_dwordx4 s[36:39], s[4:5], 0x8
	v_and_b32_e32 v23, 15, v0
	v_lshrrev_b32_e32 v21, 4, v0
	v_lshlrev_b32_e32 v0, 8, v21
	v_lshlrev_b32_e32 v1, 3, v23
	s_movk_i32 s7, 0x2000
	v_or_b32_e32 v18, -16, v23
	v_or3_b32 v19, v0, v1, s7
	s_mov_b64 s[34:35], 0
	s_waitcnt lgkmcnt(0)
	v_pk_mov_b32 v[0:1], s[38:39], s[38:39] op_sel:[0,1]
	v_mov_b32_e32 v2, v19
	v_mov_b32_e32 v3, v18
.LBB89_7:                               ; =>This Inner Loop Header: Depth=1
	v_add_co_u32_e32 v3, vcc, 16, v3
	s_xor_b64 s[48:49], vcc, -1
	s_and_b64 s[48:49], exec, s[48:49]
	ds_write_b64 v2, v[0:1]
	s_or_b64 s[34:35], s[48:49], s[34:35]
	v_add_u32_e32 v2, 0x80, v2
	s_andn2_b64 exec, exec, s[34:35]
	s_cbranch_execnz .LBB89_7
; %bb.8:
	s_or_b64 exec, exec, s[34:35]
	v_lshlrev_b32_e32 v24, 9, v21
	v_lshl_or_b32 v0, v23, 2, v24
	v_mov_b32_e32 v1, 0
	ds_write2_b32 v0, v1, v1 offset1:16
	ds_write2_b32 v0, v1, v1 offset0:32 offset1:48
	ds_write2_b32 v0, v1, v1 offset0:64 offset1:80
	ds_write2_b32 v0, v1, v1 offset0:96 offset1:112
	v_lshl_or_b32 v0, s6, 4, v21
	v_cmp_gt_i64_e32 vcc, s[36:37], v[0:1]
	s_waitcnt lgkmcnt(0)
	s_barrier
	s_and_saveexec_b64 s[6:7], vcc
	s_cbranch_execz .LBB89_124
; %bb.9:
	s_cmp_eq_u64 s[46:47], 0
	s_cbranch_scc1 .LBB89_11
; %bb.10:
	s_load_dwordx2 s[6:7], s[44:45], 0x0
	v_lshlrev_b64 v[0:1], 3, v[0:1]
	s_waitcnt lgkmcnt(0)
	s_lshl_b64 s[6:7], s[6:7], 3
	s_add_u32 s6, s46, s6
	s_addc_u32 s7, s47, s7
	v_mov_b32_e32 v2, s7
	v_add_co_u32_e32 v0, vcc, s6, v0
	v_addc_co_u32_e32 v1, vcc, v2, v1, vcc
	global_load_dwordx2 v[0:1], v[0:1], off
.LBB89_11:
	s_load_dword s33, s[4:5], 0x0
	v_mov_b32_e32 v2, 0x2000
	v_lshl_or_b32 v20, v21, 8, v2
	s_andn2_b64 vcc, exec, s[2:3]
	s_waitcnt vmcnt(0)
	v_lshlrev_b64 v[4:5], 3, v[0:1]
	s_cbranch_vccnz .LBB89_67
; %bb.12:
	v_mov_b32_e32 v1, s17
	v_add_co_u32_e32 v0, vcc, s16, v4
	v_addc_co_u32_e32 v1, vcc, v1, v5, vcc
	global_load_dwordx4 v[0:3], v[0:1], off
	v_subrev_co_u32_e32 v8, vcc, s24, v23
	v_subb_co_u32_e64 v9, s[2:3], 0, 0, vcc
	s_mov_b32 s6, 0
	s_waitcnt vmcnt(0)
	v_subrev_co_u32_e32 v6, vcc, s24, v2
	v_subbrev_co_u32_e32 v7, vcc, 0, v3, vcc
	v_add_co_u32_e32 v8, vcc, v0, v8
	v_addc_co_u32_e32 v9, vcc, v1, v9, vcc
	v_cmp_lt_i64_e32 vcc, v[8:9], v[6:7]
	s_and_saveexec_b64 s[2:3], vcc
	s_cbranch_execz .LBB89_66
; %bb.13:
	s_waitcnt lgkmcnt(0)
	s_cmp_eq_u32 s33, 0
	s_mov_b32 s50, s24
	s_mov_b32 s51, s25
	;; [unrolled: 1-line block ×3, first 2 shown]
	s_cselect_b32 s53, 1, 2
	s_cselect_b32 s54, 2, 1
	s_mov_b64 s[4:5], 0
	v_mov_b32_e32 v25, s19
	v_mov_b32_e32 v26, s6
	;; [unrolled: 1-line block ×3, first 2 shown]
	s_branch .LBB89_15
.LBB89_14:                              ;   in Loop: Header=BB89_15 Depth=1
	s_or_b64 exec, exec, s[6:7]
	v_add_co_u32_e32 v8, vcc, 16, v8
	v_addc_co_u32_e32 v9, vcc, 0, v9, vcc
	v_cmp_ge_i64_e32 vcc, v[8:9], v[6:7]
	s_or_b64 s[4:5], vcc, s[4:5]
	s_andn2_b64 exec, exec, s[4:5]
	s_cbranch_execz .LBB89_66
.LBB89_15:                              ; =>This Loop Header: Depth=1
                                        ;     Child Loop BB89_18 Depth 2
                                        ;       Child Loop BB89_20 Depth 3
                                        ;       Child Loop BB89_32 Depth 3
                                        ;       Child Loop BB89_44 Depth 3
                                        ;       Child Loop BB89_56 Depth 3
	v_lshlrev_b64 v[0:1], 3, v[8:9]
	v_add_co_u32_e32 v0, vcc, s18, v0
	v_addc_co_u32_e32 v1, vcc, v25, v1, vcc
	global_load_dwordx2 v[0:1], v[0:1], off
	s_waitcnt vmcnt(0)
	v_subrev_co_u32_e32 v0, vcc, s50, v0
	v_subb_co_u32_e32 v1, vcc, v1, v26, vcc
	v_lshlrev_b64 v[0:1], 3, v[0:1]
	v_add_co_u32_e32 v0, vcc, s22, v0
	v_addc_co_u32_e32 v1, vcc, v27, v1, vcc
	global_load_dwordx4 v[0:3], v[0:1], off
	s_waitcnt vmcnt(0)
	v_cmp_lt_i64_e32 vcc, v[0:1], v[2:3]
	s_and_saveexec_b64 s[6:7], vcc
	s_cbranch_execz .LBB89_14
; %bb.16:                               ;   in Loop: Header=BB89_15 Depth=1
	v_lshlrev_b64 v[10:11], 2, v[8:9]
	v_lshlrev_b64 v[16:17], 4, v[8:9]
	v_or_b32_e32 v15, 0, v11
	v_or_b32_e32 v14, s53, v10
	;; [unrolled: 1-line block ×4, first 2 shown]
	v_mov_b32_e32 v12, s21
	v_add_co_u32_e32 v16, vcc, s20, v16
	v_addc_co_u32_e32 v17, vcc, v12, v17, vcc
	v_lshlrev_b64 v[10:11], 2, v[10:11]
	v_add_co_u32_e32 v10, vcc, s20, v10
	v_addc_co_u32_e32 v11, vcc, v12, v11, vcc
	v_lshlrev_b64 v[14:15], 2, v[14:15]
	v_add_co_u32_e32 v14, vcc, s20, v14
	v_addc_co_u32_e32 v15, vcc, v12, v15, vcc
	global_load_dword v12, v[16:17], off offset:12
	global_load_dword v29, v[10:11], off
	global_load_dword v31, v[14:15], off
	;; [unrolled: 1-line block ×3, first 2 shown]
	v_mov_b32_e32 v10, s52
	v_subrev_co_u32_e32 v2, vcc, s51, v2
	v_subb_co_u32_e32 v3, vcc, v3, v10, vcc
	v_subrev_co_u32_e32 v0, vcc, s51, v0
	v_subb_co_u32_e32 v1, vcc, v1, v10, vcc
	s_mov_b64 s[16:17], 0
	s_waitcnt vmcnt(3)
	v_mul_f32_e32 v28, v13, v12
	s_waitcnt vmcnt(2)
	v_mul_f32_e32 v29, v13, v29
	;; [unrolled: 2-line block ×4, first 2 shown]
	s_branch .LBB89_18
.LBB89_17:                              ;   in Loop: Header=BB89_18 Depth=2
	s_or_b64 exec, exec, s[24:25]
	v_add_co_u32_e32 v0, vcc, 1, v0
	v_addc_co_u32_e32 v1, vcc, 0, v1, vcc
	v_cmp_ge_i64_e32 vcc, v[0:1], v[2:3]
	s_or_b64 s[16:17], vcc, s[16:17]
	s_andn2_b64 exec, exec, s[16:17]
	s_cbranch_execz .LBB89_14
.LBB89_18:                              ;   Parent Loop BB89_15 Depth=1
                                        ; =>  This Loop Header: Depth=2
                                        ;       Child Loop BB89_20 Depth 3
                                        ;       Child Loop BB89_32 Depth 3
	;; [unrolled: 1-line block ×4, first 2 shown]
	v_lshlrev_b64 v[10:11], 3, v[0:1]
	v_mov_b32_e32 v12, s41
	v_add_co_u32_e32 v10, vcc, s40, v10
	v_addc_co_u32_e32 v11, vcc, v12, v11, vcc
	v_lshlrev_b64 v[14:15], 2, v[0:1]
	v_lshlrev_b64 v[32:33], 4, v[0:1]
	v_or_b32_e32 v17, 0, v15
	v_or_b32_e32 v16, s53, v14
	;; [unrolled: 1-line block ×4, first 2 shown]
	v_mov_b32_e32 v12, s43
	v_add_co_u32_e32 v36, vcc, s42, v32
	v_addc_co_u32_e32 v37, vcc, v12, v33, vcc
	v_lshlrev_b64 v[14:15], 2, v[14:15]
	global_load_dwordx2 v[10:11], v[10:11], off
	v_add_co_u32_e32 v14, vcc, s42, v14
	v_lshlrev_b64 v[16:17], 2, v[16:17]
	v_addc_co_u32_e32 v15, vcc, v12, v15, vcc
	global_load_dword v34, v[36:37], off
	global_load_dword v35, v[14:15], off
	v_add_co_u32_e32 v14, vcc, s42, v16
	v_addc_co_u32_e32 v15, vcc, v12, v17, vcc
	global_load_dword v32, v[14:15], off
	global_load_dword v33, v[36:37], off offset:12
	v_mov_b32_e32 v12, s52
	s_mov_b64 s[24:25], 0
	s_waitcnt vmcnt(4)
	v_subrev_co_u32_e32 v10, vcc, s51, v10
	v_subb_co_u32_e32 v11, vcc, v11, v12, vcc
	v_lshl_add_u32 v12, v10, 3, v10
	v_and_b32_e32 v12, 31, v12
	v_pk_mov_b32 v[14:15], v[12:13], v[12:13] op_sel:[0,1]
	s_waitcnt vmcnt(2)
	v_mul_f32_e32 v36, v31, v35
	v_fmac_f32_e32 v36, v30, v34
	s_branch .LBB89_20
.LBB89_19:                              ;   in Loop: Header=BB89_20 Depth=3
	s_or_b64 exec, exec, s[34:35]
	s_xor_b64 s[34:35], s[36:37], -1
	s_and_b64 s[34:35], exec, s[34:35]
	s_or_b64 s[24:25], s[34:35], s[24:25]
	s_andn2_b64 exec, exec, s[24:25]
	s_cbranch_execz .LBB89_30
.LBB89_20:                              ;   Parent Loop BB89_15 Depth=1
                                        ;     Parent Loop BB89_18 Depth=2
                                        ; =>    This Inner Loop Header: Depth=3
	v_lshl_add_u32 v15, v14, 3, v20
	ds_read_b64 v[16:17], v15
                                        ; implicit-def: $sgpr36_sgpr37
	s_waitcnt lgkmcnt(0)
	v_cmp_ne_u64_e32 vcc, v[16:17], v[10:11]
	s_and_saveexec_b64 s[34:35], vcc
	s_xor_b64 s[34:35], exec, s[34:35]
	s_cbranch_execz .LBB89_28
; %bb.21:                               ;   in Loop: Header=BB89_20 Depth=3
	v_cmp_ne_u64_e32 vcc, s[38:39], v[16:17]
                                        ; implicit-def: $sgpr36_sgpr37
	s_and_saveexec_b64 s[44:45], vcc
	s_xor_b64 s[44:45], exec, s[44:45]
; %bb.22:                               ;   in Loop: Header=BB89_20 Depth=3
	v_add_u32_e32 v14, 1, v14
	v_and_b32_e32 v14, 31, v14
	s_mov_b64 s[36:37], -1
                                        ; implicit-def: $vgpr15
; %bb.23:                               ;   in Loop: Header=BB89_20 Depth=3
	s_andn2_saveexec_b64 s[44:45], s[44:45]
	s_cbranch_execz .LBB89_27
; %bb.24:                               ;   in Loop: Header=BB89_20 Depth=3
	v_pk_mov_b32 v[16:17], s[38:39], s[38:39] op_sel:[0,1]
	ds_cmpst_rtn_b64 v[16:17], v15, v[16:17], v[10:11]
	s_mov_b64 s[46:47], -1
	s_waitcnt lgkmcnt(0)
	v_cmp_eq_u64_e32 vcc, s[38:39], v[16:17]
	s_and_saveexec_b64 s[48:49], vcc
	s_cbranch_execz .LBB89_26
; %bb.25:                               ;   in Loop: Header=BB89_20 Depth=3
	v_lshl_add_u32 v15, v14, 4, v24
	ds_add_f32 v15, v36
	s_xor_b64 s[46:47], exec, -1
.LBB89_26:                              ;   in Loop: Header=BB89_20 Depth=3
	s_or_b64 exec, exec, s[48:49]
	s_andn2_b64 s[36:37], s[36:37], exec
	s_and_b64 s[46:47], s[46:47], exec
	s_or_b64 s[36:37], s[36:37], s[46:47]
.LBB89_27:                              ;   in Loop: Header=BB89_20 Depth=3
	s_or_b64 exec, exec, s[44:45]
	s_and_b64 s[36:37], s[36:37], exec
.LBB89_28:                              ;   in Loop: Header=BB89_20 Depth=3
	s_andn2_saveexec_b64 s[34:35], s[34:35]
	s_cbranch_execz .LBB89_19
; %bb.29:                               ;   in Loop: Header=BB89_20 Depth=3
	v_lshl_add_u32 v15, v14, 4, v24
	ds_add_f32 v15, v36
	s_andn2_b64 s[36:37], s[36:37], exec
	s_branch .LBB89_19
.LBB89_30:                              ;   in Loop: Header=BB89_18 Depth=2
	s_or_b64 exec, exec, s[24:25]
	s_waitcnt vmcnt(0)
	v_mul_f32_e32 v36, v31, v33
	v_fmac_f32_e32 v36, v30, v32
	s_mov_b64 s[24:25], 0
	v_pk_mov_b32 v[14:15], v[12:13], v[12:13] op_sel:[0,1]
	s_branch .LBB89_32
.LBB89_31:                              ;   in Loop: Header=BB89_32 Depth=3
	s_or_b64 exec, exec, s[34:35]
	s_xor_b64 s[34:35], s[36:37], -1
	s_and_b64 s[34:35], exec, s[34:35]
	s_or_b64 s[24:25], s[34:35], s[24:25]
	s_andn2_b64 exec, exec, s[24:25]
	s_cbranch_execz .LBB89_42
.LBB89_32:                              ;   Parent Loop BB89_15 Depth=1
                                        ;     Parent Loop BB89_18 Depth=2
                                        ; =>    This Inner Loop Header: Depth=3
	v_lshl_add_u32 v15, v14, 3, v20
	ds_read_b64 v[16:17], v15
                                        ; implicit-def: $sgpr36_sgpr37
	s_waitcnt lgkmcnt(0)
	v_cmp_ne_u64_e32 vcc, v[16:17], v[10:11]
	s_and_saveexec_b64 s[34:35], vcc
	s_xor_b64 s[34:35], exec, s[34:35]
	s_cbranch_execz .LBB89_40
; %bb.33:                               ;   in Loop: Header=BB89_32 Depth=3
	v_cmp_ne_u64_e32 vcc, s[38:39], v[16:17]
                                        ; implicit-def: $sgpr36_sgpr37
	s_and_saveexec_b64 s[44:45], vcc
	s_xor_b64 s[44:45], exec, s[44:45]
; %bb.34:                               ;   in Loop: Header=BB89_32 Depth=3
	v_add_u32_e32 v14, 1, v14
	v_and_b32_e32 v14, 31, v14
	s_mov_b64 s[36:37], -1
                                        ; implicit-def: $vgpr15
; %bb.35:                               ;   in Loop: Header=BB89_32 Depth=3
	s_andn2_saveexec_b64 s[44:45], s[44:45]
	s_cbranch_execz .LBB89_39
; %bb.36:                               ;   in Loop: Header=BB89_32 Depth=3
	v_pk_mov_b32 v[16:17], s[38:39], s[38:39] op_sel:[0,1]
	ds_cmpst_rtn_b64 v[16:17], v15, v[16:17], v[10:11]
	s_mov_b64 s[46:47], -1
	s_waitcnt lgkmcnt(0)
	v_cmp_eq_u64_e32 vcc, s[38:39], v[16:17]
	s_and_saveexec_b64 s[48:49], vcc
	s_cbranch_execz .LBB89_38
; %bb.37:                               ;   in Loop: Header=BB89_32 Depth=3
	v_lshl_add_u32 v15, v14, 4, v24
	ds_add_f32 v15, v36 offset:4
	s_xor_b64 s[46:47], exec, -1
.LBB89_38:                              ;   in Loop: Header=BB89_32 Depth=3
	s_or_b64 exec, exec, s[48:49]
	s_andn2_b64 s[36:37], s[36:37], exec
	s_and_b64 s[46:47], s[46:47], exec
	s_or_b64 s[36:37], s[36:37], s[46:47]
.LBB89_39:                              ;   in Loop: Header=BB89_32 Depth=3
	s_or_b64 exec, exec, s[44:45]
	s_and_b64 s[36:37], s[36:37], exec
.LBB89_40:                              ;   in Loop: Header=BB89_32 Depth=3
	s_andn2_saveexec_b64 s[34:35], s[34:35]
	s_cbranch_execz .LBB89_31
; %bb.41:                               ;   in Loop: Header=BB89_32 Depth=3
	v_lshl_add_u32 v15, v14, 4, v24
	ds_add_f32 v15, v36 offset:4
	s_andn2_b64 s[36:37], s[36:37], exec
	s_branch .LBB89_31
.LBB89_42:                              ;   in Loop: Header=BB89_18 Depth=2
	s_or_b64 exec, exec, s[24:25]
	v_mul_f32_e32 v35, v28, v35
	v_fmac_f32_e32 v35, v29, v34
	s_mov_b64 s[24:25], 0
	v_pk_mov_b32 v[14:15], v[12:13], v[12:13] op_sel:[0,1]
	s_branch .LBB89_44
.LBB89_43:                              ;   in Loop: Header=BB89_44 Depth=3
	s_or_b64 exec, exec, s[34:35]
	s_xor_b64 s[34:35], s[36:37], -1
	s_and_b64 s[34:35], exec, s[34:35]
	s_or_b64 s[24:25], s[34:35], s[24:25]
	s_andn2_b64 exec, exec, s[24:25]
	s_cbranch_execz .LBB89_54
.LBB89_44:                              ;   Parent Loop BB89_15 Depth=1
                                        ;     Parent Loop BB89_18 Depth=2
                                        ; =>    This Inner Loop Header: Depth=3
	v_lshl_add_u32 v15, v14, 3, v20
	ds_read_b64 v[16:17], v15
                                        ; implicit-def: $sgpr36_sgpr37
	s_waitcnt lgkmcnt(0)
	v_cmp_ne_u64_e32 vcc, v[16:17], v[10:11]
	s_and_saveexec_b64 s[34:35], vcc
	s_xor_b64 s[34:35], exec, s[34:35]
	s_cbranch_execz .LBB89_52
; %bb.45:                               ;   in Loop: Header=BB89_44 Depth=3
	v_cmp_ne_u64_e32 vcc, s[38:39], v[16:17]
                                        ; implicit-def: $sgpr36_sgpr37
	s_and_saveexec_b64 s[44:45], vcc
	s_xor_b64 s[44:45], exec, s[44:45]
; %bb.46:                               ;   in Loop: Header=BB89_44 Depth=3
	v_add_u32_e32 v14, 1, v14
	v_and_b32_e32 v14, 31, v14
	s_mov_b64 s[36:37], -1
                                        ; implicit-def: $vgpr15
; %bb.47:                               ;   in Loop: Header=BB89_44 Depth=3
	s_andn2_saveexec_b64 s[44:45], s[44:45]
	s_cbranch_execz .LBB89_51
; %bb.48:                               ;   in Loop: Header=BB89_44 Depth=3
	v_pk_mov_b32 v[16:17], s[38:39], s[38:39] op_sel:[0,1]
	ds_cmpst_rtn_b64 v[16:17], v15, v[16:17], v[10:11]
	s_mov_b64 s[46:47], -1
	s_waitcnt lgkmcnt(0)
	v_cmp_eq_u64_e32 vcc, s[38:39], v[16:17]
	s_and_saveexec_b64 s[48:49], vcc
	s_cbranch_execz .LBB89_50
; %bb.49:                               ;   in Loop: Header=BB89_44 Depth=3
	v_lshl_add_u32 v15, v14, 4, v24
	ds_add_f32 v15, v35 offset:8
	s_xor_b64 s[46:47], exec, -1
.LBB89_50:                              ;   in Loop: Header=BB89_44 Depth=3
	s_or_b64 exec, exec, s[48:49]
	s_andn2_b64 s[36:37], s[36:37], exec
	s_and_b64 s[46:47], s[46:47], exec
	s_or_b64 s[36:37], s[36:37], s[46:47]
.LBB89_51:                              ;   in Loop: Header=BB89_44 Depth=3
	s_or_b64 exec, exec, s[44:45]
	s_and_b64 s[36:37], s[36:37], exec
.LBB89_52:                              ;   in Loop: Header=BB89_44 Depth=3
	s_andn2_saveexec_b64 s[34:35], s[34:35]
	s_cbranch_execz .LBB89_43
; %bb.53:                               ;   in Loop: Header=BB89_44 Depth=3
	v_lshl_add_u32 v15, v14, 4, v24
	ds_add_f32 v15, v35 offset:8
	s_andn2_b64 s[36:37], s[36:37], exec
	s_branch .LBB89_43
.LBB89_54:                              ;   in Loop: Header=BB89_18 Depth=2
	s_or_b64 exec, exec, s[24:25]
	v_mul_f32_e32 v16, v28, v33
	v_fmac_f32_e32 v16, v29, v32
	s_mov_b64 s[24:25], 0
	s_branch .LBB89_56
.LBB89_55:                              ;   in Loop: Header=BB89_56 Depth=3
	s_or_b64 exec, exec, s[34:35]
	s_xor_b64 s[34:35], s[36:37], -1
	s_and_b64 s[34:35], exec, s[34:35]
	s_or_b64 s[24:25], s[34:35], s[24:25]
	s_andn2_b64 exec, exec, s[24:25]
	s_cbranch_execz .LBB89_17
.LBB89_56:                              ;   Parent Loop BB89_15 Depth=1
                                        ;     Parent Loop BB89_18 Depth=2
                                        ; =>    This Inner Loop Header: Depth=3
	v_lshl_add_u32 v17, v12, 3, v20
	ds_read_b64 v[14:15], v17
                                        ; implicit-def: $sgpr36_sgpr37
	s_waitcnt lgkmcnt(0)
	v_cmp_ne_u64_e32 vcc, v[14:15], v[10:11]
	s_and_saveexec_b64 s[34:35], vcc
	s_xor_b64 s[34:35], exec, s[34:35]
	s_cbranch_execz .LBB89_64
; %bb.57:                               ;   in Loop: Header=BB89_56 Depth=3
	v_cmp_ne_u64_e32 vcc, s[38:39], v[14:15]
                                        ; implicit-def: $sgpr36_sgpr37
	s_and_saveexec_b64 s[44:45], vcc
	s_xor_b64 s[44:45], exec, s[44:45]
; %bb.58:                               ;   in Loop: Header=BB89_56 Depth=3
	v_add_u32_e32 v12, 1, v12
	v_and_b32_e32 v12, 31, v12
	s_mov_b64 s[36:37], -1
                                        ; implicit-def: $vgpr17
; %bb.59:                               ;   in Loop: Header=BB89_56 Depth=3
	s_andn2_saveexec_b64 s[44:45], s[44:45]
	s_cbranch_execz .LBB89_63
; %bb.60:                               ;   in Loop: Header=BB89_56 Depth=3
	v_pk_mov_b32 v[14:15], s[38:39], s[38:39] op_sel:[0,1]
	ds_cmpst_rtn_b64 v[14:15], v17, v[14:15], v[10:11]
	s_mov_b64 s[46:47], -1
	s_waitcnt lgkmcnt(0)
	v_cmp_eq_u64_e32 vcc, s[38:39], v[14:15]
	s_and_saveexec_b64 s[48:49], vcc
	s_cbranch_execz .LBB89_62
; %bb.61:                               ;   in Loop: Header=BB89_56 Depth=3
	v_lshl_add_u32 v14, v12, 4, v24
	ds_add_f32 v14, v16 offset:12
	s_xor_b64 s[46:47], exec, -1
.LBB89_62:                              ;   in Loop: Header=BB89_56 Depth=3
	s_or_b64 exec, exec, s[48:49]
	s_andn2_b64 s[36:37], s[36:37], exec
	s_and_b64 s[46:47], s[46:47], exec
	s_or_b64 s[36:37], s[36:37], s[46:47]
.LBB89_63:                              ;   in Loop: Header=BB89_56 Depth=3
	s_or_b64 exec, exec, s[44:45]
	s_and_b64 s[36:37], s[36:37], exec
.LBB89_64:                              ;   in Loop: Header=BB89_56 Depth=3
	s_andn2_saveexec_b64 s[34:35], s[34:35]
	s_cbranch_execz .LBB89_55
; %bb.65:                               ;   in Loop: Header=BB89_56 Depth=3
	v_lshl_add_u32 v14, v12, 4, v24
	ds_add_f32 v14, v16 offset:12
	s_andn2_b64 s[36:37], s[36:37], exec
	s_branch .LBB89_55
.LBB89_66:
	s_or_b64 exec, exec, s[2:3]
.LBB89_67:
	s_andn2_b64 vcc, exec, s[0:1]
	s_waitcnt lgkmcnt(0)
	s_cbranch_vccnz .LBB89_120
; %bb.68:
	v_mov_b32_e32 v1, s9
	v_add_co_u32_e32 v0, vcc, s8, v4
	v_addc_co_u32_e32 v1, vcc, v1, v5, vcc
	global_load_dwordx4 v[6:9], v[0:1], off
	v_subrev_co_u32_e32 v2, vcc, s27, v23
	v_subb_co_u32_e64 v3, s[0:1], 0, 0, vcc
	s_mov_b32 s4, 0
	s_waitcnt vmcnt(0)
	v_subrev_co_u32_e32 v0, vcc, s27, v8
	v_subbrev_co_u32_e32 v1, vcc, 0, v9, vcc
	v_add_co_u32_e32 v2, vcc, v6, v2
	v_addc_co_u32_e32 v3, vcc, v7, v3, vcc
	v_cmp_lt_i64_e32 vcc, v[2:3], v[0:1]
	s_and_saveexec_b64 s[0:1], vcc
	s_cbranch_execz .LBB89_119
; %bb.69:
	s_cmp_eq_u32 s33, 0
	s_mov_b32 s22, s27
	s_cselect_b32 s23, 1, 2
	s_cselect_b32 s24, 2, 1
	s_mov_b64 s[2:3], 0
	v_mov_b32_e32 v9, s13
	v_mov_b32_e32 v14, s11
	;; [unrolled: 1-line block ×3, first 2 shown]
	s_branch .LBB89_71
.LBB89_70:                              ;   in Loop: Header=BB89_71 Depth=1
	s_or_b64 exec, exec, s[4:5]
	v_add_co_u32_e32 v2, vcc, 16, v2
	v_addc_co_u32_e32 v3, vcc, 0, v3, vcc
	v_cmp_ge_i64_e32 vcc, v[2:3], v[0:1]
	s_or_b64 s[2:3], vcc, s[2:3]
	s_andn2_b64 exec, exec, s[2:3]
	s_cbranch_execz .LBB89_119
.LBB89_71:                              ; =>This Loop Header: Depth=1
                                        ;     Child Loop BB89_73 Depth 2
                                        ;     Child Loop BB89_85 Depth 2
                                        ;     Child Loop BB89_97 Depth 2
                                        ;     Child Loop BB89_109 Depth 2
	v_lshlrev_b64 v[6:7], 2, v[2:3]
	v_lshlrev_b64 v[12:13], 4, v[2:3]
	v_or_b32_e32 v11, 0, v7
	v_or_b32_e32 v10, s23, v6
	v_add_co_u32_e32 v12, vcc, s12, v12
	v_addc_co_u32_e32 v13, vcc, v9, v13, vcc
	v_lshlrev_b64 v[10:11], 2, v[10:11]
	v_add_co_u32_e32 v10, vcc, s12, v10
	v_addc_co_u32_e32 v11, vcc, v9, v11, vcc
	v_lshlrev_b64 v[16:17], 3, v[2:3]
	v_add_co_u32_e32 v16, vcc, s10, v16
	v_or_b32_e32 v7, 0, v7
	v_or_b32_e32 v6, s24, v6
	v_addc_co_u32_e32 v17, vcc, v14, v17, vcc
	v_lshlrev_b64 v[6:7], 2, v[6:7]
	global_load_dwordx2 v[28:29], v[16:17], off
	global_load_dword v8, v[12:13], off
	v_add_co_u32_e32 v6, vcc, s12, v6
	v_addc_co_u32_e32 v7, vcc, v9, v7, vcc
	global_load_dword v17, v[6:7], off
	global_load_dword v25, v[10:11], off
	global_load_dword v16, v[12:13], off offset:12
	s_mov_b64 s[4:5], 0
	s_waitcnt vmcnt(4)
	v_subrev_co_u32_e32 v6, vcc, s22, v28
	s_waitcnt vmcnt(3)
	v_mul_f32_e32 v26, v22, v8
	v_lshl_add_u32 v8, v6, 3, v6
	v_and_b32_e32 v8, 31, v8
	v_subb_co_u32_e32 v7, vcc, v29, v15, vcc
	v_pk_mov_b32 v[10:11], v[8:9], v[8:9] op_sel:[0,1]
	s_branch .LBB89_73
.LBB89_72:                              ;   in Loop: Header=BB89_73 Depth=2
	s_or_b64 exec, exec, s[6:7]
	s_xor_b64 s[6:7], s[8:9], -1
	s_and_b64 s[6:7], exec, s[6:7]
	s_or_b64 s[4:5], s[6:7], s[4:5]
	s_andn2_b64 exec, exec, s[4:5]
	s_cbranch_execz .LBB89_83
.LBB89_73:                              ;   Parent Loop BB89_71 Depth=1
                                        ; =>  This Inner Loop Header: Depth=2
	v_lshl_add_u32 v11, v10, 3, v20
	ds_read_b64 v[12:13], v11
                                        ; implicit-def: $sgpr8_sgpr9
	s_waitcnt lgkmcnt(0)
	v_cmp_ne_u64_e32 vcc, v[12:13], v[6:7]
	s_and_saveexec_b64 s[6:7], vcc
	s_xor_b64 s[6:7], exec, s[6:7]
	s_cbranch_execz .LBB89_81
; %bb.74:                               ;   in Loop: Header=BB89_73 Depth=2
	v_cmp_ne_u64_e32 vcc, s[38:39], v[12:13]
                                        ; implicit-def: $sgpr8_sgpr9
	s_and_saveexec_b64 s[16:17], vcc
	s_xor_b64 s[16:17], exec, s[16:17]
; %bb.75:                               ;   in Loop: Header=BB89_73 Depth=2
	v_add_u32_e32 v10, 1, v10
	v_and_b32_e32 v10, 31, v10
	s_mov_b64 s[8:9], -1
                                        ; implicit-def: $vgpr11
; %bb.76:                               ;   in Loop: Header=BB89_73 Depth=2
	s_andn2_saveexec_b64 s[16:17], s[16:17]
	s_cbranch_execz .LBB89_80
; %bb.77:                               ;   in Loop: Header=BB89_73 Depth=2
	v_pk_mov_b32 v[12:13], s[38:39], s[38:39] op_sel:[0,1]
	ds_cmpst_rtn_b64 v[12:13], v11, v[12:13], v[6:7]
	s_mov_b64 s[18:19], -1
	s_waitcnt lgkmcnt(0)
	v_cmp_eq_u64_e32 vcc, s[38:39], v[12:13]
	s_and_saveexec_b64 s[20:21], vcc
	s_cbranch_execz .LBB89_79
; %bb.78:                               ;   in Loop: Header=BB89_73 Depth=2
	v_lshl_add_u32 v11, v10, 4, v24
	ds_add_f32 v11, v26
	s_xor_b64 s[18:19], exec, -1
.LBB89_79:                              ;   in Loop: Header=BB89_73 Depth=2
	s_or_b64 exec, exec, s[20:21]
	s_andn2_b64 s[8:9], s[8:9], exec
	s_and_b64 s[18:19], s[18:19], exec
	s_or_b64 s[8:9], s[8:9], s[18:19]
.LBB89_80:                              ;   in Loop: Header=BB89_73 Depth=2
	s_or_b64 exec, exec, s[16:17]
	s_and_b64 s[8:9], s[8:9], exec
.LBB89_81:                              ;   in Loop: Header=BB89_73 Depth=2
	s_andn2_saveexec_b64 s[6:7], s[6:7]
	s_cbranch_execz .LBB89_72
; %bb.82:                               ;   in Loop: Header=BB89_73 Depth=2
	v_lshl_add_u32 v11, v10, 4, v24
	ds_add_f32 v11, v26
	s_andn2_b64 s[8:9], s[8:9], exec
	s_branch .LBB89_72
.LBB89_83:                              ;   in Loop: Header=BB89_71 Depth=1
	s_or_b64 exec, exec, s[4:5]
	s_waitcnt vmcnt(1)
	v_mul_f32_e32 v25, v22, v25
	s_mov_b64 s[4:5], 0
	v_pk_mov_b32 v[10:11], v[8:9], v[8:9] op_sel:[0,1]
	s_branch .LBB89_85
.LBB89_84:                              ;   in Loop: Header=BB89_85 Depth=2
	s_or_b64 exec, exec, s[6:7]
	s_xor_b64 s[6:7], s[8:9], -1
	s_and_b64 s[6:7], exec, s[6:7]
	s_or_b64 s[4:5], s[6:7], s[4:5]
	s_andn2_b64 exec, exec, s[4:5]
	s_cbranch_execz .LBB89_95
.LBB89_85:                              ;   Parent Loop BB89_71 Depth=1
                                        ; =>  This Inner Loop Header: Depth=2
	v_lshl_add_u32 v11, v10, 3, v20
	ds_read_b64 v[12:13], v11
                                        ; implicit-def: $sgpr8_sgpr9
	s_waitcnt lgkmcnt(0)
	v_cmp_ne_u64_e32 vcc, v[12:13], v[6:7]
	s_and_saveexec_b64 s[6:7], vcc
	s_xor_b64 s[6:7], exec, s[6:7]
	s_cbranch_execz .LBB89_93
; %bb.86:                               ;   in Loop: Header=BB89_85 Depth=2
	v_cmp_ne_u64_e32 vcc, s[38:39], v[12:13]
                                        ; implicit-def: $sgpr8_sgpr9
	s_and_saveexec_b64 s[16:17], vcc
	s_xor_b64 s[16:17], exec, s[16:17]
; %bb.87:                               ;   in Loop: Header=BB89_85 Depth=2
	v_add_u32_e32 v10, 1, v10
	v_and_b32_e32 v10, 31, v10
	s_mov_b64 s[8:9], -1
                                        ; implicit-def: $vgpr11
; %bb.88:                               ;   in Loop: Header=BB89_85 Depth=2
	s_andn2_saveexec_b64 s[16:17], s[16:17]
	s_cbranch_execz .LBB89_92
; %bb.89:                               ;   in Loop: Header=BB89_85 Depth=2
	v_pk_mov_b32 v[12:13], s[38:39], s[38:39] op_sel:[0,1]
	ds_cmpst_rtn_b64 v[12:13], v11, v[12:13], v[6:7]
	s_mov_b64 s[18:19], -1
	s_waitcnt lgkmcnt(0)
	v_cmp_eq_u64_e32 vcc, s[38:39], v[12:13]
	s_and_saveexec_b64 s[20:21], vcc
	s_cbranch_execz .LBB89_91
; %bb.90:                               ;   in Loop: Header=BB89_85 Depth=2
	v_lshl_add_u32 v11, v10, 4, v24
	ds_add_f32 v11, v25 offset:4
	s_xor_b64 s[18:19], exec, -1
.LBB89_91:                              ;   in Loop: Header=BB89_85 Depth=2
	s_or_b64 exec, exec, s[20:21]
	s_andn2_b64 s[8:9], s[8:9], exec
	s_and_b64 s[18:19], s[18:19], exec
	s_or_b64 s[8:9], s[8:9], s[18:19]
.LBB89_92:                              ;   in Loop: Header=BB89_85 Depth=2
	s_or_b64 exec, exec, s[16:17]
	s_and_b64 s[8:9], s[8:9], exec
.LBB89_93:                              ;   in Loop: Header=BB89_85 Depth=2
	s_andn2_saveexec_b64 s[6:7], s[6:7]
	s_cbranch_execz .LBB89_84
; %bb.94:                               ;   in Loop: Header=BB89_85 Depth=2
	v_lshl_add_u32 v11, v10, 4, v24
	ds_add_f32 v11, v25 offset:4
	s_andn2_b64 s[8:9], s[8:9], exec
	s_branch .LBB89_84
.LBB89_95:                              ;   in Loop: Header=BB89_71 Depth=1
	s_or_b64 exec, exec, s[4:5]
	v_mul_f32_e32 v17, v22, v17
	s_mov_b64 s[4:5], 0
	v_pk_mov_b32 v[10:11], v[8:9], v[8:9] op_sel:[0,1]
	s_branch .LBB89_97
.LBB89_96:                              ;   in Loop: Header=BB89_97 Depth=2
	s_or_b64 exec, exec, s[6:7]
	s_xor_b64 s[6:7], s[8:9], -1
	s_and_b64 s[6:7], exec, s[6:7]
	s_or_b64 s[4:5], s[6:7], s[4:5]
	s_andn2_b64 exec, exec, s[4:5]
	s_cbranch_execz .LBB89_107
.LBB89_97:                              ;   Parent Loop BB89_71 Depth=1
                                        ; =>  This Inner Loop Header: Depth=2
	v_lshl_add_u32 v11, v10, 3, v20
	ds_read_b64 v[12:13], v11
                                        ; implicit-def: $sgpr8_sgpr9
	s_waitcnt lgkmcnt(0)
	v_cmp_ne_u64_e32 vcc, v[12:13], v[6:7]
	s_and_saveexec_b64 s[6:7], vcc
	s_xor_b64 s[6:7], exec, s[6:7]
	s_cbranch_execz .LBB89_105
; %bb.98:                               ;   in Loop: Header=BB89_97 Depth=2
	v_cmp_ne_u64_e32 vcc, s[38:39], v[12:13]
                                        ; implicit-def: $sgpr8_sgpr9
	s_and_saveexec_b64 s[16:17], vcc
	s_xor_b64 s[16:17], exec, s[16:17]
; %bb.99:                               ;   in Loop: Header=BB89_97 Depth=2
	v_add_u32_e32 v10, 1, v10
	v_and_b32_e32 v10, 31, v10
	s_mov_b64 s[8:9], -1
                                        ; implicit-def: $vgpr11
; %bb.100:                              ;   in Loop: Header=BB89_97 Depth=2
	s_andn2_saveexec_b64 s[16:17], s[16:17]
	s_cbranch_execz .LBB89_104
; %bb.101:                              ;   in Loop: Header=BB89_97 Depth=2
	v_pk_mov_b32 v[12:13], s[38:39], s[38:39] op_sel:[0,1]
	ds_cmpst_rtn_b64 v[12:13], v11, v[12:13], v[6:7]
	s_mov_b64 s[18:19], -1
	s_waitcnt lgkmcnt(0)
	v_cmp_eq_u64_e32 vcc, s[38:39], v[12:13]
	s_and_saveexec_b64 s[20:21], vcc
	s_cbranch_execz .LBB89_103
; %bb.102:                              ;   in Loop: Header=BB89_97 Depth=2
	v_lshl_add_u32 v11, v10, 4, v24
	ds_add_f32 v11, v17 offset:8
	s_xor_b64 s[18:19], exec, -1
.LBB89_103:                             ;   in Loop: Header=BB89_97 Depth=2
	s_or_b64 exec, exec, s[20:21]
	s_andn2_b64 s[8:9], s[8:9], exec
	s_and_b64 s[18:19], s[18:19], exec
	s_or_b64 s[8:9], s[8:9], s[18:19]
.LBB89_104:                             ;   in Loop: Header=BB89_97 Depth=2
	s_or_b64 exec, exec, s[16:17]
	s_and_b64 s[8:9], s[8:9], exec
.LBB89_105:                             ;   in Loop: Header=BB89_97 Depth=2
	s_andn2_saveexec_b64 s[6:7], s[6:7]
	s_cbranch_execz .LBB89_96
; %bb.106:                              ;   in Loop: Header=BB89_97 Depth=2
	v_lshl_add_u32 v11, v10, 4, v24
	ds_add_f32 v11, v17 offset:8
	s_andn2_b64 s[8:9], s[8:9], exec
	s_branch .LBB89_96
.LBB89_107:                             ;   in Loop: Header=BB89_71 Depth=1
	s_or_b64 exec, exec, s[4:5]
	s_waitcnt vmcnt(0)
	v_mul_f32_e32 v12, v22, v16
	s_mov_b64 s[4:5], 0
	s_branch .LBB89_109
.LBB89_108:                             ;   in Loop: Header=BB89_109 Depth=2
	s_or_b64 exec, exec, s[6:7]
	s_xor_b64 s[6:7], s[8:9], -1
	s_and_b64 s[6:7], exec, s[6:7]
	s_or_b64 s[4:5], s[6:7], s[4:5]
	s_andn2_b64 exec, exec, s[4:5]
	s_cbranch_execz .LBB89_70
.LBB89_109:                             ;   Parent Loop BB89_71 Depth=1
                                        ; =>  This Inner Loop Header: Depth=2
	v_lshl_add_u32 v13, v8, 3, v20
	ds_read_b64 v[10:11], v13
                                        ; implicit-def: $sgpr8_sgpr9
	s_waitcnt lgkmcnt(0)
	v_cmp_ne_u64_e32 vcc, v[10:11], v[6:7]
	s_and_saveexec_b64 s[6:7], vcc
	s_xor_b64 s[6:7], exec, s[6:7]
	s_cbranch_execz .LBB89_117
; %bb.110:                              ;   in Loop: Header=BB89_109 Depth=2
	v_cmp_ne_u64_e32 vcc, s[38:39], v[10:11]
                                        ; implicit-def: $sgpr8_sgpr9
	s_and_saveexec_b64 s[16:17], vcc
	s_xor_b64 s[16:17], exec, s[16:17]
; %bb.111:                              ;   in Loop: Header=BB89_109 Depth=2
	v_add_u32_e32 v8, 1, v8
	v_and_b32_e32 v8, 31, v8
	s_mov_b64 s[8:9], -1
                                        ; implicit-def: $vgpr13
; %bb.112:                              ;   in Loop: Header=BB89_109 Depth=2
	s_andn2_saveexec_b64 s[16:17], s[16:17]
	s_cbranch_execz .LBB89_116
; %bb.113:                              ;   in Loop: Header=BB89_109 Depth=2
	v_pk_mov_b32 v[10:11], s[38:39], s[38:39] op_sel:[0,1]
	ds_cmpst_rtn_b64 v[10:11], v13, v[10:11], v[6:7]
	s_mov_b64 s[18:19], -1
	s_waitcnt lgkmcnt(0)
	v_cmp_eq_u64_e32 vcc, s[38:39], v[10:11]
	s_and_saveexec_b64 s[20:21], vcc
	s_cbranch_execz .LBB89_115
; %bb.114:                              ;   in Loop: Header=BB89_109 Depth=2
	v_lshl_add_u32 v10, v8, 4, v24
	ds_add_f32 v10, v12 offset:12
	s_xor_b64 s[18:19], exec, -1
.LBB89_115:                             ;   in Loop: Header=BB89_109 Depth=2
	s_or_b64 exec, exec, s[20:21]
	s_andn2_b64 s[8:9], s[8:9], exec
	s_and_b64 s[18:19], s[18:19], exec
	s_or_b64 s[8:9], s[8:9], s[18:19]
.LBB89_116:                             ;   in Loop: Header=BB89_109 Depth=2
	s_or_b64 exec, exec, s[16:17]
	s_and_b64 s[8:9], s[8:9], exec
.LBB89_117:                             ;   in Loop: Header=BB89_109 Depth=2
	s_andn2_saveexec_b64 s[6:7], s[6:7]
	s_cbranch_execz .LBB89_108
; %bb.118:                              ;   in Loop: Header=BB89_109 Depth=2
	v_lshl_add_u32 v10, v8, 4, v24
	ds_add_f32 v10, v12 offset:12
	s_andn2_b64 s[8:9], s[8:9], exec
	s_branch .LBB89_108
.LBB89_119:
	s_or_b64 exec, exec, s[0:1]
.LBB89_120:
	v_mov_b32_e32 v1, s15
	v_add_co_u32_e32 v0, vcc, s14, v4
	v_addc_co_u32_e32 v1, vcc, v1, v5, vcc
	s_waitcnt lgkmcnt(0)
	global_load_dwordx2 v[0:1], v[0:1], off
	s_cmp_eq_u32 s33, 0
	v_lshlrev_b32_e32 v2, 4, v23
	s_mov_b32 s4, 0
	s_cselect_b32 s5, 4, 8
	s_cselect_b32 s6, 8, 4
	v_lshl_or_b32 v2, v21, 9, v2
	s_mov_b64 s[0:1], 0
	s_waitcnt vmcnt(0)
	v_subrev_co_u32_e32 v3, vcc, s26, v0
	v_subbrev_co_u32_e32 v4, vcc, 0, v1, vcc
	s_branch .LBB89_122
.LBB89_121:                             ;   in Loop: Header=BB89_122 Depth=1
	s_or_b64 exec, exec, s[2:3]
	v_add_co_u32_e32 v18, vcc, 16, v18
	s_xor_b64 s[2:3], vcc, -1
	s_and_b64 s[2:3], exec, s[2:3]
	v_add_u32_e32 v2, 0x100, v2
	s_or_b64 s[0:1], s[2:3], s[0:1]
	v_add_u32_e32 v19, 0x80, v19
	s_andn2_b64 exec, exec, s[0:1]
	s_cbranch_execz .LBB89_124
.LBB89_122:                             ; =>This Inner Loop Header: Depth=1
	ds_read_b64 v[0:1], v19
	s_waitcnt lgkmcnt(0)
	v_cmp_gt_i64_e32 vcc, s[38:39], v[0:1]
	s_and_saveexec_b64 s[2:3], vcc
	s_cbranch_execz .LBB89_121
; %bb.123:                              ;   in Loop: Header=BB89_122 Depth=1
	ds_read_b128 v[6:9], v20
	ds_read_b128 v[10:13], v20 offset:16
	ds_read_b128 v[14:17], v20 offset:32
	;; [unrolled: 1-line block ×3, first 2 shown]
	s_waitcnt lgkmcnt(3)
	v_cmp_gt_i64_e32 vcc, v[0:1], v[6:7]
	v_cndmask_b32_e64 v5, 0, 1, vcc
	v_add_co_u32_e32 v5, vcc, v3, v5
	v_addc_co_u32_e32 v6, vcc, 0, v4, vcc
	v_cmp_gt_i64_e32 vcc, v[0:1], v[8:9]
	v_cndmask_b32_e64 v7, 0, 1, vcc
	v_add_co_u32_e32 v5, vcc, v5, v7
	v_addc_co_u32_e32 v6, vcc, 0, v6, vcc
	s_waitcnt lgkmcnt(2)
	v_cmp_gt_i64_e32 vcc, v[0:1], v[10:11]
	v_cndmask_b32_e64 v7, 0, 1, vcc
	v_add_co_u32_e32 v5, vcc, v5, v7
	v_addc_co_u32_e32 v6, vcc, 0, v6, vcc
	v_cmp_gt_i64_e32 vcc, v[0:1], v[12:13]
	v_cndmask_b32_e64 v7, 0, 1, vcc
	v_add_co_u32_e32 v5, vcc, v5, v7
	v_addc_co_u32_e32 v6, vcc, 0, v6, vcc
	;; [unrolled: 9-line block ×3, first 2 shown]
	s_waitcnt lgkmcnt(0)
	v_cmp_gt_i64_e32 vcc, v[0:1], v[22:23]
	v_cndmask_b32_e64 v7, 0, 1, vcc
	v_add_co_u32_e32 v5, vcc, v5, v7
	v_addc_co_u32_e32 v10, vcc, 0, v6, vcc
	ds_read_b128 v[6:9], v20 offset:64
	v_cmp_gt_i64_e32 vcc, v[0:1], v[24:25]
	v_cndmask_b32_e64 v11, 0, 1, vcc
	v_add_co_u32_e32 v5, vcc, v5, v11
	v_addc_co_u32_e32 v14, vcc, 0, v10, vcc
	ds_read_b128 v[10:13], v20 offset:80
	s_waitcnt lgkmcnt(1)
	v_cmp_gt_i64_e32 vcc, v[0:1], v[6:7]
	v_cndmask_b32_e64 v6, 0, 1, vcc
	v_add_co_u32_e32 v5, vcc, v5, v6
	v_addc_co_u32_e32 v6, vcc, 0, v14, vcc
	v_cmp_gt_i64_e32 vcc, v[0:1], v[8:9]
	v_cndmask_b32_e64 v7, 0, 1, vcc
	v_add_co_u32_e32 v5, vcc, v5, v7
	v_addc_co_u32_e32 v6, vcc, 0, v6, vcc
	s_waitcnt lgkmcnt(0)
	v_cmp_gt_i64_e32 vcc, v[0:1], v[10:11]
	v_cndmask_b32_e64 v7, 0, 1, vcc
	v_add_co_u32_e32 v5, vcc, v5, v7
	v_addc_co_u32_e32 v10, vcc, 0, v6, vcc
	ds_read_b128 v[6:9], v20 offset:96
	v_cmp_gt_i64_e32 vcc, v[0:1], v[12:13]
	v_cndmask_b32_e64 v11, 0, 1, vcc
	v_add_co_u32_e32 v5, vcc, v5, v11
	v_addc_co_u32_e32 v14, vcc, 0, v10, vcc
	ds_read_b128 v[10:13], v20 offset:112
	s_waitcnt lgkmcnt(1)
	v_cmp_gt_i64_e32 vcc, v[0:1], v[6:7]
	v_cndmask_b32_e64 v6, 0, 1, vcc
	v_add_co_u32_e32 v5, vcc, v5, v6
	v_addc_co_u32_e32 v6, vcc, 0, v14, vcc
	v_cmp_gt_i64_e32 vcc, v[0:1], v[8:9]
	v_cndmask_b32_e64 v7, 0, 1, vcc
	v_add_co_u32_e32 v5, vcc, v5, v7
	v_addc_co_u32_e32 v6, vcc, 0, v6, vcc
	;; [unrolled: 20-line block ×6, first 2 shown]
	s_waitcnt lgkmcnt(0)
	v_cmp_gt_i64_e32 vcc, v[0:1], v[10:11]
	v_cndmask_b32_e64 v7, 0, 1, vcc
	v_add_co_u32_e32 v5, vcc, v5, v7
	v_addc_co_u32_e32 v7, vcc, 0, v6, vcc
	v_cmp_gt_i64_e32 vcc, v[0:1], v[12:13]
	v_cndmask_b32_e64 v6, 0, 1, vcc
	v_add_co_u32_e32 v6, vcc, v5, v6
	v_addc_co_u32_e32 v7, vcc, 0, v7, vcc
	v_mov_b32_e32 v5, s4
	v_add_co_u32_e32 v0, vcc, s26, v0
	v_addc_co_u32_e32 v1, vcc, v1, v5, vcc
	v_lshlrev_b64 v[8:9], 3, v[6:7]
	v_mov_b32_e32 v5, s29
	v_add_co_u32_e32 v8, vcc, s28, v8
	v_addc_co_u32_e32 v9, vcc, v5, v9, vcc
	global_store_dwordx2 v[8:9], v[0:1], off
	v_lshlrev_b64 v[0:1], 4, v[6:7]
	v_add_u32_e32 v6, s5, v2
	v_add_u32_e32 v8, s6, v2
	ds_read_b32 v7, v6
	ds_read_b32 v8, v8
	ds_read2_b32 v[10:11], v2 offset1:3
	v_mov_b32_e32 v5, s31
	v_add_co_u32_e32 v0, vcc, s30, v0
	v_addc_co_u32_e32 v1, vcc, v5, v1, vcc
	s_waitcnt lgkmcnt(0)
	v_mov_b32_e32 v6, v10
	v_mov_b32_e32 v9, v11
	global_store_dwordx4 v[0:1], v[6:9], off
	s_branch .LBB89_121
.LBB89_124:
	s_endpgm
	.section	.rodata,"a",@progbits
	.p2align	6, 0x0
	.amdhsa_kernel _ZN9rocsparseL27bsrgemm_fill_wf_per_row_2x2ILj256ELj16ELj32ELj137EllfEEv20rocsparse_direction_T4_S2_PKS2_S4_NS_24const_host_device_scalarIT5_EEPKT3_S4_PKS6_SA_S4_SC_S7_SA_S4_SC_SA_PS2_PS6_21rocsparse_index_base_SF_SF_SF_bbb
		.amdhsa_group_segment_fixed_size 12288
		.amdhsa_private_segment_fixed_size 0
		.amdhsa_kernarg_size 172
		.amdhsa_user_sgpr_count 6
		.amdhsa_user_sgpr_private_segment_buffer 1
		.amdhsa_user_sgpr_dispatch_ptr 0
		.amdhsa_user_sgpr_queue_ptr 0
		.amdhsa_user_sgpr_kernarg_segment_ptr 1
		.amdhsa_user_sgpr_dispatch_id 0
		.amdhsa_user_sgpr_flat_scratch_init 0
		.amdhsa_user_sgpr_kernarg_preload_length 0
		.amdhsa_user_sgpr_kernarg_preload_offset 0
		.amdhsa_user_sgpr_private_segment_size 0
		.amdhsa_uses_dynamic_stack 0
		.amdhsa_system_sgpr_private_segment_wavefront_offset 0
		.amdhsa_system_sgpr_workgroup_id_x 1
		.amdhsa_system_sgpr_workgroup_id_y 0
		.amdhsa_system_sgpr_workgroup_id_z 0
		.amdhsa_system_sgpr_workgroup_info 0
		.amdhsa_system_vgpr_workitem_id 0
		.amdhsa_next_free_vgpr 38
		.amdhsa_next_free_sgpr 55
		.amdhsa_accum_offset 40
		.amdhsa_reserve_vcc 1
		.amdhsa_reserve_flat_scratch 0
		.amdhsa_float_round_mode_32 0
		.amdhsa_float_round_mode_16_64 0
		.amdhsa_float_denorm_mode_32 3
		.amdhsa_float_denorm_mode_16_64 3
		.amdhsa_dx10_clamp 1
		.amdhsa_ieee_mode 1
		.amdhsa_fp16_overflow 0
		.amdhsa_tg_split 0
		.amdhsa_exception_fp_ieee_invalid_op 0
		.amdhsa_exception_fp_denorm_src 0
		.amdhsa_exception_fp_ieee_div_zero 0
		.amdhsa_exception_fp_ieee_overflow 0
		.amdhsa_exception_fp_ieee_underflow 0
		.amdhsa_exception_fp_ieee_inexact 0
		.amdhsa_exception_int_div_zero 0
	.end_amdhsa_kernel
	.section	.text._ZN9rocsparseL27bsrgemm_fill_wf_per_row_2x2ILj256ELj16ELj32ELj137EllfEEv20rocsparse_direction_T4_S2_PKS2_S4_NS_24const_host_device_scalarIT5_EEPKT3_S4_PKS6_SA_S4_SC_S7_SA_S4_SC_SA_PS2_PS6_21rocsparse_index_base_SF_SF_SF_bbb,"axG",@progbits,_ZN9rocsparseL27bsrgemm_fill_wf_per_row_2x2ILj256ELj16ELj32ELj137EllfEEv20rocsparse_direction_T4_S2_PKS2_S4_NS_24const_host_device_scalarIT5_EEPKT3_S4_PKS6_SA_S4_SC_S7_SA_S4_SC_SA_PS2_PS6_21rocsparse_index_base_SF_SF_SF_bbb,comdat
.Lfunc_end89:
	.size	_ZN9rocsparseL27bsrgemm_fill_wf_per_row_2x2ILj256ELj16ELj32ELj137EllfEEv20rocsparse_direction_T4_S2_PKS2_S4_NS_24const_host_device_scalarIT5_EEPKT3_S4_PKS6_SA_S4_SC_S7_SA_S4_SC_SA_PS2_PS6_21rocsparse_index_base_SF_SF_SF_bbb, .Lfunc_end89-_ZN9rocsparseL27bsrgemm_fill_wf_per_row_2x2ILj256ELj16ELj32ELj137EllfEEv20rocsparse_direction_T4_S2_PKS2_S4_NS_24const_host_device_scalarIT5_EEPKT3_S4_PKS6_SA_S4_SC_S7_SA_S4_SC_SA_PS2_PS6_21rocsparse_index_base_SF_SF_SF_bbb
                                        ; -- End function
	.section	.AMDGPU.csdata,"",@progbits
; Kernel info:
; codeLenInByte = 4296
; NumSgprs: 59
; NumVgprs: 38
; NumAgprs: 0
; TotalNumVgprs: 38
; ScratchSize: 0
; MemoryBound: 0
; FloatMode: 240
; IeeeMode: 1
; LDSByteSize: 12288 bytes/workgroup (compile time only)
; SGPRBlocks: 7
; VGPRBlocks: 4
; NumSGPRsForWavesPerEU: 59
; NumVGPRsForWavesPerEU: 38
; AccumOffset: 40
; Occupancy: 5
; WaveLimiterHint : 1
; COMPUTE_PGM_RSRC2:SCRATCH_EN: 0
; COMPUTE_PGM_RSRC2:USER_SGPR: 6
; COMPUTE_PGM_RSRC2:TRAP_HANDLER: 0
; COMPUTE_PGM_RSRC2:TGID_X_EN: 1
; COMPUTE_PGM_RSRC2:TGID_Y_EN: 0
; COMPUTE_PGM_RSRC2:TGID_Z_EN: 0
; COMPUTE_PGM_RSRC2:TIDIG_COMP_CNT: 0
; COMPUTE_PGM_RSRC3_GFX90A:ACCUM_OFFSET: 9
; COMPUTE_PGM_RSRC3_GFX90A:TG_SPLIT: 0
	.section	.text._ZN9rocsparseL30bsrgemm_fill_block_per_row_2x2ILj256ELj16ELj64ELj137EllfEEv20rocsparse_direction_T4_S2_PKS2_S4_NS_24const_host_device_scalarIT5_EEPKT3_S4_PKS6_SA_S4_SC_S7_SA_S4_SC_SA_PS2_PS6_21rocsparse_index_base_SF_SF_SF_bbb,"axG",@progbits,_ZN9rocsparseL30bsrgemm_fill_block_per_row_2x2ILj256ELj16ELj64ELj137EllfEEv20rocsparse_direction_T4_S2_PKS2_S4_NS_24const_host_device_scalarIT5_EEPKT3_S4_PKS6_SA_S4_SC_S7_SA_S4_SC_SA_PS2_PS6_21rocsparse_index_base_SF_SF_SF_bbb,comdat
	.globl	_ZN9rocsparseL30bsrgemm_fill_block_per_row_2x2ILj256ELj16ELj64ELj137EllfEEv20rocsparse_direction_T4_S2_PKS2_S4_NS_24const_host_device_scalarIT5_EEPKT3_S4_PKS6_SA_S4_SC_S7_SA_S4_SC_SA_PS2_PS6_21rocsparse_index_base_SF_SF_SF_bbb ; -- Begin function _ZN9rocsparseL30bsrgemm_fill_block_per_row_2x2ILj256ELj16ELj64ELj137EllfEEv20rocsparse_direction_T4_S2_PKS2_S4_NS_24const_host_device_scalarIT5_EEPKT3_S4_PKS6_SA_S4_SC_S7_SA_S4_SC_SA_PS2_PS6_21rocsparse_index_base_SF_SF_SF_bbb
	.p2align	8
	.type	_ZN9rocsparseL30bsrgemm_fill_block_per_row_2x2ILj256ELj16ELj64ELj137EllfEEv20rocsparse_direction_T4_S2_PKS2_S4_NS_24const_host_device_scalarIT5_EEPKT3_S4_PKS6_SA_S4_SC_S7_SA_S4_SC_SA_PS2_PS6_21rocsparse_index_base_SF_SF_SF_bbb,@function
_ZN9rocsparseL30bsrgemm_fill_block_per_row_2x2ILj256ELj16ELj64ELj137EllfEEv20rocsparse_direction_T4_S2_PKS2_S4_NS_24const_host_device_scalarIT5_EEPKT3_S4_PKS6_SA_S4_SC_S7_SA_S4_SC_SA_PS2_PS6_21rocsparse_index_base_SF_SF_SF_bbb: ; @_ZN9rocsparseL30bsrgemm_fill_block_per_row_2x2ILj256ELj16ELj64ELj137EllfEEv20rocsparse_direction_T4_S2_PKS2_S4_NS_24const_host_device_scalarIT5_EEPKT3_S4_PKS6_SA_S4_SC_S7_SA_S4_SC_SA_PS2_PS6_21rocsparse_index_base_SF_SF_SF_bbb
; %bb.0:
	s_load_dword s7, s[4:5], 0xa8
	s_load_dwordx2 s[2:3], s[4:5], 0x28
	s_load_dwordx2 s[0:1], s[4:5], 0x60
	s_waitcnt lgkmcnt(0)
	s_bitcmp1_b32 s7, 0
	s_cselect_b64 s[8:9], -1, 0
	s_bitcmp1_b32 s7, 16
	s_cselect_b64 s[10:11], -1, 0
	s_xor_b64 s[12:13], s[8:9], -1
	s_or_b64 s[12:13], s[12:13], s[10:11]
	s_and_b64 vcc, exec, s[12:13]
	s_cbranch_vccnz .LBB90_2
; %bb.1:
	s_load_dword s2, s[2:3], 0x0
	s_waitcnt lgkmcnt(0)
	v_mov_b32_e32 v11, s2
	s_branch .LBB90_3
.LBB90_2:
	v_mov_b32_e32 v1, s2
	v_cndmask_b32_e64 v11, 0, v1, s[8:9]
.LBB90_3:
	s_bitcmp1_b32 s7, 8
	s_cselect_b64 s[2:3], -1, 0
	s_xor_b64 s[12:13], s[2:3], -1
	s_or_b64 s[10:11], s[12:13], s[10:11]
	s_and_b64 vcc, exec, s[10:11]
	s_cbranch_vccnz .LBB90_5
; %bb.4:
	s_load_dword s0, s[0:1], 0x0
	s_waitcnt lgkmcnt(0)
	v_mov_b32_e32 v16, s0
	s_branch .LBB90_6
.LBB90_5:
	v_mov_b32_e32 v1, s0
	v_cndmask_b32_e64 v16, 0, v1, s[2:3]
.LBB90_6:
	s_load_dwordx2 s[20:21], s[4:5], 0x10
	v_cmp_gt_u32_e64 s[0:1], 64, v0
	v_lshl_add_u32 v1, v0, 3, 0
	s_and_saveexec_b64 s[10:11], s[0:1]
	s_cbranch_execz .LBB90_8
; %bb.7:
	s_waitcnt lgkmcnt(0)
	v_pk_mov_b32 v[2:3], s[20:21], s[20:21] op_sel:[0,1]
	ds_write_b64 v1, v[2:3]
.LBB90_8:
	s_or_b64 exec, exec, s[10:11]
	s_load_dwordx4 s[16:19], s[4:5], 0x98
	s_load_dwordx2 s[10:11], s[4:5], 0x20
	s_movk_i32 s7, 0x100
	v_cmp_gt_u32_e32 vcc, s7, v0
	s_and_saveexec_b64 s[12:13], vcc
	s_cbranch_execz .LBB90_10
; %bb.9:
	v_lshl_add_u32 v2, v0, 2, 0
	v_mov_b32_e32 v3, 0
	ds_write_b32 v2, v3 offset:512
.LBB90_10:
	s_or_b64 exec, exec, s[12:13]
	s_waitcnt lgkmcnt(0)
	s_cmp_eq_u64 s[10:11], 0
	s_mov_b32 s7, 0
	s_barrier
	s_cbranch_scc1 .LBB90_12
; %bb.11:
	s_load_dwordx2 s[12:13], s[4:5], 0x18
	s_waitcnt lgkmcnt(0)
	s_load_dwordx2 s[12:13], s[12:13], 0x0
	s_waitcnt lgkmcnt(0)
	s_lshl_b64 s[12:13], s[12:13], 3
	s_add_u32 s10, s10, s12
	s_addc_u32 s11, s11, s13
	s_lshl_b64 s[6:7], s[6:7], 3
	s_add_u32 s6, s10, s6
	s_addc_u32 s7, s11, s7
	s_load_dwordx2 s[6:7], s[6:7], 0x0
.LBB90_12:
	s_nop 0
	s_load_dword s33, s[4:5], 0x0
	s_andn2_b64 vcc, exec, s[8:9]
	s_cbranch_vccnz .LBB90_68
; %bb.13:
	s_load_dwordx2 s[8:9], s[4:5], 0x30
	s_waitcnt lgkmcnt(0)
	s_lshl_b64 s[10:11], s[6:7], 3
	v_lshrrev_b32_e32 v2, 4, v0
	v_subrev_co_u32_e32 v2, vcc, s16, v2
	s_add_u32 s8, s8, s10
	s_addc_u32 s9, s9, s11
	s_load_dwordx4 s[8:11], s[8:9], 0x0
	v_subb_co_u32_e64 v3, s[12:13], 0, 0, vcc
	s_mov_b32 s28, 0
	s_waitcnt lgkmcnt(0)
	s_sub_u32 s22, s10, s16
	v_mov_b32_e32 v4, s9
	v_add_co_u32_e32 v2, vcc, s8, v2
	s_subb_u32 s23, s11, 0
	v_addc_co_u32_e32 v3, vcc, v4, v3, vcc
	v_cmp_gt_i64_e32 vcc, s[22:23], v[2:3]
	s_and_saveexec_b64 s[24:25], vcc
	s_cbranch_execz .LBB90_67
; %bb.14:
	s_load_dwordx2 s[26:27], s[4:5], 0x58
	s_load_dwordx8 s[8:15], s[4:5], 0x38
	v_and_b32_e32 v4, 15, v0
	v_subrev_co_u32_e32 v17, vcc, s17, v4
	s_mov_b32 s46, s16
	s_cmp_eq_u32 s33, 0
	s_mov_b32 s47, s17
	v_subb_co_u32_e64 v18, s[16:17], 0, 0, vcc
	s_mov_b32 s48, s28
	s_cselect_b32 s49, 1, 2
	s_cselect_b32 s50, 2, 1
	s_mov_b64 s[16:17], 0
	s_waitcnt lgkmcnt(0)
	v_mov_b32_e32 v19, s9
	v_mov_b32_e32 v20, s28
	;; [unrolled: 1-line block ×4, first 2 shown]
	s_branch .LBB90_16
.LBB90_15:                              ;   in Loop: Header=BB90_16 Depth=1
	s_or_b64 exec, exec, s[28:29]
	v_add_co_u32_e32 v2, vcc, 16, v2
	v_addc_co_u32_e32 v3, vcc, 0, v3, vcc
	v_cmp_le_i64_e32 vcc, s[22:23], v[2:3]
	s_or_b64 s[16:17], vcc, s[16:17]
	s_andn2_b64 exec, exec, s[16:17]
	s_cbranch_execz .LBB90_67
.LBB90_16:                              ; =>This Loop Header: Depth=1
                                        ;     Child Loop BB90_19 Depth 2
                                        ;       Child Loop BB90_21 Depth 3
                                        ;       Child Loop BB90_33 Depth 3
	;; [unrolled: 1-line block ×4, first 2 shown]
	v_lshlrev_b64 v[4:5], 3, v[2:3]
	v_add_co_u32_e32 v4, vcc, s8, v4
	v_addc_co_u32_e32 v5, vcc, v19, v5, vcc
	global_load_dwordx2 v[4:5], v[4:5], off
	s_waitcnt vmcnt(0)
	v_subrev_co_u32_e32 v4, vcc, s46, v4
	v_subb_co_u32_e32 v5, vcc, v5, v20, vcc
	v_lshlrev_b64 v[4:5], 3, v[4:5]
	v_add_co_u32_e32 v4, vcc, s12, v4
	v_addc_co_u32_e32 v5, vcc, v21, v5, vcc
	global_load_dwordx4 v[6:9], v[4:5], off
	s_waitcnt vmcnt(0)
	v_subrev_co_u32_e32 v4, vcc, s47, v8
	v_subb_co_u32_e32 v5, vcc, v9, v22, vcc
	v_add_co_u32_e32 v6, vcc, v6, v17
	v_addc_co_u32_e32 v7, vcc, v7, v18, vcc
	v_cmp_lt_i64_e32 vcc, v[6:7], v[4:5]
	s_and_saveexec_b64 s[28:29], vcc
	s_cbranch_execz .LBB90_15
; %bb.17:                               ;   in Loop: Header=BB90_16 Depth=1
	v_lshlrev_b64 v[8:9], 2, v[2:3]
	v_lshlrev_b64 v[14:15], 4, v[2:3]
	v_or_b32_e32 v13, 0, v9
	v_or_b32_e32 v12, s49, v8
	;; [unrolled: 1-line block ×4, first 2 shown]
	v_mov_b32_e32 v10, s11
	v_add_co_u32_e32 v14, vcc, s10, v14
	v_addc_co_u32_e32 v15, vcc, v10, v15, vcc
	v_lshlrev_b64 v[8:9], 2, v[8:9]
	v_add_co_u32_e32 v8, vcc, s10, v8
	v_addc_co_u32_e32 v9, vcc, v10, v9, vcc
	v_lshlrev_b64 v[12:13], 2, v[12:13]
	v_add_co_u32_e32 v12, vcc, s10, v12
	v_addc_co_u32_e32 v13, vcc, v10, v13, vcc
	global_load_dword v10, v[14:15], off offset:12
	global_load_dword v24, v[8:9], off
	global_load_dword v25, v[12:13], off
	;; [unrolled: 1-line block ×3, first 2 shown]
	s_mov_b64 s[30:31], 0
	s_waitcnt vmcnt(3)
	v_mul_f32_e32 v23, v11, v10
	s_waitcnt vmcnt(2)
	v_mul_f32_e32 v24, v11, v24
	;; [unrolled: 2-line block ×4, first 2 shown]
	s_branch .LBB90_19
.LBB90_18:                              ;   in Loop: Header=BB90_19 Depth=2
	s_or_b64 exec, exec, s[34:35]
	v_add_co_u32_e32 v6, vcc, 16, v6
	v_addc_co_u32_e32 v7, vcc, 0, v7, vcc
	v_cmp_ge_i64_e32 vcc, v[6:7], v[4:5]
	s_or_b64 s[30:31], vcc, s[30:31]
	s_andn2_b64 exec, exec, s[30:31]
	s_cbranch_execz .LBB90_15
.LBB90_19:                              ;   Parent Loop BB90_16 Depth=1
                                        ; =>  This Loop Header: Depth=2
                                        ;       Child Loop BB90_21 Depth 3
                                        ;       Child Loop BB90_33 Depth 3
	;; [unrolled: 1-line block ×4, first 2 shown]
	v_lshlrev_b64 v[8:9], 3, v[6:7]
	v_mov_b32_e32 v10, s15
	v_add_co_u32_e32 v8, vcc, s14, v8
	v_addc_co_u32_e32 v9, vcc, v10, v9, vcc
	v_lshlrev_b64 v[12:13], 2, v[6:7]
	v_lshlrev_b64 v[28:29], 4, v[6:7]
	v_or_b32_e32 v15, 0, v13
	v_or_b32_e32 v14, s49, v12
	;; [unrolled: 1-line block ×4, first 2 shown]
	v_mov_b32_e32 v10, s27
	v_add_co_u32_e32 v32, vcc, s26, v28
	v_addc_co_u32_e32 v33, vcc, v10, v29, vcc
	v_lshlrev_b64 v[12:13], 2, v[12:13]
	global_load_dwordx2 v[8:9], v[8:9], off
	v_add_co_u32_e32 v12, vcc, s26, v12
	v_lshlrev_b64 v[14:15], 2, v[14:15]
	v_addc_co_u32_e32 v13, vcc, v10, v13, vcc
	global_load_dword v29, v[32:33], off
	global_load_dword v30, v[12:13], off
	v_add_co_u32_e32 v12, vcc, s26, v14
	v_addc_co_u32_e32 v13, vcc, v10, v15, vcc
	global_load_dword v27, v[12:13], off
	global_load_dword v28, v[32:33], off offset:12
	v_mov_b32_e32 v10, s48
	s_mov_b64 s[34:35], 0
	s_waitcnt vmcnt(4)
	v_subrev_co_u32_e32 v8, vcc, s47, v8
	v_subb_co_u32_e32 v9, vcc, v9, v10, vcc
	v_lshl_add_u32 v10, v8, 3, v8
	v_and_b32_e32 v10, 63, v10
	v_pk_mov_b32 v[12:13], v[10:11], v[10:11] op_sel:[0,1]
	s_waitcnt vmcnt(2)
	v_mul_f32_e32 v31, v25, v30
	v_fmac_f32_e32 v31, v26, v29
	s_branch .LBB90_21
.LBB90_20:                              ;   in Loop: Header=BB90_21 Depth=3
	s_or_b64 exec, exec, s[36:37]
	s_xor_b64 s[36:37], s[38:39], -1
	s_and_b64 s[36:37], exec, s[36:37]
	s_or_b64 s[34:35], s[36:37], s[34:35]
	s_andn2_b64 exec, exec, s[34:35]
	s_cbranch_execz .LBB90_31
.LBB90_21:                              ;   Parent Loop BB90_16 Depth=1
                                        ;     Parent Loop BB90_19 Depth=2
                                        ; =>    This Inner Loop Header: Depth=3
	v_lshl_add_u32 v13, v12, 3, 0
	ds_read_b64 v[14:15], v13
                                        ; implicit-def: $sgpr38_sgpr39
	s_waitcnt lgkmcnt(0)
	v_cmp_ne_u64_e32 vcc, v[14:15], v[8:9]
	s_and_saveexec_b64 s[36:37], vcc
	s_xor_b64 s[36:37], exec, s[36:37]
	s_cbranch_execz .LBB90_29
; %bb.22:                               ;   in Loop: Header=BB90_21 Depth=3
	v_cmp_ne_u64_e32 vcc, s[20:21], v[14:15]
                                        ; implicit-def: $sgpr38_sgpr39
	s_and_saveexec_b64 s[40:41], vcc
	s_xor_b64 s[40:41], exec, s[40:41]
; %bb.23:                               ;   in Loop: Header=BB90_21 Depth=3
	v_add_u32_e32 v12, 1, v12
	v_and_b32_e32 v12, 63, v12
	s_mov_b64 s[38:39], -1
                                        ; implicit-def: $vgpr13
; %bb.24:                               ;   in Loop: Header=BB90_21 Depth=3
	s_andn2_saveexec_b64 s[40:41], s[40:41]
	s_cbranch_execz .LBB90_28
; %bb.25:                               ;   in Loop: Header=BB90_21 Depth=3
	v_pk_mov_b32 v[14:15], s[20:21], s[20:21] op_sel:[0,1]
	ds_cmpst_rtn_b64 v[14:15], v13, v[14:15], v[8:9]
	s_mov_b64 s[42:43], -1
	s_waitcnt lgkmcnt(0)
	v_cmp_eq_u64_e32 vcc, s[20:21], v[14:15]
	s_and_saveexec_b64 s[44:45], vcc
	s_cbranch_execz .LBB90_27
; %bb.26:                               ;   in Loop: Header=BB90_21 Depth=3
	v_lshl_add_u32 v13, v12, 3, v13
	ds_add_f32 v13, v31 offset:512
	s_xor_b64 s[42:43], exec, -1
.LBB90_27:                              ;   in Loop: Header=BB90_21 Depth=3
	s_or_b64 exec, exec, s[44:45]
	s_andn2_b64 s[38:39], s[38:39], exec
	s_and_b64 s[42:43], s[42:43], exec
	s_or_b64 s[38:39], s[38:39], s[42:43]
.LBB90_28:                              ;   in Loop: Header=BB90_21 Depth=3
	s_or_b64 exec, exec, s[40:41]
	s_and_b64 s[38:39], s[38:39], exec
                                        ; implicit-def: $vgpr13
.LBB90_29:                              ;   in Loop: Header=BB90_21 Depth=3
	s_andn2_saveexec_b64 s[36:37], s[36:37]
	s_cbranch_execz .LBB90_20
; %bb.30:                               ;   in Loop: Header=BB90_21 Depth=3
	v_lshl_add_u32 v13, v12, 3, v13
	ds_add_f32 v13, v31 offset:512
	s_andn2_b64 s[38:39], s[38:39], exec
	s_branch .LBB90_20
.LBB90_31:                              ;   in Loop: Header=BB90_19 Depth=2
	s_or_b64 exec, exec, s[34:35]
	s_waitcnt vmcnt(0)
	v_mul_f32_e32 v31, v25, v28
	v_fmac_f32_e32 v31, v26, v27
	s_mov_b64 s[34:35], 0
	v_pk_mov_b32 v[12:13], v[10:11], v[10:11] op_sel:[0,1]
	s_branch .LBB90_33
.LBB90_32:                              ;   in Loop: Header=BB90_33 Depth=3
	s_or_b64 exec, exec, s[36:37]
	s_xor_b64 s[36:37], s[38:39], -1
	s_and_b64 s[36:37], exec, s[36:37]
	s_or_b64 s[34:35], s[36:37], s[34:35]
	s_andn2_b64 exec, exec, s[34:35]
	s_cbranch_execz .LBB90_43
.LBB90_33:                              ;   Parent Loop BB90_16 Depth=1
                                        ;     Parent Loop BB90_19 Depth=2
                                        ; =>    This Inner Loop Header: Depth=3
	v_lshl_add_u32 v13, v12, 3, 0
	ds_read_b64 v[14:15], v13
                                        ; implicit-def: $sgpr38_sgpr39
	s_waitcnt lgkmcnt(0)
	v_cmp_ne_u64_e32 vcc, v[14:15], v[8:9]
	s_and_saveexec_b64 s[36:37], vcc
	s_xor_b64 s[36:37], exec, s[36:37]
	s_cbranch_execz .LBB90_41
; %bb.34:                               ;   in Loop: Header=BB90_33 Depth=3
	v_cmp_ne_u64_e32 vcc, s[20:21], v[14:15]
                                        ; implicit-def: $sgpr38_sgpr39
	s_and_saveexec_b64 s[40:41], vcc
	s_xor_b64 s[40:41], exec, s[40:41]
; %bb.35:                               ;   in Loop: Header=BB90_33 Depth=3
	v_add_u32_e32 v12, 1, v12
	v_and_b32_e32 v12, 63, v12
	s_mov_b64 s[38:39], -1
                                        ; implicit-def: $vgpr13
; %bb.36:                               ;   in Loop: Header=BB90_33 Depth=3
	s_andn2_saveexec_b64 s[40:41], s[40:41]
	s_cbranch_execz .LBB90_40
; %bb.37:                               ;   in Loop: Header=BB90_33 Depth=3
	v_pk_mov_b32 v[14:15], s[20:21], s[20:21] op_sel:[0,1]
	ds_cmpst_rtn_b64 v[14:15], v13, v[14:15], v[8:9]
	s_mov_b64 s[42:43], -1
	s_waitcnt lgkmcnt(0)
	v_cmp_eq_u64_e32 vcc, s[20:21], v[14:15]
	s_and_saveexec_b64 s[44:45], vcc
	s_cbranch_execz .LBB90_39
; %bb.38:                               ;   in Loop: Header=BB90_33 Depth=3
	v_lshl_add_u32 v13, v12, 3, v13
	ds_add_f32 v13, v31 offset:516
	s_xor_b64 s[42:43], exec, -1
.LBB90_39:                              ;   in Loop: Header=BB90_33 Depth=3
	s_or_b64 exec, exec, s[44:45]
	s_andn2_b64 s[38:39], s[38:39], exec
	s_and_b64 s[42:43], s[42:43], exec
	s_or_b64 s[38:39], s[38:39], s[42:43]
.LBB90_40:                              ;   in Loop: Header=BB90_33 Depth=3
	s_or_b64 exec, exec, s[40:41]
	s_and_b64 s[38:39], s[38:39], exec
                                        ; implicit-def: $vgpr13
.LBB90_41:                              ;   in Loop: Header=BB90_33 Depth=3
	s_andn2_saveexec_b64 s[36:37], s[36:37]
	s_cbranch_execz .LBB90_32
; %bb.42:                               ;   in Loop: Header=BB90_33 Depth=3
	v_lshl_add_u32 v13, v12, 3, v13
	ds_add_f32 v13, v31 offset:516
	s_andn2_b64 s[38:39], s[38:39], exec
	s_branch .LBB90_32
.LBB90_43:                              ;   in Loop: Header=BB90_19 Depth=2
	s_or_b64 exec, exec, s[34:35]
	v_mul_f32_e32 v30, v23, v30
	v_fmac_f32_e32 v30, v24, v29
	s_mov_b64 s[34:35], 0
	v_pk_mov_b32 v[12:13], v[10:11], v[10:11] op_sel:[0,1]
	s_branch .LBB90_45
.LBB90_44:                              ;   in Loop: Header=BB90_45 Depth=3
	s_or_b64 exec, exec, s[36:37]
	s_xor_b64 s[36:37], s[38:39], -1
	s_and_b64 s[36:37], exec, s[36:37]
	s_or_b64 s[34:35], s[36:37], s[34:35]
	s_andn2_b64 exec, exec, s[34:35]
	s_cbranch_execz .LBB90_55
.LBB90_45:                              ;   Parent Loop BB90_16 Depth=1
                                        ;     Parent Loop BB90_19 Depth=2
                                        ; =>    This Inner Loop Header: Depth=3
	v_lshl_add_u32 v13, v12, 3, 0
	ds_read_b64 v[14:15], v13
                                        ; implicit-def: $sgpr38_sgpr39
	s_waitcnt lgkmcnt(0)
	v_cmp_ne_u64_e32 vcc, v[14:15], v[8:9]
	s_and_saveexec_b64 s[36:37], vcc
	s_xor_b64 s[36:37], exec, s[36:37]
	s_cbranch_execz .LBB90_53
; %bb.46:                               ;   in Loop: Header=BB90_45 Depth=3
	v_cmp_ne_u64_e32 vcc, s[20:21], v[14:15]
                                        ; implicit-def: $sgpr38_sgpr39
	s_and_saveexec_b64 s[40:41], vcc
	s_xor_b64 s[40:41], exec, s[40:41]
; %bb.47:                               ;   in Loop: Header=BB90_45 Depth=3
	v_add_u32_e32 v12, 1, v12
	v_and_b32_e32 v12, 63, v12
	s_mov_b64 s[38:39], -1
                                        ; implicit-def: $vgpr13
; %bb.48:                               ;   in Loop: Header=BB90_45 Depth=3
	s_andn2_saveexec_b64 s[40:41], s[40:41]
	s_cbranch_execz .LBB90_52
; %bb.49:                               ;   in Loop: Header=BB90_45 Depth=3
	v_pk_mov_b32 v[14:15], s[20:21], s[20:21] op_sel:[0,1]
	ds_cmpst_rtn_b64 v[14:15], v13, v[14:15], v[8:9]
	s_mov_b64 s[42:43], -1
	s_waitcnt lgkmcnt(0)
	v_cmp_eq_u64_e32 vcc, s[20:21], v[14:15]
	s_and_saveexec_b64 s[44:45], vcc
	s_cbranch_execz .LBB90_51
; %bb.50:                               ;   in Loop: Header=BB90_45 Depth=3
	v_lshl_add_u32 v13, v12, 3, v13
	ds_add_f32 v13, v30 offset:520
	s_xor_b64 s[42:43], exec, -1
.LBB90_51:                              ;   in Loop: Header=BB90_45 Depth=3
	s_or_b64 exec, exec, s[44:45]
	s_andn2_b64 s[38:39], s[38:39], exec
	s_and_b64 s[42:43], s[42:43], exec
	s_or_b64 s[38:39], s[38:39], s[42:43]
.LBB90_52:                              ;   in Loop: Header=BB90_45 Depth=3
	s_or_b64 exec, exec, s[40:41]
	s_and_b64 s[38:39], s[38:39], exec
                                        ; implicit-def: $vgpr13
.LBB90_53:                              ;   in Loop: Header=BB90_45 Depth=3
	s_andn2_saveexec_b64 s[36:37], s[36:37]
	s_cbranch_execz .LBB90_44
; %bb.54:                               ;   in Loop: Header=BB90_45 Depth=3
	v_lshl_add_u32 v13, v12, 3, v13
	ds_add_f32 v13, v30 offset:520
	s_andn2_b64 s[38:39], s[38:39], exec
	s_branch .LBB90_44
.LBB90_55:                              ;   in Loop: Header=BB90_19 Depth=2
	s_or_b64 exec, exec, s[34:35]
	v_mul_f32_e32 v14, v23, v28
	v_fmac_f32_e32 v14, v24, v27
	s_mov_b64 s[34:35], 0
	s_branch .LBB90_57
.LBB90_56:                              ;   in Loop: Header=BB90_57 Depth=3
	s_or_b64 exec, exec, s[36:37]
	s_xor_b64 s[36:37], s[38:39], -1
	s_and_b64 s[36:37], exec, s[36:37]
	s_or_b64 s[34:35], s[36:37], s[34:35]
	s_andn2_b64 exec, exec, s[34:35]
	s_cbranch_execz .LBB90_18
.LBB90_57:                              ;   Parent Loop BB90_16 Depth=1
                                        ;     Parent Loop BB90_19 Depth=2
                                        ; =>    This Inner Loop Header: Depth=3
	v_lshl_add_u32 v15, v10, 3, 0
	ds_read_b64 v[12:13], v15
                                        ; implicit-def: $sgpr38_sgpr39
	s_waitcnt lgkmcnt(0)
	v_cmp_ne_u64_e32 vcc, v[12:13], v[8:9]
	s_and_saveexec_b64 s[36:37], vcc
	s_xor_b64 s[36:37], exec, s[36:37]
	s_cbranch_execz .LBB90_65
; %bb.58:                               ;   in Loop: Header=BB90_57 Depth=3
	v_cmp_ne_u64_e32 vcc, s[20:21], v[12:13]
                                        ; implicit-def: $sgpr38_sgpr39
	s_and_saveexec_b64 s[40:41], vcc
	s_xor_b64 s[40:41], exec, s[40:41]
; %bb.59:                               ;   in Loop: Header=BB90_57 Depth=3
	v_add_u32_e32 v10, 1, v10
	v_and_b32_e32 v10, 63, v10
	s_mov_b64 s[38:39], -1
                                        ; implicit-def: $vgpr15
; %bb.60:                               ;   in Loop: Header=BB90_57 Depth=3
	s_andn2_saveexec_b64 s[40:41], s[40:41]
	s_cbranch_execz .LBB90_64
; %bb.61:                               ;   in Loop: Header=BB90_57 Depth=3
	v_pk_mov_b32 v[12:13], s[20:21], s[20:21] op_sel:[0,1]
	ds_cmpst_rtn_b64 v[12:13], v15, v[12:13], v[8:9]
	s_mov_b64 s[42:43], -1
	s_waitcnt lgkmcnt(0)
	v_cmp_eq_u64_e32 vcc, s[20:21], v[12:13]
	s_and_saveexec_b64 s[44:45], vcc
	s_cbranch_execz .LBB90_63
; %bb.62:                               ;   in Loop: Header=BB90_57 Depth=3
	v_lshl_add_u32 v12, v10, 3, v15
	ds_add_f32 v12, v14 offset:524
	s_xor_b64 s[42:43], exec, -1
.LBB90_63:                              ;   in Loop: Header=BB90_57 Depth=3
	s_or_b64 exec, exec, s[44:45]
	s_andn2_b64 s[38:39], s[38:39], exec
	s_and_b64 s[42:43], s[42:43], exec
	s_or_b64 s[38:39], s[38:39], s[42:43]
.LBB90_64:                              ;   in Loop: Header=BB90_57 Depth=3
	s_or_b64 exec, exec, s[40:41]
	s_and_b64 s[38:39], s[38:39], exec
                                        ; implicit-def: $vgpr15
.LBB90_65:                              ;   in Loop: Header=BB90_57 Depth=3
	s_andn2_saveexec_b64 s[36:37], s[36:37]
	s_cbranch_execz .LBB90_56
; %bb.66:                               ;   in Loop: Header=BB90_57 Depth=3
	v_lshl_add_u32 v12, v10, 3, v15
	ds_add_f32 v12, v14 offset:524
	s_andn2_b64 s[38:39], s[38:39], exec
	s_branch .LBB90_56
.LBB90_67:
	s_or_b64 exec, exec, s[24:25]
.LBB90_68:
	s_andn2_b64 vcc, exec, s[2:3]
	s_waitcnt lgkmcnt(0)
	s_barrier
	s_cbranch_vccnz .LBB90_121
; %bb.69:
	s_load_dwordx2 s[2:3], s[4:5], 0x68
	s_lshl_b64 s[8:9], s[6:7], 3
	v_subrev_co_u32_e32 v2, vcc, s19, v0
	s_mov_b32 s16, 0
	s_waitcnt lgkmcnt(0)
	s_add_u32 s2, s2, s8
	s_addc_u32 s3, s3, s9
	s_load_dwordx4 s[8:11], s[2:3], 0x0
	v_subb_co_u32_e64 v3, s[2:3], 0, 0, vcc
	s_waitcnt lgkmcnt(0)
	s_sub_u32 s2, s10, s19
	v_mov_b32_e32 v4, s9
	v_add_co_u32_e32 v2, vcc, s8, v2
	s_subb_u32 s3, s11, 0
	v_addc_co_u32_e32 v3, vcc, v4, v3, vcc
	v_cmp_gt_i64_e32 vcc, s[2:3], v[2:3]
	s_and_saveexec_b64 s[12:13], vcc
	s_cbranch_execz .LBB90_120
; %bb.70:
	s_load_dwordx4 s[8:11], s[4:5], 0x70
	s_cmp_eq_u32 s33, 0
	s_mov_b32 s34, s19
	s_mov_b64 s[14:15], 0
	s_cselect_b32 s19, 1, 2
	s_cselect_b32 s35, 2, 1
	s_waitcnt lgkmcnt(0)
	v_mov_b32_e32 v7, s11
	v_mov_b32_e32 v12, s9
	;; [unrolled: 1-line block ×3, first 2 shown]
	s_branch .LBB90_72
.LBB90_71:                              ;   in Loop: Header=BB90_72 Depth=1
	s_or_b64 exec, exec, s[16:17]
	v_add_co_u32_e32 v2, vcc, 0x100, v2
	v_addc_co_u32_e32 v3, vcc, 0, v3, vcc
	v_cmp_le_i64_e32 vcc, s[2:3], v[2:3]
	s_or_b64 s[14:15], vcc, s[14:15]
	s_andn2_b64 exec, exec, s[14:15]
	s_cbranch_execz .LBB90_120
.LBB90_72:                              ; =>This Loop Header: Depth=1
                                        ;     Child Loop BB90_74 Depth 2
                                        ;     Child Loop BB90_86 Depth 2
	;; [unrolled: 1-line block ×4, first 2 shown]
	v_lshlrev_b64 v[4:5], 2, v[2:3]
	v_lshlrev_b64 v[10:11], 4, v[2:3]
	v_or_b32_e32 v9, 0, v5
	v_or_b32_e32 v8, s19, v4
	v_add_co_u32_e32 v10, vcc, s10, v10
	v_addc_co_u32_e32 v11, vcc, v7, v11, vcc
	v_lshlrev_b64 v[8:9], 2, v[8:9]
	v_add_co_u32_e32 v8, vcc, s10, v8
	v_addc_co_u32_e32 v9, vcc, v7, v9, vcc
	v_lshlrev_b64 v[14:15], 3, v[2:3]
	v_add_co_u32_e32 v14, vcc, s8, v14
	v_or_b32_e32 v5, 0, v5
	v_or_b32_e32 v4, s35, v4
	v_addc_co_u32_e32 v15, vcc, v12, v15, vcc
	v_lshlrev_b64 v[4:5], 2, v[4:5]
	global_load_dwordx2 v[20:21], v[14:15], off
	global_load_dword v6, v[10:11], off
	v_add_co_u32_e32 v4, vcc, s10, v4
	v_addc_co_u32_e32 v5, vcc, v7, v5, vcc
	global_load_dword v15, v[4:5], off
	global_load_dword v17, v[8:9], off
	global_load_dword v14, v[10:11], off offset:12
	s_mov_b64 s[16:17], 0
	s_waitcnt vmcnt(4)
	v_subrev_co_u32_e32 v4, vcc, s34, v20
	s_waitcnt vmcnt(3)
	v_mul_f32_e32 v18, v16, v6
	v_lshl_add_u32 v6, v4, 3, v4
	v_and_b32_e32 v6, 63, v6
	v_subb_co_u32_e32 v5, vcc, v21, v13, vcc
	v_pk_mov_b32 v[8:9], v[6:7], v[6:7] op_sel:[0,1]
	s_branch .LBB90_74
.LBB90_73:                              ;   in Loop: Header=BB90_74 Depth=2
	s_or_b64 exec, exec, s[22:23]
	s_xor_b64 s[22:23], s[24:25], -1
	s_and_b64 s[22:23], exec, s[22:23]
	s_or_b64 s[16:17], s[22:23], s[16:17]
	s_andn2_b64 exec, exec, s[16:17]
	s_cbranch_execz .LBB90_84
.LBB90_74:                              ;   Parent Loop BB90_72 Depth=1
                                        ; =>  This Inner Loop Header: Depth=2
	v_lshl_add_u32 v9, v8, 3, 0
	ds_read_b64 v[10:11], v9
                                        ; implicit-def: $sgpr24_sgpr25
	s_waitcnt lgkmcnt(0)
	v_cmp_ne_u64_e32 vcc, v[10:11], v[4:5]
	s_and_saveexec_b64 s[22:23], vcc
	s_xor_b64 s[22:23], exec, s[22:23]
	s_cbranch_execz .LBB90_82
; %bb.75:                               ;   in Loop: Header=BB90_74 Depth=2
	v_cmp_ne_u64_e32 vcc, s[20:21], v[10:11]
                                        ; implicit-def: $sgpr24_sgpr25
	s_and_saveexec_b64 s[26:27], vcc
	s_xor_b64 s[26:27], exec, s[26:27]
; %bb.76:                               ;   in Loop: Header=BB90_74 Depth=2
	v_add_u32_e32 v8, 1, v8
	v_and_b32_e32 v8, 63, v8
	s_mov_b64 s[24:25], -1
                                        ; implicit-def: $vgpr9
; %bb.77:                               ;   in Loop: Header=BB90_74 Depth=2
	s_andn2_saveexec_b64 s[26:27], s[26:27]
	s_cbranch_execz .LBB90_81
; %bb.78:                               ;   in Loop: Header=BB90_74 Depth=2
	v_pk_mov_b32 v[10:11], s[20:21], s[20:21] op_sel:[0,1]
	ds_cmpst_rtn_b64 v[10:11], v9, v[10:11], v[4:5]
	s_mov_b64 s[28:29], -1
	s_waitcnt lgkmcnt(0)
	v_cmp_eq_u64_e32 vcc, s[20:21], v[10:11]
	s_and_saveexec_b64 s[30:31], vcc
	s_cbranch_execz .LBB90_80
; %bb.79:                               ;   in Loop: Header=BB90_74 Depth=2
	v_lshl_add_u32 v9, v8, 3, v9
	ds_add_f32 v9, v18 offset:512
	s_xor_b64 s[28:29], exec, -1
.LBB90_80:                              ;   in Loop: Header=BB90_74 Depth=2
	s_or_b64 exec, exec, s[30:31]
	s_andn2_b64 s[24:25], s[24:25], exec
	s_and_b64 s[28:29], s[28:29], exec
	s_or_b64 s[24:25], s[24:25], s[28:29]
.LBB90_81:                              ;   in Loop: Header=BB90_74 Depth=2
	s_or_b64 exec, exec, s[26:27]
	s_and_b64 s[24:25], s[24:25], exec
                                        ; implicit-def: $vgpr9
.LBB90_82:                              ;   in Loop: Header=BB90_74 Depth=2
	s_andn2_saveexec_b64 s[22:23], s[22:23]
	s_cbranch_execz .LBB90_73
; %bb.83:                               ;   in Loop: Header=BB90_74 Depth=2
	v_lshl_add_u32 v9, v8, 3, v9
	ds_add_f32 v9, v18 offset:512
	s_andn2_b64 s[24:25], s[24:25], exec
	s_branch .LBB90_73
.LBB90_84:                              ;   in Loop: Header=BB90_72 Depth=1
	s_or_b64 exec, exec, s[16:17]
	s_waitcnt vmcnt(1)
	v_mul_f32_e32 v17, v16, v17
	s_mov_b64 s[16:17], 0
	v_pk_mov_b32 v[8:9], v[6:7], v[6:7] op_sel:[0,1]
	s_branch .LBB90_86
.LBB90_85:                              ;   in Loop: Header=BB90_86 Depth=2
	s_or_b64 exec, exec, s[22:23]
	s_xor_b64 s[22:23], s[24:25], -1
	s_and_b64 s[22:23], exec, s[22:23]
	s_or_b64 s[16:17], s[22:23], s[16:17]
	s_andn2_b64 exec, exec, s[16:17]
	s_cbranch_execz .LBB90_96
.LBB90_86:                              ;   Parent Loop BB90_72 Depth=1
                                        ; =>  This Inner Loop Header: Depth=2
	v_lshl_add_u32 v9, v8, 3, 0
	ds_read_b64 v[10:11], v9
                                        ; implicit-def: $sgpr24_sgpr25
	s_waitcnt lgkmcnt(0)
	v_cmp_ne_u64_e32 vcc, v[10:11], v[4:5]
	s_and_saveexec_b64 s[22:23], vcc
	s_xor_b64 s[22:23], exec, s[22:23]
	s_cbranch_execz .LBB90_94
; %bb.87:                               ;   in Loop: Header=BB90_86 Depth=2
	v_cmp_ne_u64_e32 vcc, s[20:21], v[10:11]
                                        ; implicit-def: $sgpr24_sgpr25
	s_and_saveexec_b64 s[26:27], vcc
	s_xor_b64 s[26:27], exec, s[26:27]
; %bb.88:                               ;   in Loop: Header=BB90_86 Depth=2
	v_add_u32_e32 v8, 1, v8
	v_and_b32_e32 v8, 63, v8
	s_mov_b64 s[24:25], -1
                                        ; implicit-def: $vgpr9
; %bb.89:                               ;   in Loop: Header=BB90_86 Depth=2
	s_andn2_saveexec_b64 s[26:27], s[26:27]
	s_cbranch_execz .LBB90_93
; %bb.90:                               ;   in Loop: Header=BB90_86 Depth=2
	v_pk_mov_b32 v[10:11], s[20:21], s[20:21] op_sel:[0,1]
	ds_cmpst_rtn_b64 v[10:11], v9, v[10:11], v[4:5]
	s_mov_b64 s[28:29], -1
	s_waitcnt lgkmcnt(0)
	v_cmp_eq_u64_e32 vcc, s[20:21], v[10:11]
	s_and_saveexec_b64 s[30:31], vcc
	s_cbranch_execz .LBB90_92
; %bb.91:                               ;   in Loop: Header=BB90_86 Depth=2
	v_lshl_add_u32 v9, v8, 3, v9
	ds_add_f32 v9, v17 offset:516
	s_xor_b64 s[28:29], exec, -1
.LBB90_92:                              ;   in Loop: Header=BB90_86 Depth=2
	s_or_b64 exec, exec, s[30:31]
	s_andn2_b64 s[24:25], s[24:25], exec
	s_and_b64 s[28:29], s[28:29], exec
	s_or_b64 s[24:25], s[24:25], s[28:29]
.LBB90_93:                              ;   in Loop: Header=BB90_86 Depth=2
	s_or_b64 exec, exec, s[26:27]
	s_and_b64 s[24:25], s[24:25], exec
                                        ; implicit-def: $vgpr9
.LBB90_94:                              ;   in Loop: Header=BB90_86 Depth=2
	s_andn2_saveexec_b64 s[22:23], s[22:23]
	s_cbranch_execz .LBB90_85
; %bb.95:                               ;   in Loop: Header=BB90_86 Depth=2
	v_lshl_add_u32 v9, v8, 3, v9
	ds_add_f32 v9, v17 offset:516
	s_andn2_b64 s[24:25], s[24:25], exec
	s_branch .LBB90_85
.LBB90_96:                              ;   in Loop: Header=BB90_72 Depth=1
	s_or_b64 exec, exec, s[16:17]
	v_mul_f32_e32 v15, v16, v15
	s_mov_b64 s[16:17], 0
	v_pk_mov_b32 v[8:9], v[6:7], v[6:7] op_sel:[0,1]
	s_branch .LBB90_98
.LBB90_97:                              ;   in Loop: Header=BB90_98 Depth=2
	s_or_b64 exec, exec, s[22:23]
	s_xor_b64 s[22:23], s[24:25], -1
	s_and_b64 s[22:23], exec, s[22:23]
	s_or_b64 s[16:17], s[22:23], s[16:17]
	s_andn2_b64 exec, exec, s[16:17]
	s_cbranch_execz .LBB90_108
.LBB90_98:                              ;   Parent Loop BB90_72 Depth=1
                                        ; =>  This Inner Loop Header: Depth=2
	v_lshl_add_u32 v9, v8, 3, 0
	ds_read_b64 v[10:11], v9
                                        ; implicit-def: $sgpr24_sgpr25
	s_waitcnt lgkmcnt(0)
	v_cmp_ne_u64_e32 vcc, v[10:11], v[4:5]
	s_and_saveexec_b64 s[22:23], vcc
	s_xor_b64 s[22:23], exec, s[22:23]
	s_cbranch_execz .LBB90_106
; %bb.99:                               ;   in Loop: Header=BB90_98 Depth=2
	v_cmp_ne_u64_e32 vcc, s[20:21], v[10:11]
                                        ; implicit-def: $sgpr24_sgpr25
	s_and_saveexec_b64 s[26:27], vcc
	s_xor_b64 s[26:27], exec, s[26:27]
; %bb.100:                              ;   in Loop: Header=BB90_98 Depth=2
	v_add_u32_e32 v8, 1, v8
	v_and_b32_e32 v8, 63, v8
	s_mov_b64 s[24:25], -1
                                        ; implicit-def: $vgpr9
; %bb.101:                              ;   in Loop: Header=BB90_98 Depth=2
	s_andn2_saveexec_b64 s[26:27], s[26:27]
	s_cbranch_execz .LBB90_105
; %bb.102:                              ;   in Loop: Header=BB90_98 Depth=2
	v_pk_mov_b32 v[10:11], s[20:21], s[20:21] op_sel:[0,1]
	ds_cmpst_rtn_b64 v[10:11], v9, v[10:11], v[4:5]
	s_mov_b64 s[28:29], -1
	s_waitcnt lgkmcnt(0)
	v_cmp_eq_u64_e32 vcc, s[20:21], v[10:11]
	s_and_saveexec_b64 s[30:31], vcc
	s_cbranch_execz .LBB90_104
; %bb.103:                              ;   in Loop: Header=BB90_98 Depth=2
	v_lshl_add_u32 v9, v8, 3, v9
	ds_add_f32 v9, v15 offset:520
	s_xor_b64 s[28:29], exec, -1
.LBB90_104:                             ;   in Loop: Header=BB90_98 Depth=2
	s_or_b64 exec, exec, s[30:31]
	s_andn2_b64 s[24:25], s[24:25], exec
	s_and_b64 s[28:29], s[28:29], exec
	s_or_b64 s[24:25], s[24:25], s[28:29]
.LBB90_105:                             ;   in Loop: Header=BB90_98 Depth=2
	s_or_b64 exec, exec, s[26:27]
	s_and_b64 s[24:25], s[24:25], exec
                                        ; implicit-def: $vgpr9
.LBB90_106:                             ;   in Loop: Header=BB90_98 Depth=2
	s_andn2_saveexec_b64 s[22:23], s[22:23]
	s_cbranch_execz .LBB90_97
; %bb.107:                              ;   in Loop: Header=BB90_98 Depth=2
	v_lshl_add_u32 v9, v8, 3, v9
	ds_add_f32 v9, v15 offset:520
	s_andn2_b64 s[24:25], s[24:25], exec
	s_branch .LBB90_97
.LBB90_108:                             ;   in Loop: Header=BB90_72 Depth=1
	s_or_b64 exec, exec, s[16:17]
	s_waitcnt vmcnt(0)
	v_mul_f32_e32 v10, v16, v14
	s_mov_b64 s[16:17], 0
	s_branch .LBB90_110
.LBB90_109:                             ;   in Loop: Header=BB90_110 Depth=2
	s_or_b64 exec, exec, s[22:23]
	s_xor_b64 s[22:23], s[24:25], -1
	s_and_b64 s[22:23], exec, s[22:23]
	s_or_b64 s[16:17], s[22:23], s[16:17]
	s_andn2_b64 exec, exec, s[16:17]
	s_cbranch_execz .LBB90_71
.LBB90_110:                             ;   Parent Loop BB90_72 Depth=1
                                        ; =>  This Inner Loop Header: Depth=2
	v_lshl_add_u32 v11, v6, 3, 0
	ds_read_b64 v[8:9], v11
                                        ; implicit-def: $sgpr24_sgpr25
	s_waitcnt lgkmcnt(0)
	v_cmp_ne_u64_e32 vcc, v[8:9], v[4:5]
	s_and_saveexec_b64 s[22:23], vcc
	s_xor_b64 s[22:23], exec, s[22:23]
	s_cbranch_execz .LBB90_118
; %bb.111:                              ;   in Loop: Header=BB90_110 Depth=2
	v_cmp_ne_u64_e32 vcc, s[20:21], v[8:9]
                                        ; implicit-def: $sgpr24_sgpr25
	s_and_saveexec_b64 s[26:27], vcc
	s_xor_b64 s[26:27], exec, s[26:27]
; %bb.112:                              ;   in Loop: Header=BB90_110 Depth=2
	v_add_u32_e32 v6, 1, v6
	v_and_b32_e32 v6, 63, v6
	s_mov_b64 s[24:25], -1
                                        ; implicit-def: $vgpr11
; %bb.113:                              ;   in Loop: Header=BB90_110 Depth=2
	s_andn2_saveexec_b64 s[26:27], s[26:27]
	s_cbranch_execz .LBB90_117
; %bb.114:                              ;   in Loop: Header=BB90_110 Depth=2
	v_pk_mov_b32 v[8:9], s[20:21], s[20:21] op_sel:[0,1]
	ds_cmpst_rtn_b64 v[8:9], v11, v[8:9], v[4:5]
	s_mov_b64 s[28:29], -1
	s_waitcnt lgkmcnt(0)
	v_cmp_eq_u64_e32 vcc, s[20:21], v[8:9]
	s_and_saveexec_b64 s[30:31], vcc
	s_cbranch_execz .LBB90_116
; %bb.115:                              ;   in Loop: Header=BB90_110 Depth=2
	v_lshl_add_u32 v8, v6, 3, v11
	ds_add_f32 v8, v10 offset:524
	s_xor_b64 s[28:29], exec, -1
.LBB90_116:                             ;   in Loop: Header=BB90_110 Depth=2
	s_or_b64 exec, exec, s[30:31]
	s_andn2_b64 s[24:25], s[24:25], exec
	s_and_b64 s[28:29], s[28:29], exec
	s_or_b64 s[24:25], s[24:25], s[28:29]
.LBB90_117:                             ;   in Loop: Header=BB90_110 Depth=2
	s_or_b64 exec, exec, s[26:27]
	s_and_b64 s[24:25], s[24:25], exec
                                        ; implicit-def: $vgpr11
.LBB90_118:                             ;   in Loop: Header=BB90_110 Depth=2
	s_andn2_saveexec_b64 s[22:23], s[22:23]
	s_cbranch_execz .LBB90_109
; %bb.119:                              ;   in Loop: Header=BB90_110 Depth=2
	v_lshl_add_u32 v8, v6, 3, v11
	ds_add_f32 v8, v10 offset:524
	s_andn2_b64 s[24:25], s[24:25], exec
	s_branch .LBB90_109
.LBB90_120:
	s_or_b64 exec, exec, s[12:13]
.LBB90_121:
	s_waitcnt lgkmcnt(0)
	s_barrier
	s_and_saveexec_b64 s[2:3], s[0:1]
	s_cbranch_execz .LBB90_124
; %bb.122:
	ds_read_b64 v[2:3], v1
	s_waitcnt lgkmcnt(0)
	v_cmp_gt_i64_e32 vcc, s[20:21], v[2:3]
	s_and_b64 exec, exec, vcc
	s_cbranch_execz .LBB90_124
; %bb.123:
	s_load_dwordx4 s[0:3], s[4:5], 0x80
	s_lshl_b64 s[6:7], s[6:7], 3
	v_mov_b32_e32 v1, 0
	ds_read2_b64 v[4:7], v1 offset1:1
	s_waitcnt lgkmcnt(0)
	s_add_u32 s6, s0, s6
	s_addc_u32 s7, s1, s7
	s_load_dwordx2 s[8:9], s[6:7], 0x0
	s_load_dwordx2 s[0:1], s[4:5], 0x90
	v_cmp_gt_i64_e32 vcc, v[2:3], v[4:5]
	v_cndmask_b32_e64 v4, 0, 1, vcc
	ds_read2_b64 v[8:11], v1 offset0:2 offset1:3
	s_waitcnt lgkmcnt(0)
	s_sub_u32 s5, s8, s18
	s_subb_u32 s6, s9, 0
	v_mov_b32_e32 v5, s6
	v_add_co_u32_e32 v4, vcc, s5, v4
	v_addc_co_u32_e32 v5, vcc, 0, v5, vcc
	v_cmp_gt_i64_e32 vcc, v[2:3], v[6:7]
	v_cndmask_b32_e64 v6, 0, 1, vcc
	v_add_co_u32_e32 v4, vcc, v4, v6
	v_addc_co_u32_e32 v5, vcc, 0, v5, vcc
	v_cmp_gt_i64_e32 vcc, v[2:3], v[8:9]
	v_cndmask_b32_e64 v6, 0, 1, vcc
	v_add_co_u32_e32 v8, vcc, v4, v6
	v_addc_co_u32_e32 v9, vcc, 0, v5, vcc
	ds_read2_b64 v[4:7], v1 offset0:4 offset1:5
	v_cmp_gt_i64_e32 vcc, v[2:3], v[10:11]
	v_cndmask_b32_e64 v10, 0, 1, vcc
	v_add_co_u32_e32 v12, vcc, v8, v10
	v_addc_co_u32_e32 v13, vcc, 0, v9, vcc
	ds_read2_b64 v[8:11], v1 offset0:6 offset1:7
	s_waitcnt lgkmcnt(1)
	v_cmp_gt_i64_e32 vcc, v[2:3], v[4:5]
	v_cndmask_b32_e64 v4, 0, 1, vcc
	v_add_co_u32_e32 v4, vcc, v12, v4
	v_addc_co_u32_e32 v5, vcc, 0, v13, vcc
	v_cmp_gt_i64_e32 vcc, v[2:3], v[6:7]
	v_cndmask_b32_e64 v6, 0, 1, vcc
	v_add_co_u32_e32 v4, vcc, v4, v6
	v_addc_co_u32_e32 v5, vcc, 0, v5, vcc
	s_waitcnt lgkmcnt(0)
	v_cmp_gt_i64_e32 vcc, v[2:3], v[8:9]
	v_cndmask_b32_e64 v6, 0, 1, vcc
	v_add_co_u32_e32 v8, vcc, v4, v6
	v_addc_co_u32_e32 v9, vcc, 0, v5, vcc
	ds_read2_b64 v[4:7], v1 offset0:8 offset1:9
	v_cmp_gt_i64_e32 vcc, v[2:3], v[10:11]
	v_cndmask_b32_e64 v10, 0, 1, vcc
	v_add_co_u32_e32 v12, vcc, v8, v10
	v_addc_co_u32_e32 v13, vcc, 0, v9, vcc
	ds_read2_b64 v[8:11], v1 offset0:10 offset1:11
	s_waitcnt lgkmcnt(1)
	v_cmp_gt_i64_e32 vcc, v[2:3], v[4:5]
	v_cndmask_b32_e64 v4, 0, 1, vcc
	v_add_co_u32_e32 v4, vcc, v12, v4
	v_addc_co_u32_e32 v5, vcc, 0, v13, vcc
	v_cmp_gt_i64_e32 vcc, v[2:3], v[6:7]
	v_cndmask_b32_e64 v6, 0, 1, vcc
	v_add_co_u32_e32 v4, vcc, v4, v6
	v_addc_co_u32_e32 v5, vcc, 0, v5, vcc
	s_waitcnt lgkmcnt(0)
	;; [unrolled: 20-line block ×15, first 2 shown]
	v_cmp_gt_i64_e32 vcc, v[2:3], v[8:9]
	v_cndmask_b32_e64 v5, 0, 1, vcc
	v_add_co_u32_e32 v1, vcc, v1, v5
	v_addc_co_u32_e32 v5, vcc, 0, v4, vcc
	v_cmp_gt_i64_e32 vcc, v[2:3], v[10:11]
	v_cndmask_b32_e64 v4, 0, 1, vcc
	v_add_co_u32_e32 v4, vcc, v1, v4
	v_addc_co_u32_e32 v5, vcc, 0, v5, vcc
	v_add_co_u32_e32 v2, vcc, s18, v2
	v_addc_co_u32_e32 v3, vcc, 0, v3, vcc
	v_lshlrev_b64 v[6:7], 3, v[4:5]
	s_add_i32 s4, 0, 0x200
	v_mov_b32_e32 v1, s3
	v_add_co_u32_e32 v6, vcc, s2, v6
	s_cmp_eq_u32 s33, 0
	v_addc_co_u32_e32 v7, vcc, v1, v7, vcc
	global_store_dwordx2 v[6:7], v[2:3], off
	v_lshlrev_b32_e32 v1, 2, v0
	v_lshlrev_b32_e32 v2, 4, v0
	v_mov_b32_e32 v6, s1
	s_cselect_b32 s1, 1, 2
	s_cselect_b32 s2, 2, 1
	v_add_u32_e32 v0, 0, v2
	v_add_u32_e32 v3, s4, v2
	v_or_b32_e32 v2, s1, v1
	v_or_b32_e32 v1, s2, v1
	v_lshl_add_u32 v1, v1, 2, 0
	ds_read_b32 v0, v0 offset:512
	v_lshl_add_u32 v7, v2, 2, 0
	ds_read_b32 v2, v1 offset:512
	ds_read_b32 v1, v7 offset:512
	;; [unrolled: 1-line block ×3, first 2 shown]
	v_lshlrev_b64 v[4:5], 4, v[4:5]
	v_add_co_u32_e32 v4, vcc, s0, v4
	v_addc_co_u32_e32 v5, vcc, v6, v5, vcc
	s_waitcnt lgkmcnt(0)
	global_store_dwordx4 v[4:5], v[0:3], off
.LBB90_124:
	s_endpgm
	.section	.rodata,"a",@progbits
	.p2align	6, 0x0
	.amdhsa_kernel _ZN9rocsparseL30bsrgemm_fill_block_per_row_2x2ILj256ELj16ELj64ELj137EllfEEv20rocsparse_direction_T4_S2_PKS2_S4_NS_24const_host_device_scalarIT5_EEPKT3_S4_PKS6_SA_S4_SC_S7_SA_S4_SC_SA_PS2_PS6_21rocsparse_index_base_SF_SF_SF_bbb
		.amdhsa_group_segment_fixed_size 0
		.amdhsa_private_segment_fixed_size 0
		.amdhsa_kernarg_size 172
		.amdhsa_user_sgpr_count 6
		.amdhsa_user_sgpr_private_segment_buffer 1
		.amdhsa_user_sgpr_dispatch_ptr 0
		.amdhsa_user_sgpr_queue_ptr 0
		.amdhsa_user_sgpr_kernarg_segment_ptr 1
		.amdhsa_user_sgpr_dispatch_id 0
		.amdhsa_user_sgpr_flat_scratch_init 0
		.amdhsa_user_sgpr_kernarg_preload_length 0
		.amdhsa_user_sgpr_kernarg_preload_offset 0
		.amdhsa_user_sgpr_private_segment_size 0
		.amdhsa_uses_dynamic_stack 0
		.amdhsa_system_sgpr_private_segment_wavefront_offset 0
		.amdhsa_system_sgpr_workgroup_id_x 1
		.amdhsa_system_sgpr_workgroup_id_y 0
		.amdhsa_system_sgpr_workgroup_id_z 0
		.amdhsa_system_sgpr_workgroup_info 0
		.amdhsa_system_vgpr_workitem_id 0
		.amdhsa_next_free_vgpr 34
		.amdhsa_next_free_sgpr 51
		.amdhsa_accum_offset 36
		.amdhsa_reserve_vcc 1
		.amdhsa_reserve_flat_scratch 0
		.amdhsa_float_round_mode_32 0
		.amdhsa_float_round_mode_16_64 0
		.amdhsa_float_denorm_mode_32 3
		.amdhsa_float_denorm_mode_16_64 3
		.amdhsa_dx10_clamp 1
		.amdhsa_ieee_mode 1
		.amdhsa_fp16_overflow 0
		.amdhsa_tg_split 0
		.amdhsa_exception_fp_ieee_invalid_op 0
		.amdhsa_exception_fp_denorm_src 0
		.amdhsa_exception_fp_ieee_div_zero 0
		.amdhsa_exception_fp_ieee_overflow 0
		.amdhsa_exception_fp_ieee_underflow 0
		.amdhsa_exception_fp_ieee_inexact 0
		.amdhsa_exception_int_div_zero 0
	.end_amdhsa_kernel
	.section	.text._ZN9rocsparseL30bsrgemm_fill_block_per_row_2x2ILj256ELj16ELj64ELj137EllfEEv20rocsparse_direction_T4_S2_PKS2_S4_NS_24const_host_device_scalarIT5_EEPKT3_S4_PKS6_SA_S4_SC_S7_SA_S4_SC_SA_PS2_PS6_21rocsparse_index_base_SF_SF_SF_bbb,"axG",@progbits,_ZN9rocsparseL30bsrgemm_fill_block_per_row_2x2ILj256ELj16ELj64ELj137EllfEEv20rocsparse_direction_T4_S2_PKS2_S4_NS_24const_host_device_scalarIT5_EEPKT3_S4_PKS6_SA_S4_SC_S7_SA_S4_SC_SA_PS2_PS6_21rocsparse_index_base_SF_SF_SF_bbb,comdat
.Lfunc_end90:
	.size	_ZN9rocsparseL30bsrgemm_fill_block_per_row_2x2ILj256ELj16ELj64ELj137EllfEEv20rocsparse_direction_T4_S2_PKS2_S4_NS_24const_host_device_scalarIT5_EEPKT3_S4_PKS6_SA_S4_SC_S7_SA_S4_SC_SA_PS2_PS6_21rocsparse_index_base_SF_SF_SF_bbb, .Lfunc_end90-_ZN9rocsparseL30bsrgemm_fill_block_per_row_2x2ILj256ELj16ELj64ELj137EllfEEv20rocsparse_direction_T4_S2_PKS2_S4_NS_24const_host_device_scalarIT5_EEPKT3_S4_PKS6_SA_S4_SC_S7_SA_S4_SC_SA_PS2_PS6_21rocsparse_index_base_SF_SF_SF_bbb
                                        ; -- End function
	.section	.AMDGPU.csdata,"",@progbits
; Kernel info:
; codeLenInByte = 5084
; NumSgprs: 55
; NumVgprs: 34
; NumAgprs: 0
; TotalNumVgprs: 34
; ScratchSize: 0
; MemoryBound: 0
; FloatMode: 240
; IeeeMode: 1
; LDSByteSize: 0 bytes/workgroup (compile time only)
; SGPRBlocks: 6
; VGPRBlocks: 4
; NumSGPRsForWavesPerEU: 55
; NumVGPRsForWavesPerEU: 34
; AccumOffset: 36
; Occupancy: 8
; WaveLimiterHint : 1
; COMPUTE_PGM_RSRC2:SCRATCH_EN: 0
; COMPUTE_PGM_RSRC2:USER_SGPR: 6
; COMPUTE_PGM_RSRC2:TRAP_HANDLER: 0
; COMPUTE_PGM_RSRC2:TGID_X_EN: 1
; COMPUTE_PGM_RSRC2:TGID_Y_EN: 0
; COMPUTE_PGM_RSRC2:TGID_Z_EN: 0
; COMPUTE_PGM_RSRC2:TIDIG_COMP_CNT: 0
; COMPUTE_PGM_RSRC3_GFX90A:ACCUM_OFFSET: 8
; COMPUTE_PGM_RSRC3_GFX90A:TG_SPLIT: 0
	.section	.text._ZN9rocsparseL30bsrgemm_fill_block_per_row_2x2ILj256ELj16ELj128ELj137EllfEEv20rocsparse_direction_T4_S2_PKS2_S4_NS_24const_host_device_scalarIT5_EEPKT3_S4_PKS6_SA_S4_SC_S7_SA_S4_SC_SA_PS2_PS6_21rocsparse_index_base_SF_SF_SF_bbb,"axG",@progbits,_ZN9rocsparseL30bsrgemm_fill_block_per_row_2x2ILj256ELj16ELj128ELj137EllfEEv20rocsparse_direction_T4_S2_PKS2_S4_NS_24const_host_device_scalarIT5_EEPKT3_S4_PKS6_SA_S4_SC_S7_SA_S4_SC_SA_PS2_PS6_21rocsparse_index_base_SF_SF_SF_bbb,comdat
	.globl	_ZN9rocsparseL30bsrgemm_fill_block_per_row_2x2ILj256ELj16ELj128ELj137EllfEEv20rocsparse_direction_T4_S2_PKS2_S4_NS_24const_host_device_scalarIT5_EEPKT3_S4_PKS6_SA_S4_SC_S7_SA_S4_SC_SA_PS2_PS6_21rocsparse_index_base_SF_SF_SF_bbb ; -- Begin function _ZN9rocsparseL30bsrgemm_fill_block_per_row_2x2ILj256ELj16ELj128ELj137EllfEEv20rocsparse_direction_T4_S2_PKS2_S4_NS_24const_host_device_scalarIT5_EEPKT3_S4_PKS6_SA_S4_SC_S7_SA_S4_SC_SA_PS2_PS6_21rocsparse_index_base_SF_SF_SF_bbb
	.p2align	8
	.type	_ZN9rocsparseL30bsrgemm_fill_block_per_row_2x2ILj256ELj16ELj128ELj137EllfEEv20rocsparse_direction_T4_S2_PKS2_S4_NS_24const_host_device_scalarIT5_EEPKT3_S4_PKS6_SA_S4_SC_S7_SA_S4_SC_SA_PS2_PS6_21rocsparse_index_base_SF_SF_SF_bbb,@function
_ZN9rocsparseL30bsrgemm_fill_block_per_row_2x2ILj256ELj16ELj128ELj137EllfEEv20rocsparse_direction_T4_S2_PKS2_S4_NS_24const_host_device_scalarIT5_EEPKT3_S4_PKS6_SA_S4_SC_S7_SA_S4_SC_SA_PS2_PS6_21rocsparse_index_base_SF_SF_SF_bbb: ; @_ZN9rocsparseL30bsrgemm_fill_block_per_row_2x2ILj256ELj16ELj128ELj137EllfEEv20rocsparse_direction_T4_S2_PKS2_S4_NS_24const_host_device_scalarIT5_EEPKT3_S4_PKS6_SA_S4_SC_S7_SA_S4_SC_SA_PS2_PS6_21rocsparse_index_base_SF_SF_SF_bbb
; %bb.0:
	s_load_dword s7, s[4:5], 0xa8
	s_load_dwordx2 s[2:3], s[4:5], 0x28
	s_load_dwordx2 s[0:1], s[4:5], 0x60
	s_waitcnt lgkmcnt(0)
	s_bitcmp1_b32 s7, 0
	s_cselect_b64 s[8:9], -1, 0
	s_bitcmp1_b32 s7, 16
	s_cselect_b64 s[10:11], -1, 0
	s_xor_b64 s[12:13], s[8:9], -1
	s_or_b64 s[12:13], s[12:13], s[10:11]
	s_and_b64 vcc, exec, s[12:13]
	s_cbranch_vccnz .LBB91_2
; %bb.1:
	s_load_dword s2, s[2:3], 0x0
	s_waitcnt lgkmcnt(0)
	v_mov_b32_e32 v11, s2
	s_branch .LBB91_3
.LBB91_2:
	v_mov_b32_e32 v1, s2
	v_cndmask_b32_e64 v11, 0, v1, s[8:9]
.LBB91_3:
	s_bitcmp1_b32 s7, 8
	s_cselect_b64 s[2:3], -1, 0
	s_xor_b64 s[12:13], s[2:3], -1
	s_or_b64 s[10:11], s[12:13], s[10:11]
	s_and_b64 vcc, exec, s[10:11]
	s_cbranch_vccnz .LBB91_5
; %bb.4:
	s_load_dword s0, s[0:1], 0x0
	s_waitcnt lgkmcnt(0)
	v_mov_b32_e32 v16, s0
	s_branch .LBB91_6
.LBB91_5:
	v_mov_b32_e32 v1, s0
	v_cndmask_b32_e64 v16, 0, v1, s[2:3]
.LBB91_6:
	s_load_dwordx4 s[36:39], s[4:5], 0x98
	s_load_dwordx2 s[10:11], s[4:5], 0x10
	s_movk_i32 s0, 0x80
	v_cmp_gt_u32_e64 s[0:1], s0, v0
	v_lshl_add_u32 v1, v0, 3, 0
	s_and_saveexec_b64 s[12:13], s[0:1]
	s_cbranch_execz .LBB91_8
; %bb.7:
	s_waitcnt lgkmcnt(0)
	v_pk_mov_b32 v[2:3], s[10:11], s[10:11] op_sel:[0,1]
	ds_write_b64 v1, v[2:3]
.LBB91_8:
	s_or_b64 exec, exec, s[12:13]
	s_load_dwordx4 s[28:31], s[4:5], 0x88
	s_load_dwordx8 s[12:19], s[4:5], 0x68
	s_load_dwordx4 s[40:43], s[4:5], 0x50
	s_load_dwordx4 s[44:47], s[4:5], 0x18
	s_load_dwordx8 s[20:27], s[4:5], 0x30
	s_movk_i32 s7, 0x200
	v_cmp_gt_u32_e32 vcc, s7, v0
	s_and_saveexec_b64 s[34:35], vcc
	s_cbranch_execz .LBB91_15
; %bb.9:
	v_lshl_add_u32 v2, v0, 2, 0
	s_mov_b32 s7, 0
	v_add_u32_e32 v2, 0x400, v2
	s_mov_b64 s[48:49], 0
	v_mov_b32_e32 v3, 0
	s_branch .LBB91_11
.LBB91_10:                              ;   in Loop: Header=BB91_11 Depth=1
	s_or_b64 exec, exec, s[52:53]
	s_add_i32 s7, s7, 2
	v_cmp_eq_u32_e64 s[50:51], 2, s7
	s_or_b64 s[48:49], s[50:51], s[48:49]
	v_add_u32_e32 v2, 0x800, v2
	s_andn2_b64 exec, exec, s[48:49]
	s_cbranch_execz .LBB91_15
.LBB91_11:                              ; =>This Inner Loop Header: Depth=1
	s_or_b32 s33, s7, 1
	v_cmp_le_u32_e64 s[50:51], s33, 1
	v_cmp_le_u32_e64 s[54:55], s7, 1
	s_and_saveexec_b64 s[52:53], s[54:55]
	s_cbranch_execz .LBB91_13
; %bb.12:                               ;   in Loop: Header=BB91_11 Depth=1
	ds_write_b32 v2, v3
.LBB91_13:                              ;   in Loop: Header=BB91_11 Depth=1
	s_or_b64 exec, exec, s[52:53]
	s_and_saveexec_b64 s[52:53], s[50:51]
	s_cbranch_execz .LBB91_10
; %bb.14:                               ;   in Loop: Header=BB91_11 Depth=1
	ds_write_b32 v2, v3 offset:1024
	s_branch .LBB91_10
.LBB91_15:
	s_or_b64 exec, exec, s[34:35]
	s_waitcnt lgkmcnt(0)
	s_cmp_eq_u64 s[46:47], 0
	s_mov_b32 s7, 0
	s_barrier
	s_cbranch_scc1 .LBB91_17
; %bb.16:
	s_load_dwordx2 s[34:35], s[44:45], 0x0
	s_waitcnt lgkmcnt(0)
	s_lshl_b64 s[34:35], s[34:35], 3
	s_add_u32 s33, s46, s34
	s_addc_u32 s34, s47, s35
	s_lshl_b64 s[6:7], s[6:7], 3
	s_add_u32 s6, s33, s6
	s_addc_u32 s7, s34, s7
	s_load_dwordx2 s[6:7], s[6:7], 0x0
.LBB91_17:
	s_nop 0
	s_load_dword s33, s[4:5], 0x0
	s_andn2_b64 vcc, exec, s[8:9]
	s_cbranch_vccnz .LBB91_73
; %bb.18:
	s_waitcnt lgkmcnt(0)
	s_lshl_b64 s[4:5], s[6:7], 3
	s_add_u32 s4, s20, s4
	s_addc_u32 s5, s21, s5
	s_load_dwordx4 s[44:47], s[4:5], 0x0
	v_lshrrev_b32_e32 v2, 4, v0
	v_subrev_co_u32_e32 v2, vcc, s36, v2
	v_subb_co_u32_e64 v3, s[8:9], 0, 0, vcc
	s_waitcnt lgkmcnt(0)
	s_sub_u32 s4, s46, s36
	v_mov_b32_e32 v4, s45
	v_add_co_u32_e32 v2, vcc, s44, v2
	s_subb_u32 s5, s47, 0
	v_addc_co_u32_e32 v3, vcc, v4, v3, vcc
	s_mov_b32 s34, 0
	v_cmp_gt_i64_e32 vcc, s[4:5], v[2:3]
	s_and_saveexec_b64 s[8:9], vcc
	s_cbranch_execz .LBB91_72
; %bb.19:
	v_and_b32_e32 v4, 15, v0
	v_subrev_co_u32_e32 v17, vcc, s37, v4
	s_cmp_eq_u32 s33, 0
	v_subb_co_u32_e64 v18, s[20:21], 0, 0, vcc
	s_mov_b32 s56, s36
	s_mov_b32 s57, s37
	;; [unrolled: 1-line block ×3, first 2 shown]
	s_cselect_b32 s59, 1, 2
	s_cselect_b32 s60, 2, 1
	s_mov_b64 s[20:21], 0
	v_mov_b32_e32 v19, s23
	v_mov_b32_e32 v20, s34
	v_mov_b32_e32 v21, s27
	v_mov_b32_e32 v22, s34
	s_branch .LBB91_21
.LBB91_20:                              ;   in Loop: Header=BB91_21 Depth=1
	s_or_b64 exec, exec, s[34:35]
	v_add_co_u32_e32 v2, vcc, 16, v2
	v_addc_co_u32_e32 v3, vcc, 0, v3, vcc
	v_cmp_le_i64_e32 vcc, s[4:5], v[2:3]
	s_or_b64 s[20:21], vcc, s[20:21]
	s_andn2_b64 exec, exec, s[20:21]
	s_cbranch_execz .LBB91_72
.LBB91_21:                              ; =>This Loop Header: Depth=1
                                        ;     Child Loop BB91_24 Depth 2
                                        ;       Child Loop BB91_26 Depth 3
                                        ;       Child Loop BB91_38 Depth 3
	;; [unrolled: 1-line block ×4, first 2 shown]
	v_lshlrev_b64 v[4:5], 3, v[2:3]
	v_add_co_u32_e32 v4, vcc, s22, v4
	v_addc_co_u32_e32 v5, vcc, v19, v5, vcc
	global_load_dwordx2 v[4:5], v[4:5], off
	s_waitcnt vmcnt(0)
	v_subrev_co_u32_e32 v4, vcc, s56, v4
	v_subb_co_u32_e32 v5, vcc, v5, v20, vcc
	v_lshlrev_b64 v[4:5], 3, v[4:5]
	v_add_co_u32_e32 v4, vcc, s26, v4
	v_addc_co_u32_e32 v5, vcc, v21, v5, vcc
	global_load_dwordx4 v[6:9], v[4:5], off
	s_waitcnt vmcnt(0)
	v_subrev_co_u32_e32 v4, vcc, s57, v8
	v_subb_co_u32_e32 v5, vcc, v9, v22, vcc
	v_add_co_u32_e32 v6, vcc, v6, v17
	v_addc_co_u32_e32 v7, vcc, v7, v18, vcc
	v_cmp_lt_i64_e32 vcc, v[6:7], v[4:5]
	s_and_saveexec_b64 s[34:35], vcc
	s_cbranch_execz .LBB91_20
; %bb.22:                               ;   in Loop: Header=BB91_21 Depth=1
	v_lshlrev_b64 v[8:9], 2, v[2:3]
	v_lshlrev_b64 v[14:15], 4, v[2:3]
	v_or_b32_e32 v13, 0, v9
	v_or_b32_e32 v12, s59, v8
	;; [unrolled: 1-line block ×4, first 2 shown]
	v_mov_b32_e32 v10, s25
	v_add_co_u32_e32 v14, vcc, s24, v14
	v_addc_co_u32_e32 v15, vcc, v10, v15, vcc
	v_lshlrev_b64 v[8:9], 2, v[8:9]
	v_add_co_u32_e32 v8, vcc, s24, v8
	v_addc_co_u32_e32 v9, vcc, v10, v9, vcc
	v_lshlrev_b64 v[12:13], 2, v[12:13]
	v_add_co_u32_e32 v12, vcc, s24, v12
	v_addc_co_u32_e32 v13, vcc, v10, v13, vcc
	global_load_dword v10, v[14:15], off offset:12
	global_load_dword v24, v[8:9], off
	global_load_dword v25, v[12:13], off
	global_load_dword v26, v[14:15], off
	s_mov_b64 s[36:37], 0
	s_waitcnt vmcnt(3)
	v_mul_f32_e32 v23, v11, v10
	s_waitcnt vmcnt(2)
	v_mul_f32_e32 v24, v11, v24
	;; [unrolled: 2-line block ×4, first 2 shown]
	s_branch .LBB91_24
.LBB91_23:                              ;   in Loop: Header=BB91_24 Depth=2
	s_or_b64 exec, exec, s[44:45]
	v_add_co_u32_e32 v6, vcc, 16, v6
	v_addc_co_u32_e32 v7, vcc, 0, v7, vcc
	v_cmp_ge_i64_e32 vcc, v[6:7], v[4:5]
	s_or_b64 s[36:37], vcc, s[36:37]
	s_andn2_b64 exec, exec, s[36:37]
	s_cbranch_execz .LBB91_20
.LBB91_24:                              ;   Parent Loop BB91_21 Depth=1
                                        ; =>  This Loop Header: Depth=2
                                        ;       Child Loop BB91_26 Depth 3
                                        ;       Child Loop BB91_38 Depth 3
	;; [unrolled: 1-line block ×4, first 2 shown]
	v_lshlrev_b64 v[8:9], 3, v[6:7]
	v_mov_b32_e32 v10, s41
	v_add_co_u32_e32 v8, vcc, s40, v8
	v_addc_co_u32_e32 v9, vcc, v10, v9, vcc
	v_lshlrev_b64 v[12:13], 2, v[6:7]
	v_lshlrev_b64 v[28:29], 4, v[6:7]
	v_or_b32_e32 v15, 0, v13
	v_or_b32_e32 v14, s59, v12
	;; [unrolled: 1-line block ×4, first 2 shown]
	v_mov_b32_e32 v10, s43
	v_add_co_u32_e32 v32, vcc, s42, v28
	v_addc_co_u32_e32 v33, vcc, v10, v29, vcc
	v_lshlrev_b64 v[12:13], 2, v[12:13]
	global_load_dwordx2 v[8:9], v[8:9], off
	v_add_co_u32_e32 v12, vcc, s42, v12
	v_lshlrev_b64 v[14:15], 2, v[14:15]
	v_addc_co_u32_e32 v13, vcc, v10, v13, vcc
	global_load_dword v29, v[32:33], off
	global_load_dword v30, v[12:13], off
	v_add_co_u32_e32 v12, vcc, s42, v14
	v_addc_co_u32_e32 v13, vcc, v10, v15, vcc
	global_load_dword v27, v[12:13], off
	global_load_dword v28, v[32:33], off offset:12
	v_mov_b32_e32 v10, s58
	s_mov_b64 s[44:45], 0
	s_waitcnt vmcnt(4)
	v_subrev_co_u32_e32 v8, vcc, s57, v8
	v_subb_co_u32_e32 v9, vcc, v9, v10, vcc
	v_lshl_add_u32 v10, v8, 3, v8
	v_and_b32_e32 v10, 0x7f, v10
	v_pk_mov_b32 v[12:13], v[10:11], v[10:11] op_sel:[0,1]
	s_waitcnt vmcnt(2)
	v_mul_f32_e32 v31, v25, v30
	v_fmac_f32_e32 v31, v26, v29
	s_branch .LBB91_26
.LBB91_25:                              ;   in Loop: Header=BB91_26 Depth=3
	s_or_b64 exec, exec, s[46:47]
	s_xor_b64 s[46:47], s[48:49], -1
	s_and_b64 s[46:47], exec, s[46:47]
	s_or_b64 s[44:45], s[46:47], s[44:45]
	s_andn2_b64 exec, exec, s[44:45]
	s_cbranch_execz .LBB91_36
.LBB91_26:                              ;   Parent Loop BB91_21 Depth=1
                                        ;     Parent Loop BB91_24 Depth=2
                                        ; =>    This Inner Loop Header: Depth=3
	v_lshl_add_u32 v13, v12, 3, 0
	ds_read_b64 v[14:15], v13
                                        ; implicit-def: $sgpr48_sgpr49
	s_waitcnt lgkmcnt(0)
	v_cmp_ne_u64_e32 vcc, v[14:15], v[8:9]
	s_and_saveexec_b64 s[46:47], vcc
	s_xor_b64 s[46:47], exec, s[46:47]
	s_cbranch_execz .LBB91_34
; %bb.27:                               ;   in Loop: Header=BB91_26 Depth=3
	v_cmp_ne_u64_e32 vcc, s[10:11], v[14:15]
                                        ; implicit-def: $sgpr48_sgpr49
	s_and_saveexec_b64 s[50:51], vcc
	s_xor_b64 s[50:51], exec, s[50:51]
; %bb.28:                               ;   in Loop: Header=BB91_26 Depth=3
	v_add_u32_e32 v12, 1, v12
	v_and_b32_e32 v12, 0x7f, v12
	s_mov_b64 s[48:49], -1
                                        ; implicit-def: $vgpr13
; %bb.29:                               ;   in Loop: Header=BB91_26 Depth=3
	s_andn2_saveexec_b64 s[50:51], s[50:51]
	s_cbranch_execz .LBB91_33
; %bb.30:                               ;   in Loop: Header=BB91_26 Depth=3
	v_pk_mov_b32 v[14:15], s[10:11], s[10:11] op_sel:[0,1]
	ds_cmpst_rtn_b64 v[14:15], v13, v[14:15], v[8:9]
	s_mov_b64 s[52:53], -1
	s_waitcnt lgkmcnt(0)
	v_cmp_eq_u64_e32 vcc, s[10:11], v[14:15]
	s_and_saveexec_b64 s[54:55], vcc
	s_cbranch_execz .LBB91_32
; %bb.31:                               ;   in Loop: Header=BB91_26 Depth=3
	v_lshl_add_u32 v13, v12, 3, v13
	ds_add_f32 v13, v31 offset:1024
	s_xor_b64 s[52:53], exec, -1
.LBB91_32:                              ;   in Loop: Header=BB91_26 Depth=3
	s_or_b64 exec, exec, s[54:55]
	s_andn2_b64 s[48:49], s[48:49], exec
	s_and_b64 s[52:53], s[52:53], exec
	s_or_b64 s[48:49], s[48:49], s[52:53]
.LBB91_33:                              ;   in Loop: Header=BB91_26 Depth=3
	s_or_b64 exec, exec, s[50:51]
	s_and_b64 s[48:49], s[48:49], exec
                                        ; implicit-def: $vgpr13
.LBB91_34:                              ;   in Loop: Header=BB91_26 Depth=3
	s_andn2_saveexec_b64 s[46:47], s[46:47]
	s_cbranch_execz .LBB91_25
; %bb.35:                               ;   in Loop: Header=BB91_26 Depth=3
	v_lshl_add_u32 v13, v12, 3, v13
	ds_add_f32 v13, v31 offset:1024
	s_andn2_b64 s[48:49], s[48:49], exec
	s_branch .LBB91_25
.LBB91_36:                              ;   in Loop: Header=BB91_24 Depth=2
	s_or_b64 exec, exec, s[44:45]
	s_waitcnt vmcnt(0)
	v_mul_f32_e32 v31, v25, v28
	v_fmac_f32_e32 v31, v26, v27
	s_mov_b64 s[44:45], 0
	v_pk_mov_b32 v[12:13], v[10:11], v[10:11] op_sel:[0,1]
	s_branch .LBB91_38
.LBB91_37:                              ;   in Loop: Header=BB91_38 Depth=3
	s_or_b64 exec, exec, s[46:47]
	s_xor_b64 s[46:47], s[48:49], -1
	s_and_b64 s[46:47], exec, s[46:47]
	s_or_b64 s[44:45], s[46:47], s[44:45]
	s_andn2_b64 exec, exec, s[44:45]
	s_cbranch_execz .LBB91_48
.LBB91_38:                              ;   Parent Loop BB91_21 Depth=1
                                        ;     Parent Loop BB91_24 Depth=2
                                        ; =>    This Inner Loop Header: Depth=3
	v_lshl_add_u32 v13, v12, 3, 0
	ds_read_b64 v[14:15], v13
                                        ; implicit-def: $sgpr48_sgpr49
	s_waitcnt lgkmcnt(0)
	v_cmp_ne_u64_e32 vcc, v[14:15], v[8:9]
	s_and_saveexec_b64 s[46:47], vcc
	s_xor_b64 s[46:47], exec, s[46:47]
	s_cbranch_execz .LBB91_46
; %bb.39:                               ;   in Loop: Header=BB91_38 Depth=3
	v_cmp_ne_u64_e32 vcc, s[10:11], v[14:15]
                                        ; implicit-def: $sgpr48_sgpr49
	s_and_saveexec_b64 s[50:51], vcc
	s_xor_b64 s[50:51], exec, s[50:51]
; %bb.40:                               ;   in Loop: Header=BB91_38 Depth=3
	v_add_u32_e32 v12, 1, v12
	v_and_b32_e32 v12, 0x7f, v12
	s_mov_b64 s[48:49], -1
                                        ; implicit-def: $vgpr13
; %bb.41:                               ;   in Loop: Header=BB91_38 Depth=3
	s_andn2_saveexec_b64 s[50:51], s[50:51]
	s_cbranch_execz .LBB91_45
; %bb.42:                               ;   in Loop: Header=BB91_38 Depth=3
	v_pk_mov_b32 v[14:15], s[10:11], s[10:11] op_sel:[0,1]
	ds_cmpst_rtn_b64 v[14:15], v13, v[14:15], v[8:9]
	s_mov_b64 s[52:53], -1
	s_waitcnt lgkmcnt(0)
	v_cmp_eq_u64_e32 vcc, s[10:11], v[14:15]
	s_and_saveexec_b64 s[54:55], vcc
	s_cbranch_execz .LBB91_44
; %bb.43:                               ;   in Loop: Header=BB91_38 Depth=3
	v_lshl_add_u32 v13, v12, 3, v13
	ds_add_f32 v13, v31 offset:1028
	s_xor_b64 s[52:53], exec, -1
.LBB91_44:                              ;   in Loop: Header=BB91_38 Depth=3
	s_or_b64 exec, exec, s[54:55]
	s_andn2_b64 s[48:49], s[48:49], exec
	s_and_b64 s[52:53], s[52:53], exec
	s_or_b64 s[48:49], s[48:49], s[52:53]
.LBB91_45:                              ;   in Loop: Header=BB91_38 Depth=3
	s_or_b64 exec, exec, s[50:51]
	s_and_b64 s[48:49], s[48:49], exec
                                        ; implicit-def: $vgpr13
.LBB91_46:                              ;   in Loop: Header=BB91_38 Depth=3
	s_andn2_saveexec_b64 s[46:47], s[46:47]
	s_cbranch_execz .LBB91_37
; %bb.47:                               ;   in Loop: Header=BB91_38 Depth=3
	v_lshl_add_u32 v13, v12, 3, v13
	ds_add_f32 v13, v31 offset:1028
	s_andn2_b64 s[48:49], s[48:49], exec
	s_branch .LBB91_37
.LBB91_48:                              ;   in Loop: Header=BB91_24 Depth=2
	s_or_b64 exec, exec, s[44:45]
	v_mul_f32_e32 v30, v23, v30
	v_fmac_f32_e32 v30, v24, v29
	s_mov_b64 s[44:45], 0
	v_pk_mov_b32 v[12:13], v[10:11], v[10:11] op_sel:[0,1]
	s_branch .LBB91_50
.LBB91_49:                              ;   in Loop: Header=BB91_50 Depth=3
	s_or_b64 exec, exec, s[46:47]
	s_xor_b64 s[46:47], s[48:49], -1
	s_and_b64 s[46:47], exec, s[46:47]
	s_or_b64 s[44:45], s[46:47], s[44:45]
	s_andn2_b64 exec, exec, s[44:45]
	s_cbranch_execz .LBB91_60
.LBB91_50:                              ;   Parent Loop BB91_21 Depth=1
                                        ;     Parent Loop BB91_24 Depth=2
                                        ; =>    This Inner Loop Header: Depth=3
	v_lshl_add_u32 v13, v12, 3, 0
	ds_read_b64 v[14:15], v13
                                        ; implicit-def: $sgpr48_sgpr49
	s_waitcnt lgkmcnt(0)
	v_cmp_ne_u64_e32 vcc, v[14:15], v[8:9]
	s_and_saveexec_b64 s[46:47], vcc
	s_xor_b64 s[46:47], exec, s[46:47]
	s_cbranch_execz .LBB91_58
; %bb.51:                               ;   in Loop: Header=BB91_50 Depth=3
	v_cmp_ne_u64_e32 vcc, s[10:11], v[14:15]
                                        ; implicit-def: $sgpr48_sgpr49
	s_and_saveexec_b64 s[50:51], vcc
	s_xor_b64 s[50:51], exec, s[50:51]
; %bb.52:                               ;   in Loop: Header=BB91_50 Depth=3
	v_add_u32_e32 v12, 1, v12
	v_and_b32_e32 v12, 0x7f, v12
	s_mov_b64 s[48:49], -1
                                        ; implicit-def: $vgpr13
; %bb.53:                               ;   in Loop: Header=BB91_50 Depth=3
	s_andn2_saveexec_b64 s[50:51], s[50:51]
	s_cbranch_execz .LBB91_57
; %bb.54:                               ;   in Loop: Header=BB91_50 Depth=3
	v_pk_mov_b32 v[14:15], s[10:11], s[10:11] op_sel:[0,1]
	ds_cmpst_rtn_b64 v[14:15], v13, v[14:15], v[8:9]
	s_mov_b64 s[52:53], -1
	s_waitcnt lgkmcnt(0)
	v_cmp_eq_u64_e32 vcc, s[10:11], v[14:15]
	s_and_saveexec_b64 s[54:55], vcc
	s_cbranch_execz .LBB91_56
; %bb.55:                               ;   in Loop: Header=BB91_50 Depth=3
	v_lshl_add_u32 v13, v12, 3, v13
	ds_add_f32 v13, v30 offset:1032
	s_xor_b64 s[52:53], exec, -1
.LBB91_56:                              ;   in Loop: Header=BB91_50 Depth=3
	s_or_b64 exec, exec, s[54:55]
	s_andn2_b64 s[48:49], s[48:49], exec
	s_and_b64 s[52:53], s[52:53], exec
	s_or_b64 s[48:49], s[48:49], s[52:53]
.LBB91_57:                              ;   in Loop: Header=BB91_50 Depth=3
	s_or_b64 exec, exec, s[50:51]
	s_and_b64 s[48:49], s[48:49], exec
                                        ; implicit-def: $vgpr13
.LBB91_58:                              ;   in Loop: Header=BB91_50 Depth=3
	s_andn2_saveexec_b64 s[46:47], s[46:47]
	s_cbranch_execz .LBB91_49
; %bb.59:                               ;   in Loop: Header=BB91_50 Depth=3
	v_lshl_add_u32 v13, v12, 3, v13
	ds_add_f32 v13, v30 offset:1032
	s_andn2_b64 s[48:49], s[48:49], exec
	s_branch .LBB91_49
.LBB91_60:                              ;   in Loop: Header=BB91_24 Depth=2
	s_or_b64 exec, exec, s[44:45]
	v_mul_f32_e32 v14, v23, v28
	v_fmac_f32_e32 v14, v24, v27
	s_mov_b64 s[44:45], 0
	s_branch .LBB91_62
.LBB91_61:                              ;   in Loop: Header=BB91_62 Depth=3
	s_or_b64 exec, exec, s[46:47]
	s_xor_b64 s[46:47], s[48:49], -1
	s_and_b64 s[46:47], exec, s[46:47]
	s_or_b64 s[44:45], s[46:47], s[44:45]
	s_andn2_b64 exec, exec, s[44:45]
	s_cbranch_execz .LBB91_23
.LBB91_62:                              ;   Parent Loop BB91_21 Depth=1
                                        ;     Parent Loop BB91_24 Depth=2
                                        ; =>    This Inner Loop Header: Depth=3
	v_lshl_add_u32 v15, v10, 3, 0
	ds_read_b64 v[12:13], v15
                                        ; implicit-def: $sgpr48_sgpr49
	s_waitcnt lgkmcnt(0)
	v_cmp_ne_u64_e32 vcc, v[12:13], v[8:9]
	s_and_saveexec_b64 s[46:47], vcc
	s_xor_b64 s[46:47], exec, s[46:47]
	s_cbranch_execz .LBB91_70
; %bb.63:                               ;   in Loop: Header=BB91_62 Depth=3
	v_cmp_ne_u64_e32 vcc, s[10:11], v[12:13]
                                        ; implicit-def: $sgpr48_sgpr49
	s_and_saveexec_b64 s[50:51], vcc
	s_xor_b64 s[50:51], exec, s[50:51]
; %bb.64:                               ;   in Loop: Header=BB91_62 Depth=3
	v_add_u32_e32 v10, 1, v10
	v_and_b32_e32 v10, 0x7f, v10
	s_mov_b64 s[48:49], -1
                                        ; implicit-def: $vgpr15
; %bb.65:                               ;   in Loop: Header=BB91_62 Depth=3
	s_andn2_saveexec_b64 s[50:51], s[50:51]
	s_cbranch_execz .LBB91_69
; %bb.66:                               ;   in Loop: Header=BB91_62 Depth=3
	v_pk_mov_b32 v[12:13], s[10:11], s[10:11] op_sel:[0,1]
	ds_cmpst_rtn_b64 v[12:13], v15, v[12:13], v[8:9]
	s_mov_b64 s[52:53], -1
	s_waitcnt lgkmcnt(0)
	v_cmp_eq_u64_e32 vcc, s[10:11], v[12:13]
	s_and_saveexec_b64 s[54:55], vcc
	s_cbranch_execz .LBB91_68
; %bb.67:                               ;   in Loop: Header=BB91_62 Depth=3
	v_lshl_add_u32 v12, v10, 3, v15
	ds_add_f32 v12, v14 offset:1036
	s_xor_b64 s[52:53], exec, -1
.LBB91_68:                              ;   in Loop: Header=BB91_62 Depth=3
	s_or_b64 exec, exec, s[54:55]
	s_andn2_b64 s[48:49], s[48:49], exec
	s_and_b64 s[52:53], s[52:53], exec
	s_or_b64 s[48:49], s[48:49], s[52:53]
.LBB91_69:                              ;   in Loop: Header=BB91_62 Depth=3
	s_or_b64 exec, exec, s[50:51]
	s_and_b64 s[48:49], s[48:49], exec
                                        ; implicit-def: $vgpr15
.LBB91_70:                              ;   in Loop: Header=BB91_62 Depth=3
	s_andn2_saveexec_b64 s[46:47], s[46:47]
	s_cbranch_execz .LBB91_61
; %bb.71:                               ;   in Loop: Header=BB91_62 Depth=3
	v_lshl_add_u32 v12, v10, 3, v15
	ds_add_f32 v12, v14 offset:1036
	s_andn2_b64 s[48:49], s[48:49], exec
	s_branch .LBB91_61
.LBB91_72:
	s_or_b64 exec, exec, s[8:9]
.LBB91_73:
	s_andn2_b64 vcc, exec, s[2:3]
	s_waitcnt lgkmcnt(0)
	s_barrier
	s_cbranch_vccnz .LBB91_126
; %bb.74:
	s_lshl_b64 s[2:3], s[6:7], 3
	s_add_u32 s2, s12, s2
	s_addc_u32 s3, s13, s3
	s_load_dwordx4 s[20:23], s[2:3], 0x0
	v_subrev_co_u32_e32 v2, vcc, s39, v0
	v_subb_co_u32_e64 v3, s[4:5], 0, 0, vcc
	s_waitcnt lgkmcnt(0)
	s_sub_u32 s2, s22, s39
	v_mov_b32_e32 v4, s21
	v_add_co_u32_e32 v2, vcc, s20, v2
	s_subb_u32 s3, s23, 0
	v_addc_co_u32_e32 v3, vcc, v4, v3, vcc
	s_mov_b32 s12, 0
	v_cmp_gt_i64_e32 vcc, s[2:3], v[2:3]
	s_and_saveexec_b64 s[4:5], vcc
	s_cbranch_execz .LBB91_125
; %bb.75:
	s_cmp_eq_u32 s33, 0
	s_mov_b32 s36, s39
	s_cselect_b32 s37, 1, 2
	s_cselect_b32 s39, 2, 1
	s_mov_b64 s[8:9], 0
	v_mov_b32_e32 v7, s17
	v_mov_b32_e32 v12, s15
	;; [unrolled: 1-line block ×3, first 2 shown]
	s_branch .LBB91_77
.LBB91_76:                              ;   in Loop: Header=BB91_77 Depth=1
	s_or_b64 exec, exec, s[12:13]
	v_add_co_u32_e32 v2, vcc, 0x100, v2
	v_addc_co_u32_e32 v3, vcc, 0, v3, vcc
	v_cmp_le_i64_e32 vcc, s[2:3], v[2:3]
	s_or_b64 s[8:9], vcc, s[8:9]
	s_andn2_b64 exec, exec, s[8:9]
	s_cbranch_execz .LBB91_125
.LBB91_77:                              ; =>This Loop Header: Depth=1
                                        ;     Child Loop BB91_79 Depth 2
                                        ;     Child Loop BB91_91 Depth 2
	;; [unrolled: 1-line block ×4, first 2 shown]
	v_lshlrev_b64 v[4:5], 2, v[2:3]
	v_lshlrev_b64 v[10:11], 4, v[2:3]
	v_or_b32_e32 v9, 0, v5
	v_or_b32_e32 v8, s37, v4
	v_add_co_u32_e32 v10, vcc, s16, v10
	v_addc_co_u32_e32 v11, vcc, v7, v11, vcc
	v_lshlrev_b64 v[8:9], 2, v[8:9]
	v_add_co_u32_e32 v8, vcc, s16, v8
	v_addc_co_u32_e32 v9, vcc, v7, v9, vcc
	v_lshlrev_b64 v[14:15], 3, v[2:3]
	v_add_co_u32_e32 v14, vcc, s14, v14
	v_or_b32_e32 v5, 0, v5
	v_or_b32_e32 v4, s39, v4
	v_addc_co_u32_e32 v15, vcc, v12, v15, vcc
	v_lshlrev_b64 v[4:5], 2, v[4:5]
	global_load_dwordx2 v[20:21], v[14:15], off
	global_load_dword v6, v[10:11], off
	v_add_co_u32_e32 v4, vcc, s16, v4
	v_addc_co_u32_e32 v5, vcc, v7, v5, vcc
	global_load_dword v15, v[4:5], off
	global_load_dword v17, v[8:9], off
	global_load_dword v14, v[10:11], off offset:12
	s_mov_b64 s[12:13], 0
	s_waitcnt vmcnt(4)
	v_subrev_co_u32_e32 v4, vcc, s36, v20
	s_waitcnt vmcnt(3)
	v_mul_f32_e32 v18, v16, v6
	v_lshl_add_u32 v6, v4, 3, v4
	v_and_b32_e32 v6, 0x7f, v6
	v_subb_co_u32_e32 v5, vcc, v21, v13, vcc
	v_pk_mov_b32 v[8:9], v[6:7], v[6:7] op_sel:[0,1]
	s_branch .LBB91_79
.LBB91_78:                              ;   in Loop: Header=BB91_79 Depth=2
	s_or_b64 exec, exec, s[20:21]
	s_xor_b64 s[20:21], s[22:23], -1
	s_and_b64 s[20:21], exec, s[20:21]
	s_or_b64 s[12:13], s[20:21], s[12:13]
	s_andn2_b64 exec, exec, s[12:13]
	s_cbranch_execz .LBB91_89
.LBB91_79:                              ;   Parent Loop BB91_77 Depth=1
                                        ; =>  This Inner Loop Header: Depth=2
	v_lshl_add_u32 v9, v8, 3, 0
	ds_read_b64 v[10:11], v9
                                        ; implicit-def: $sgpr22_sgpr23
	s_waitcnt lgkmcnt(0)
	v_cmp_ne_u64_e32 vcc, v[10:11], v[4:5]
	s_and_saveexec_b64 s[20:21], vcc
	s_xor_b64 s[20:21], exec, s[20:21]
	s_cbranch_execz .LBB91_87
; %bb.80:                               ;   in Loop: Header=BB91_79 Depth=2
	v_cmp_ne_u64_e32 vcc, s[10:11], v[10:11]
                                        ; implicit-def: $sgpr22_sgpr23
	s_and_saveexec_b64 s[24:25], vcc
	s_xor_b64 s[24:25], exec, s[24:25]
; %bb.81:                               ;   in Loop: Header=BB91_79 Depth=2
	v_add_u32_e32 v8, 1, v8
	v_and_b32_e32 v8, 0x7f, v8
	s_mov_b64 s[22:23], -1
                                        ; implicit-def: $vgpr9
; %bb.82:                               ;   in Loop: Header=BB91_79 Depth=2
	s_andn2_saveexec_b64 s[24:25], s[24:25]
	s_cbranch_execz .LBB91_86
; %bb.83:                               ;   in Loop: Header=BB91_79 Depth=2
	v_pk_mov_b32 v[10:11], s[10:11], s[10:11] op_sel:[0,1]
	ds_cmpst_rtn_b64 v[10:11], v9, v[10:11], v[4:5]
	s_mov_b64 s[26:27], -1
	s_waitcnt lgkmcnt(0)
	v_cmp_eq_u64_e32 vcc, s[10:11], v[10:11]
	s_and_saveexec_b64 s[34:35], vcc
	s_cbranch_execz .LBB91_85
; %bb.84:                               ;   in Loop: Header=BB91_79 Depth=2
	v_lshl_add_u32 v9, v8, 3, v9
	ds_add_f32 v9, v18 offset:1024
	s_xor_b64 s[26:27], exec, -1
.LBB91_85:                              ;   in Loop: Header=BB91_79 Depth=2
	s_or_b64 exec, exec, s[34:35]
	s_andn2_b64 s[22:23], s[22:23], exec
	s_and_b64 s[26:27], s[26:27], exec
	s_or_b64 s[22:23], s[22:23], s[26:27]
.LBB91_86:                              ;   in Loop: Header=BB91_79 Depth=2
	s_or_b64 exec, exec, s[24:25]
	s_and_b64 s[22:23], s[22:23], exec
                                        ; implicit-def: $vgpr9
.LBB91_87:                              ;   in Loop: Header=BB91_79 Depth=2
	s_andn2_saveexec_b64 s[20:21], s[20:21]
	s_cbranch_execz .LBB91_78
; %bb.88:                               ;   in Loop: Header=BB91_79 Depth=2
	v_lshl_add_u32 v9, v8, 3, v9
	ds_add_f32 v9, v18 offset:1024
	s_andn2_b64 s[22:23], s[22:23], exec
	s_branch .LBB91_78
.LBB91_89:                              ;   in Loop: Header=BB91_77 Depth=1
	s_or_b64 exec, exec, s[12:13]
	s_waitcnt vmcnt(1)
	v_mul_f32_e32 v17, v16, v17
	s_mov_b64 s[12:13], 0
	v_pk_mov_b32 v[8:9], v[6:7], v[6:7] op_sel:[0,1]
	s_branch .LBB91_91
.LBB91_90:                              ;   in Loop: Header=BB91_91 Depth=2
	s_or_b64 exec, exec, s[20:21]
	s_xor_b64 s[20:21], s[22:23], -1
	s_and_b64 s[20:21], exec, s[20:21]
	s_or_b64 s[12:13], s[20:21], s[12:13]
	s_andn2_b64 exec, exec, s[12:13]
	s_cbranch_execz .LBB91_101
.LBB91_91:                              ;   Parent Loop BB91_77 Depth=1
                                        ; =>  This Inner Loop Header: Depth=2
	v_lshl_add_u32 v9, v8, 3, 0
	ds_read_b64 v[10:11], v9
                                        ; implicit-def: $sgpr22_sgpr23
	s_waitcnt lgkmcnt(0)
	v_cmp_ne_u64_e32 vcc, v[10:11], v[4:5]
	s_and_saveexec_b64 s[20:21], vcc
	s_xor_b64 s[20:21], exec, s[20:21]
	s_cbranch_execz .LBB91_99
; %bb.92:                               ;   in Loop: Header=BB91_91 Depth=2
	v_cmp_ne_u64_e32 vcc, s[10:11], v[10:11]
                                        ; implicit-def: $sgpr22_sgpr23
	s_and_saveexec_b64 s[24:25], vcc
	s_xor_b64 s[24:25], exec, s[24:25]
; %bb.93:                               ;   in Loop: Header=BB91_91 Depth=2
	v_add_u32_e32 v8, 1, v8
	v_and_b32_e32 v8, 0x7f, v8
	s_mov_b64 s[22:23], -1
                                        ; implicit-def: $vgpr9
; %bb.94:                               ;   in Loop: Header=BB91_91 Depth=2
	s_andn2_saveexec_b64 s[24:25], s[24:25]
	s_cbranch_execz .LBB91_98
; %bb.95:                               ;   in Loop: Header=BB91_91 Depth=2
	v_pk_mov_b32 v[10:11], s[10:11], s[10:11] op_sel:[0,1]
	ds_cmpst_rtn_b64 v[10:11], v9, v[10:11], v[4:5]
	s_mov_b64 s[26:27], -1
	s_waitcnt lgkmcnt(0)
	v_cmp_eq_u64_e32 vcc, s[10:11], v[10:11]
	s_and_saveexec_b64 s[34:35], vcc
	s_cbranch_execz .LBB91_97
; %bb.96:                               ;   in Loop: Header=BB91_91 Depth=2
	v_lshl_add_u32 v9, v8, 3, v9
	ds_add_f32 v9, v17 offset:1028
	s_xor_b64 s[26:27], exec, -1
.LBB91_97:                              ;   in Loop: Header=BB91_91 Depth=2
	s_or_b64 exec, exec, s[34:35]
	s_andn2_b64 s[22:23], s[22:23], exec
	s_and_b64 s[26:27], s[26:27], exec
	s_or_b64 s[22:23], s[22:23], s[26:27]
.LBB91_98:                              ;   in Loop: Header=BB91_91 Depth=2
	s_or_b64 exec, exec, s[24:25]
	s_and_b64 s[22:23], s[22:23], exec
                                        ; implicit-def: $vgpr9
.LBB91_99:                              ;   in Loop: Header=BB91_91 Depth=2
	s_andn2_saveexec_b64 s[20:21], s[20:21]
	s_cbranch_execz .LBB91_90
; %bb.100:                              ;   in Loop: Header=BB91_91 Depth=2
	v_lshl_add_u32 v9, v8, 3, v9
	ds_add_f32 v9, v17 offset:1028
	s_andn2_b64 s[22:23], s[22:23], exec
	s_branch .LBB91_90
.LBB91_101:                             ;   in Loop: Header=BB91_77 Depth=1
	s_or_b64 exec, exec, s[12:13]
	v_mul_f32_e32 v15, v16, v15
	s_mov_b64 s[12:13], 0
	v_pk_mov_b32 v[8:9], v[6:7], v[6:7] op_sel:[0,1]
	s_branch .LBB91_103
.LBB91_102:                             ;   in Loop: Header=BB91_103 Depth=2
	s_or_b64 exec, exec, s[20:21]
	s_xor_b64 s[20:21], s[22:23], -1
	s_and_b64 s[20:21], exec, s[20:21]
	s_or_b64 s[12:13], s[20:21], s[12:13]
	s_andn2_b64 exec, exec, s[12:13]
	s_cbranch_execz .LBB91_113
.LBB91_103:                             ;   Parent Loop BB91_77 Depth=1
                                        ; =>  This Inner Loop Header: Depth=2
	v_lshl_add_u32 v9, v8, 3, 0
	ds_read_b64 v[10:11], v9
                                        ; implicit-def: $sgpr22_sgpr23
	s_waitcnt lgkmcnt(0)
	v_cmp_ne_u64_e32 vcc, v[10:11], v[4:5]
	s_and_saveexec_b64 s[20:21], vcc
	s_xor_b64 s[20:21], exec, s[20:21]
	s_cbranch_execz .LBB91_111
; %bb.104:                              ;   in Loop: Header=BB91_103 Depth=2
	v_cmp_ne_u64_e32 vcc, s[10:11], v[10:11]
                                        ; implicit-def: $sgpr22_sgpr23
	s_and_saveexec_b64 s[24:25], vcc
	s_xor_b64 s[24:25], exec, s[24:25]
; %bb.105:                              ;   in Loop: Header=BB91_103 Depth=2
	v_add_u32_e32 v8, 1, v8
	v_and_b32_e32 v8, 0x7f, v8
	s_mov_b64 s[22:23], -1
                                        ; implicit-def: $vgpr9
; %bb.106:                              ;   in Loop: Header=BB91_103 Depth=2
	s_andn2_saveexec_b64 s[24:25], s[24:25]
	s_cbranch_execz .LBB91_110
; %bb.107:                              ;   in Loop: Header=BB91_103 Depth=2
	v_pk_mov_b32 v[10:11], s[10:11], s[10:11] op_sel:[0,1]
	ds_cmpst_rtn_b64 v[10:11], v9, v[10:11], v[4:5]
	s_mov_b64 s[26:27], -1
	s_waitcnt lgkmcnt(0)
	v_cmp_eq_u64_e32 vcc, s[10:11], v[10:11]
	s_and_saveexec_b64 s[34:35], vcc
	s_cbranch_execz .LBB91_109
; %bb.108:                              ;   in Loop: Header=BB91_103 Depth=2
	v_lshl_add_u32 v9, v8, 3, v9
	ds_add_f32 v9, v15 offset:1032
	s_xor_b64 s[26:27], exec, -1
.LBB91_109:                             ;   in Loop: Header=BB91_103 Depth=2
	s_or_b64 exec, exec, s[34:35]
	s_andn2_b64 s[22:23], s[22:23], exec
	s_and_b64 s[26:27], s[26:27], exec
	s_or_b64 s[22:23], s[22:23], s[26:27]
.LBB91_110:                             ;   in Loop: Header=BB91_103 Depth=2
	s_or_b64 exec, exec, s[24:25]
	s_and_b64 s[22:23], s[22:23], exec
                                        ; implicit-def: $vgpr9
.LBB91_111:                             ;   in Loop: Header=BB91_103 Depth=2
	s_andn2_saveexec_b64 s[20:21], s[20:21]
	s_cbranch_execz .LBB91_102
; %bb.112:                              ;   in Loop: Header=BB91_103 Depth=2
	v_lshl_add_u32 v9, v8, 3, v9
	ds_add_f32 v9, v15 offset:1032
	s_andn2_b64 s[22:23], s[22:23], exec
	s_branch .LBB91_102
.LBB91_113:                             ;   in Loop: Header=BB91_77 Depth=1
	s_or_b64 exec, exec, s[12:13]
	s_waitcnt vmcnt(0)
	v_mul_f32_e32 v10, v16, v14
	s_mov_b64 s[12:13], 0
	s_branch .LBB91_115
.LBB91_114:                             ;   in Loop: Header=BB91_115 Depth=2
	s_or_b64 exec, exec, s[20:21]
	s_xor_b64 s[20:21], s[22:23], -1
	s_and_b64 s[20:21], exec, s[20:21]
	s_or_b64 s[12:13], s[20:21], s[12:13]
	s_andn2_b64 exec, exec, s[12:13]
	s_cbranch_execz .LBB91_76
.LBB91_115:                             ;   Parent Loop BB91_77 Depth=1
                                        ; =>  This Inner Loop Header: Depth=2
	v_lshl_add_u32 v11, v6, 3, 0
	ds_read_b64 v[8:9], v11
                                        ; implicit-def: $sgpr22_sgpr23
	s_waitcnt lgkmcnt(0)
	v_cmp_ne_u64_e32 vcc, v[8:9], v[4:5]
	s_and_saveexec_b64 s[20:21], vcc
	s_xor_b64 s[20:21], exec, s[20:21]
	s_cbranch_execz .LBB91_123
; %bb.116:                              ;   in Loop: Header=BB91_115 Depth=2
	v_cmp_ne_u64_e32 vcc, s[10:11], v[8:9]
                                        ; implicit-def: $sgpr22_sgpr23
	s_and_saveexec_b64 s[24:25], vcc
	s_xor_b64 s[24:25], exec, s[24:25]
; %bb.117:                              ;   in Loop: Header=BB91_115 Depth=2
	v_add_u32_e32 v6, 1, v6
	v_and_b32_e32 v6, 0x7f, v6
	s_mov_b64 s[22:23], -1
                                        ; implicit-def: $vgpr11
; %bb.118:                              ;   in Loop: Header=BB91_115 Depth=2
	s_andn2_saveexec_b64 s[24:25], s[24:25]
	s_cbranch_execz .LBB91_122
; %bb.119:                              ;   in Loop: Header=BB91_115 Depth=2
	v_pk_mov_b32 v[8:9], s[10:11], s[10:11] op_sel:[0,1]
	ds_cmpst_rtn_b64 v[8:9], v11, v[8:9], v[4:5]
	s_mov_b64 s[26:27], -1
	s_waitcnt lgkmcnt(0)
	v_cmp_eq_u64_e32 vcc, s[10:11], v[8:9]
	s_and_saveexec_b64 s[34:35], vcc
	s_cbranch_execz .LBB91_121
; %bb.120:                              ;   in Loop: Header=BB91_115 Depth=2
	v_lshl_add_u32 v8, v6, 3, v11
	ds_add_f32 v8, v10 offset:1036
	s_xor_b64 s[26:27], exec, -1
.LBB91_121:                             ;   in Loop: Header=BB91_115 Depth=2
	s_or_b64 exec, exec, s[34:35]
	s_andn2_b64 s[22:23], s[22:23], exec
	s_and_b64 s[26:27], s[26:27], exec
	s_or_b64 s[22:23], s[22:23], s[26:27]
.LBB91_122:                             ;   in Loop: Header=BB91_115 Depth=2
	s_or_b64 exec, exec, s[24:25]
	s_and_b64 s[22:23], s[22:23], exec
                                        ; implicit-def: $vgpr11
.LBB91_123:                             ;   in Loop: Header=BB91_115 Depth=2
	s_andn2_saveexec_b64 s[20:21], s[20:21]
	s_cbranch_execz .LBB91_114
; %bb.124:                              ;   in Loop: Header=BB91_115 Depth=2
	v_lshl_add_u32 v8, v6, 3, v11
	ds_add_f32 v8, v10 offset:1036
	s_andn2_b64 s[22:23], s[22:23], exec
	s_branch .LBB91_114
.LBB91_125:
	s_or_b64 exec, exec, s[4:5]
.LBB91_126:
	s_waitcnt lgkmcnt(0)
	s_barrier
	s_and_saveexec_b64 s[2:3], s[0:1]
	s_cbranch_execz .LBB91_131
; %bb.127:
	ds_read_b64 v[2:3], v1
	s_mov_b32 s0, 0
	s_waitcnt lgkmcnt(0)
	v_cmp_gt_i64_e32 vcc, s[10:11], v[2:3]
	s_and_b64 exec, exec, vcc
	s_cbranch_execz .LBB91_131
; %bb.128:
	s_lshl_b64 s[2:3], s[6:7], 3
	s_add_u32 s2, s18, s2
	s_addc_u32 s3, s19, s3
	s_load_dwordx2 s[2:3], s[2:3], 0x0
	s_mov_b32 s1, s0
	s_waitcnt lgkmcnt(0)
	s_sub_u32 s2, s2, s38
	s_subb_u32 s3, s3, 0
	v_pk_mov_b32 v[4:5], s[2:3], s[2:3] op_sel:[0,1]
.LBB91_129:                             ; =>This Inner Loop Header: Depth=1
	s_add_i32 s2, s1, 0
	v_mov_b32_e32 v1, s2
	ds_read2_b64 v[6:9], v1 offset1:1
	ds_read2_b64 v[10:13], v1 offset0:2 offset1:3
	ds_read2_b64 v[14:17], v1 offset0:4 offset1:5
	;; [unrolled: 1-line block ×7, first 2 shown]
	s_waitcnt lgkmcnt(7)
	v_cmp_gt_i64_e32 vcc, v[2:3], v[6:7]
	v_cndmask_b32_e64 v1, 0, 1, vcc
	v_cmp_gt_i64_e32 vcc, v[2:3], v[8:9]
	v_cndmask_b32_e64 v6, 0, 1, vcc
	s_waitcnt lgkmcnt(6)
	v_cmp_gt_i64_e32 vcc, v[2:3], v[10:11]
	v_cndmask_b32_e64 v7, 0, 1, vcc
	v_cmp_gt_i64_e32 vcc, v[2:3], v[12:13]
	v_cndmask_b32_e64 v8, 0, 1, vcc
	;; [unrolled: 5-line block ×8, first 2 shown]
	v_add_co_u32_e32 v1, vcc, v4, v1
	v_addc_co_u32_e32 v4, vcc, 0, v5, vcc
	v_add_co_u32_e32 v1, vcc, v1, v6
	v_addc_co_u32_e32 v4, vcc, 0, v4, vcc
	;; [unrolled: 2-line block ×15, first 2 shown]
	s_addk_i32 s1, 0x80
	v_add_co_u32_e32 v4, vcc, v1, v20
	s_cmpk_lg_i32 s1, 0x400
	v_addc_co_u32_e32 v5, vcc, 0, v5, vcc
	s_cbranch_scc1 .LBB91_129
; %bb.130:
	v_mov_b32_e32 v1, s0
	v_add_co_u32_e32 v2, vcc, s38, v2
	v_addc_co_u32_e32 v3, vcc, v3, v1, vcc
	v_lshlrev_b64 v[6:7], 3, v[4:5]
	v_mov_b32_e32 v1, s29
	v_add_co_u32_e32 v6, vcc, s28, v6
	s_add_i32 s1, 0, 0x400
	v_addc_co_u32_e32 v7, vcc, v1, v7, vcc
	s_cmp_eq_u32 s33, 0
	global_store_dwordx2 v[6:7], v[2:3], off
	v_lshlrev_b32_e32 v2, 4, v0
	v_lshlrev_b32_e32 v1, 2, v0
	v_add_u32_e32 v3, s1, v2
	s_cselect_b32 s0, 1, 2
	s_cselect_b32 s1, 2, 1
	v_add_u32_e32 v0, 0, v2
	v_or_b32_e32 v2, s0, v1
	v_or_b32_e32 v1, s1, v1
	v_lshl_add_u32 v1, v1, 2, 0
	ds_read_b32 v0, v0 offset:1024
	v_lshl_add_u32 v7, v2, 2, 0
	ds_read_b32 v2, v1 offset:1024
	ds_read_b32 v1, v7 offset:1024
	ds_read_b32 v3, v3 offset:12
	v_lshlrev_b64 v[4:5], 4, v[4:5]
	v_mov_b32_e32 v6, s31
	v_add_co_u32_e32 v4, vcc, s30, v4
	v_addc_co_u32_e32 v5, vcc, v6, v5, vcc
	s_waitcnt lgkmcnt(0)
	global_store_dwordx4 v[4:5], v[0:3], off
.LBB91_131:
	s_endpgm
	.section	.rodata,"a",@progbits
	.p2align	6, 0x0
	.amdhsa_kernel _ZN9rocsparseL30bsrgemm_fill_block_per_row_2x2ILj256ELj16ELj128ELj137EllfEEv20rocsparse_direction_T4_S2_PKS2_S4_NS_24const_host_device_scalarIT5_EEPKT3_S4_PKS6_SA_S4_SC_S7_SA_S4_SC_SA_PS2_PS6_21rocsparse_index_base_SF_SF_SF_bbb
		.amdhsa_group_segment_fixed_size 0
		.amdhsa_private_segment_fixed_size 0
		.amdhsa_kernarg_size 172
		.amdhsa_user_sgpr_count 6
		.amdhsa_user_sgpr_private_segment_buffer 1
		.amdhsa_user_sgpr_dispatch_ptr 0
		.amdhsa_user_sgpr_queue_ptr 0
		.amdhsa_user_sgpr_kernarg_segment_ptr 1
		.amdhsa_user_sgpr_dispatch_id 0
		.amdhsa_user_sgpr_flat_scratch_init 0
		.amdhsa_user_sgpr_kernarg_preload_length 0
		.amdhsa_user_sgpr_kernarg_preload_offset 0
		.amdhsa_user_sgpr_private_segment_size 0
		.amdhsa_uses_dynamic_stack 0
		.amdhsa_system_sgpr_private_segment_wavefront_offset 0
		.amdhsa_system_sgpr_workgroup_id_x 1
		.amdhsa_system_sgpr_workgroup_id_y 0
		.amdhsa_system_sgpr_workgroup_id_z 0
		.amdhsa_system_sgpr_workgroup_info 0
		.amdhsa_system_vgpr_workitem_id 0
		.amdhsa_next_free_vgpr 38
		.amdhsa_next_free_sgpr 61
		.amdhsa_accum_offset 40
		.amdhsa_reserve_vcc 1
		.amdhsa_reserve_flat_scratch 0
		.amdhsa_float_round_mode_32 0
		.amdhsa_float_round_mode_16_64 0
		.amdhsa_float_denorm_mode_32 3
		.amdhsa_float_denorm_mode_16_64 3
		.amdhsa_dx10_clamp 1
		.amdhsa_ieee_mode 1
		.amdhsa_fp16_overflow 0
		.amdhsa_tg_split 0
		.amdhsa_exception_fp_ieee_invalid_op 0
		.amdhsa_exception_fp_denorm_src 0
		.amdhsa_exception_fp_ieee_div_zero 0
		.amdhsa_exception_fp_ieee_overflow 0
		.amdhsa_exception_fp_ieee_underflow 0
		.amdhsa_exception_fp_ieee_inexact 0
		.amdhsa_exception_int_div_zero 0
	.end_amdhsa_kernel
	.section	.text._ZN9rocsparseL30bsrgemm_fill_block_per_row_2x2ILj256ELj16ELj128ELj137EllfEEv20rocsparse_direction_T4_S2_PKS2_S4_NS_24const_host_device_scalarIT5_EEPKT3_S4_PKS6_SA_S4_SC_S7_SA_S4_SC_SA_PS2_PS6_21rocsparse_index_base_SF_SF_SF_bbb,"axG",@progbits,_ZN9rocsparseL30bsrgemm_fill_block_per_row_2x2ILj256ELj16ELj128ELj137EllfEEv20rocsparse_direction_T4_S2_PKS2_S4_NS_24const_host_device_scalarIT5_EEPKT3_S4_PKS6_SA_S4_SC_S7_SA_S4_SC_SA_PS2_PS6_21rocsparse_index_base_SF_SF_SF_bbb,comdat
.Lfunc_end91:
	.size	_ZN9rocsparseL30bsrgemm_fill_block_per_row_2x2ILj256ELj16ELj128ELj137EllfEEv20rocsparse_direction_T4_S2_PKS2_S4_NS_24const_host_device_scalarIT5_EEPKT3_S4_PKS6_SA_S4_SC_S7_SA_S4_SC_SA_PS2_PS6_21rocsparse_index_base_SF_SF_SF_bbb, .Lfunc_end91-_ZN9rocsparseL30bsrgemm_fill_block_per_row_2x2ILj256ELj16ELj128ELj137EllfEEv20rocsparse_direction_T4_S2_PKS2_S4_NS_24const_host_device_scalarIT5_EEPKT3_S4_PKS6_SA_S4_SC_S7_SA_S4_SC_SA_PS2_PS6_21rocsparse_index_base_SF_SF_SF_bbb
                                        ; -- End function
	.section	.AMDGPU.csdata,"",@progbits
; Kernel info:
; codeLenInByte = 3976
; NumSgprs: 65
; NumVgprs: 38
; NumAgprs: 0
; TotalNumVgprs: 38
; ScratchSize: 0
; MemoryBound: 0
; FloatMode: 240
; IeeeMode: 1
; LDSByteSize: 0 bytes/workgroup (compile time only)
; SGPRBlocks: 8
; VGPRBlocks: 4
; NumSGPRsForWavesPerEU: 65
; NumVGPRsForWavesPerEU: 38
; AccumOffset: 40
; Occupancy: 8
; WaveLimiterHint : 1
; COMPUTE_PGM_RSRC2:SCRATCH_EN: 0
; COMPUTE_PGM_RSRC2:USER_SGPR: 6
; COMPUTE_PGM_RSRC2:TRAP_HANDLER: 0
; COMPUTE_PGM_RSRC2:TGID_X_EN: 1
; COMPUTE_PGM_RSRC2:TGID_Y_EN: 0
; COMPUTE_PGM_RSRC2:TGID_Z_EN: 0
; COMPUTE_PGM_RSRC2:TIDIG_COMP_CNT: 0
; COMPUTE_PGM_RSRC3_GFX90A:ACCUM_OFFSET: 9
; COMPUTE_PGM_RSRC3_GFX90A:TG_SPLIT: 0
	.section	.text._ZN9rocsparseL30bsrgemm_fill_block_per_row_2x2ILj256ELj16ELj256ELj137EllfEEv20rocsparse_direction_T4_S2_PKS2_S4_NS_24const_host_device_scalarIT5_EEPKT3_S4_PKS6_SA_S4_SC_S7_SA_S4_SC_SA_PS2_PS6_21rocsparse_index_base_SF_SF_SF_bbb,"axG",@progbits,_ZN9rocsparseL30bsrgemm_fill_block_per_row_2x2ILj256ELj16ELj256ELj137EllfEEv20rocsparse_direction_T4_S2_PKS2_S4_NS_24const_host_device_scalarIT5_EEPKT3_S4_PKS6_SA_S4_SC_S7_SA_S4_SC_SA_PS2_PS6_21rocsparse_index_base_SF_SF_SF_bbb,comdat
	.globl	_ZN9rocsparseL30bsrgemm_fill_block_per_row_2x2ILj256ELj16ELj256ELj137EllfEEv20rocsparse_direction_T4_S2_PKS2_S4_NS_24const_host_device_scalarIT5_EEPKT3_S4_PKS6_SA_S4_SC_S7_SA_S4_SC_SA_PS2_PS6_21rocsparse_index_base_SF_SF_SF_bbb ; -- Begin function _ZN9rocsparseL30bsrgemm_fill_block_per_row_2x2ILj256ELj16ELj256ELj137EllfEEv20rocsparse_direction_T4_S2_PKS2_S4_NS_24const_host_device_scalarIT5_EEPKT3_S4_PKS6_SA_S4_SC_S7_SA_S4_SC_SA_PS2_PS6_21rocsparse_index_base_SF_SF_SF_bbb
	.p2align	8
	.type	_ZN9rocsparseL30bsrgemm_fill_block_per_row_2x2ILj256ELj16ELj256ELj137EllfEEv20rocsparse_direction_T4_S2_PKS2_S4_NS_24const_host_device_scalarIT5_EEPKT3_S4_PKS6_SA_S4_SC_S7_SA_S4_SC_SA_PS2_PS6_21rocsparse_index_base_SF_SF_SF_bbb,@function
_ZN9rocsparseL30bsrgemm_fill_block_per_row_2x2ILj256ELj16ELj256ELj137EllfEEv20rocsparse_direction_T4_S2_PKS2_S4_NS_24const_host_device_scalarIT5_EEPKT3_S4_PKS6_SA_S4_SC_S7_SA_S4_SC_SA_PS2_PS6_21rocsparse_index_base_SF_SF_SF_bbb: ; @_ZN9rocsparseL30bsrgemm_fill_block_per_row_2x2ILj256ELj16ELj256ELj137EllfEEv20rocsparse_direction_T4_S2_PKS2_S4_NS_24const_host_device_scalarIT5_EEPKT3_S4_PKS6_SA_S4_SC_S7_SA_S4_SC_SA_PS2_PS6_21rocsparse_index_base_SF_SF_SF_bbb
; %bb.0:
	s_load_dword s7, s[4:5], 0xa8
	s_load_dwordx2 s[2:3], s[4:5], 0x28
	s_load_dwordx2 s[0:1], s[4:5], 0x60
	s_waitcnt lgkmcnt(0)
	s_bitcmp1_b32 s7, 0
	s_cselect_b64 s[8:9], -1, 0
	s_bitcmp1_b32 s7, 16
	s_cselect_b64 s[10:11], -1, 0
	s_xor_b64 s[12:13], s[8:9], -1
	s_or_b64 s[12:13], s[12:13], s[10:11]
	s_and_b64 vcc, exec, s[12:13]
	s_cbranch_vccnz .LBB92_2
; %bb.1:
	s_load_dword s2, s[2:3], 0x0
	s_waitcnt lgkmcnt(0)
	v_mov_b32_e32 v1, s2
	s_branch .LBB92_3
.LBB92_2:
	v_mov_b32_e32 v1, s2
	v_cndmask_b32_e64 v1, 0, v1, s[8:9]
.LBB92_3:
	s_load_dwordx4 s[36:39], s[4:5], 0x98
	s_bitcmp1_b32 s7, 8
	s_cselect_b64 s[2:3], -1, 0
	s_xor_b64 s[12:13], s[2:3], -1
	s_or_b64 s[10:11], s[12:13], s[10:11]
	s_and_b64 vcc, exec, s[10:11]
	s_cbranch_vccnz .LBB92_5
; %bb.4:
	s_load_dword s0, s[0:1], 0x0
	s_waitcnt lgkmcnt(0)
	v_mov_b32_e32 v16, s0
	s_branch .LBB92_6
.LBB92_5:
	v_mov_b32_e32 v2, s0
	v_cndmask_b32_e64 v16, 0, v2, s[2:3]
.LBB92_6:
	s_load_dwordx4 s[28:31], s[4:5], 0x88
	s_load_dwordx8 s[12:19], s[4:5], 0x68
	s_load_dwordx4 s[44:47], s[4:5], 0x50
	s_load_dwordx4 s[40:43], s[4:5], 0x10
	s_load_dwordx2 s[10:11], s[4:5], 0x20
	s_load_dwordx8 s[20:27], s[4:5], 0x30
	s_movk_i32 s0, 0x100
	v_cmp_gt_u32_e64 s[0:1], s0, v0
	v_lshl_add_u32 v17, v0, 3, 0
	s_and_saveexec_b64 s[34:35], s[0:1]
	s_cbranch_execz .LBB92_8
; %bb.7:
	s_waitcnt lgkmcnt(0)
	v_pk_mov_b32 v[2:3], s[40:41], s[40:41] op_sel:[0,1]
	ds_write_b64 v17, v[2:3]
.LBB92_8:
	s_or_b64 exec, exec, s[34:35]
	v_lshlrev_b32_e32 v11, 2, v0
	v_add_u32_e32 v2, 0, v11
	s_mov_b32 s7, 0
	v_add_u32_e32 v2, 0x800, v2
	s_mov_b64 s[34:35], 0
	v_mov_b32_e32 v3, 0
	s_branch .LBB92_10
.LBB92_9:                               ;   in Loop: Header=BB92_10 Depth=1
	s_or_b64 exec, exec, s[50:51]
	s_add_i32 s7, s7, 2
	v_cmp_eq_u32_e64 s[48:49], 4, s7
	s_or_b64 s[34:35], s[48:49], s[34:35]
	v_add_u32_e32 v2, 0x800, v2
	s_andn2_b64 exec, exec, s[34:35]
	s_cbranch_execz .LBB92_14
.LBB92_10:                              ; =>This Inner Loop Header: Depth=1
	s_or_b32 s33, s7, 1
	v_cmp_le_u32_e64 s[48:49], s33, 3
	v_cmp_le_u32_e64 s[52:53], s7, 3
	s_and_saveexec_b64 s[50:51], s[52:53]
	s_cbranch_execz .LBB92_12
; %bb.11:                               ;   in Loop: Header=BB92_10 Depth=1
	ds_write_b32 v2, v3
.LBB92_12:                              ;   in Loop: Header=BB92_10 Depth=1
	s_or_b64 exec, exec, s[50:51]
	s_and_saveexec_b64 s[50:51], s[48:49]
	s_cbranch_execz .LBB92_9
; %bb.13:                               ;   in Loop: Header=BB92_10 Depth=1
	ds_write_b32 v2, v3 offset:1024
	s_branch .LBB92_9
.LBB92_14:
	s_or_b64 exec, exec, s[34:35]
	s_waitcnt lgkmcnt(0)
	s_cmp_eq_u64 s[10:11], 0
	s_mov_b32 s7, 0
	s_barrier
	s_cbranch_scc1 .LBB92_16
; %bb.15:
	s_load_dwordx2 s[34:35], s[42:43], 0x0
	s_waitcnt lgkmcnt(0)
	s_lshl_b64 s[34:35], s[34:35], 3
	s_add_u32 s10, s10, s34
	s_addc_u32 s11, s11, s35
	s_lshl_b64 s[6:7], s[6:7], 3
	s_add_u32 s6, s10, s6
	s_addc_u32 s7, s11, s7
	s_load_dwordx2 s[6:7], s[6:7], 0x0
.LBB92_16:
	s_nop 0
	s_load_dword s33, s[4:5], 0x0
	s_andn2_b64 vcc, exec, s[8:9]
	s_cbranch_vccnz .LBB92_72
; %bb.17:
	s_waitcnt lgkmcnt(0)
	s_lshl_b64 s[4:5], s[6:7], 3
	s_add_u32 s4, s20, s4
	s_addc_u32 s5, s21, s5
	s_load_dwordx4 s[8:11], s[4:5], 0x0
	v_lshrrev_b32_e32 v2, 4, v0
	v_subrev_co_u32_e32 v2, vcc, s36, v2
	s_mov_b32 s20, 0
	s_waitcnt lgkmcnt(0)
	s_sub_u32 s4, s10, s36
	s_subb_u32 s5, s11, 0
	v_subb_co_u32_e64 v3, s[10:11], 0, 0, vcc
	v_mov_b32_e32 v4, s9
	v_add_co_u32_e32 v2, vcc, s8, v2
	v_addc_co_u32_e32 v3, vcc, v4, v3, vcc
	v_cmp_gt_i64_e32 vcc, s[4:5], v[2:3]
	s_and_saveexec_b64 s[8:9], vcc
	s_cbranch_execz .LBB92_71
; %bb.18:
	v_and_b32_e32 v4, 15, v0
	v_subrev_co_u32_e32 v18, vcc, s37, v4
	s_cmp_eq_u32 s33, 0
	v_subb_co_u32_e64 v19, s[10:11], 0, 0, vcc
	s_mov_b32 s56, s36
	s_mov_b32 s57, s37
	;; [unrolled: 1-line block ×3, first 2 shown]
	s_cselect_b32 s59, 1, 2
	s_cselect_b32 s60, 2, 1
	s_mov_b64 s[10:11], 0
	v_mov_b32_e32 v20, s23
	v_mov_b32_e32 v21, s20
	;; [unrolled: 1-line block ×4, first 2 shown]
	s_movk_i32 s23, 0x89
	s_branch .LBB92_20
.LBB92_19:                              ;   in Loop: Header=BB92_20 Depth=1
	s_or_b64 exec, exec, s[20:21]
	v_add_co_u32_e32 v2, vcc, 16, v2
	v_addc_co_u32_e32 v3, vcc, 0, v3, vcc
	v_cmp_le_i64_e32 vcc, s[4:5], v[2:3]
	s_or_b64 s[10:11], vcc, s[10:11]
	s_andn2_b64 exec, exec, s[10:11]
	s_cbranch_execz .LBB92_71
.LBB92_20:                              ; =>This Loop Header: Depth=1
                                        ;     Child Loop BB92_23 Depth 2
                                        ;       Child Loop BB92_25 Depth 3
                                        ;       Child Loop BB92_37 Depth 3
	;; [unrolled: 1-line block ×4, first 2 shown]
	v_lshlrev_b64 v[4:5], 3, v[2:3]
	v_add_co_u32_e32 v4, vcc, s22, v4
	v_addc_co_u32_e32 v5, vcc, v20, v5, vcc
	global_load_dwordx2 v[4:5], v[4:5], off
	s_waitcnt vmcnt(0)
	v_subrev_co_u32_e32 v4, vcc, s56, v4
	v_subb_co_u32_e32 v5, vcc, v5, v21, vcc
	v_lshlrev_b64 v[4:5], 3, v[4:5]
	v_add_co_u32_e32 v4, vcc, s26, v4
	v_addc_co_u32_e32 v5, vcc, v22, v5, vcc
	global_load_dwordx4 v[6:9], v[4:5], off
	s_waitcnt vmcnt(0)
	v_subrev_co_u32_e32 v4, vcc, s57, v8
	v_subb_co_u32_e32 v5, vcc, v9, v23, vcc
	v_add_co_u32_e32 v6, vcc, v6, v18
	v_addc_co_u32_e32 v7, vcc, v7, v19, vcc
	v_cmp_lt_i64_e32 vcc, v[6:7], v[4:5]
	s_and_saveexec_b64 s[20:21], vcc
	s_cbranch_execz .LBB92_19
; %bb.21:                               ;   in Loop: Header=BB92_20 Depth=1
	v_lshlrev_b64 v[8:9], 2, v[2:3]
	v_lshlrev_b64 v[14:15], 4, v[2:3]
	v_or_b32_e32 v13, 0, v9
	v_or_b32_e32 v12, s59, v8
	;; [unrolled: 1-line block ×4, first 2 shown]
	v_mov_b32_e32 v10, s25
	v_add_co_u32_e32 v14, vcc, s24, v14
	v_addc_co_u32_e32 v15, vcc, v10, v15, vcc
	v_lshlrev_b64 v[8:9], 2, v[8:9]
	v_add_co_u32_e32 v8, vcc, s24, v8
	v_addc_co_u32_e32 v9, vcc, v10, v9, vcc
	v_lshlrev_b64 v[12:13], 2, v[12:13]
	v_add_co_u32_e32 v12, vcc, s24, v12
	v_addc_co_u32_e32 v13, vcc, v10, v13, vcc
	global_load_dword v10, v[14:15], off offset:12
	global_load_dword v25, v[8:9], off
	global_load_dword v26, v[12:13], off
	;; [unrolled: 1-line block ×3, first 2 shown]
	s_mov_b64 s[34:35], 0
	s_waitcnt vmcnt(3)
	v_mul_f32_e32 v24, v1, v10
	s_waitcnt vmcnt(2)
	v_mul_f32_e32 v25, v1, v25
	;; [unrolled: 2-line block ×4, first 2 shown]
	s_branch .LBB92_23
.LBB92_22:                              ;   in Loop: Header=BB92_23 Depth=2
	s_or_b64 exec, exec, s[36:37]
	v_add_co_u32_e32 v6, vcc, 16, v6
	v_addc_co_u32_e32 v7, vcc, 0, v7, vcc
	v_cmp_ge_i64_e32 vcc, v[6:7], v[4:5]
	s_or_b64 s[34:35], vcc, s[34:35]
	s_andn2_b64 exec, exec, s[34:35]
	s_cbranch_execz .LBB92_19
.LBB92_23:                              ;   Parent Loop BB92_20 Depth=1
                                        ; =>  This Loop Header: Depth=2
                                        ;       Child Loop BB92_25 Depth 3
                                        ;       Child Loop BB92_37 Depth 3
	;; [unrolled: 1-line block ×4, first 2 shown]
	v_lshlrev_b64 v[8:9], 3, v[6:7]
	v_mov_b32_e32 v10, s45
	v_add_co_u32_e32 v8, vcc, s44, v8
	v_addc_co_u32_e32 v9, vcc, v10, v9, vcc
	v_lshlrev_b64 v[12:13], 2, v[6:7]
	v_lshlrev_b64 v[28:29], 4, v[6:7]
	v_or_b32_e32 v15, 0, v13
	v_or_b32_e32 v14, s59, v12
	;; [unrolled: 1-line block ×4, first 2 shown]
	v_mov_b32_e32 v10, s47
	v_add_co_u32_e32 v32, vcc, s46, v28
	v_addc_co_u32_e32 v33, vcc, v10, v29, vcc
	v_lshlrev_b64 v[12:13], 2, v[12:13]
	global_load_dwordx2 v[8:9], v[8:9], off
	v_add_co_u32_e32 v12, vcc, s46, v12
	v_lshlrev_b64 v[14:15], 2, v[14:15]
	v_addc_co_u32_e32 v13, vcc, v10, v13, vcc
	global_load_dword v30, v[32:33], off
	global_load_dword v31, v[12:13], off
	v_add_co_u32_e32 v12, vcc, s46, v14
	v_addc_co_u32_e32 v13, vcc, v10, v15, vcc
	global_load_dword v28, v[12:13], off
	global_load_dword v29, v[32:33], off offset:12
	v_mov_b32_e32 v10, s58
	s_mov_b64 s[36:37], 0
	s_waitcnt vmcnt(4)
	v_subrev_co_u32_e32 v8, vcc, s57, v8
	v_subb_co_u32_e32 v9, vcc, v9, v10, vcc
	v_mul_lo_u32 v10, v8, s23
	v_and_b32_e32 v10, 0xff, v10
	v_pk_mov_b32 v[12:13], v[10:11], v[10:11] op_sel:[0,1]
	s_waitcnt vmcnt(2)
	v_mul_f32_e32 v32, v26, v31
	v_fmac_f32_e32 v32, v27, v30
	s_branch .LBB92_25
.LBB92_24:                              ;   in Loop: Header=BB92_25 Depth=3
	s_or_b64 exec, exec, s[42:43]
	s_xor_b64 s[42:43], s[48:49], -1
	s_and_b64 s[42:43], exec, s[42:43]
	s_or_b64 s[36:37], s[42:43], s[36:37]
	s_andn2_b64 exec, exec, s[36:37]
	s_cbranch_execz .LBB92_35
.LBB92_25:                              ;   Parent Loop BB92_20 Depth=1
                                        ;     Parent Loop BB92_23 Depth=2
                                        ; =>    This Inner Loop Header: Depth=3
	v_lshl_add_u32 v13, v12, 3, 0
	ds_read_b64 v[14:15], v13
                                        ; implicit-def: $sgpr48_sgpr49
	s_waitcnt lgkmcnt(0)
	v_cmp_ne_u64_e32 vcc, v[14:15], v[8:9]
	s_and_saveexec_b64 s[42:43], vcc
	s_xor_b64 s[42:43], exec, s[42:43]
	s_cbranch_execz .LBB92_33
; %bb.26:                               ;   in Loop: Header=BB92_25 Depth=3
	v_cmp_ne_u64_e32 vcc, s[40:41], v[14:15]
                                        ; implicit-def: $sgpr48_sgpr49
	s_and_saveexec_b64 s[50:51], vcc
	s_xor_b64 s[50:51], exec, s[50:51]
; %bb.27:                               ;   in Loop: Header=BB92_25 Depth=3
	v_add_u32_e32 v12, 1, v12
	v_and_b32_e32 v12, 0xff, v12
	s_mov_b64 s[48:49], -1
                                        ; implicit-def: $vgpr13
; %bb.28:                               ;   in Loop: Header=BB92_25 Depth=3
	s_andn2_saveexec_b64 s[50:51], s[50:51]
	s_cbranch_execz .LBB92_32
; %bb.29:                               ;   in Loop: Header=BB92_25 Depth=3
	v_pk_mov_b32 v[14:15], s[40:41], s[40:41] op_sel:[0,1]
	ds_cmpst_rtn_b64 v[14:15], v13, v[14:15], v[8:9]
	s_mov_b64 s[52:53], -1
	s_waitcnt lgkmcnt(0)
	v_cmp_eq_u64_e32 vcc, s[40:41], v[14:15]
	s_and_saveexec_b64 s[54:55], vcc
	s_cbranch_execz .LBB92_31
; %bb.30:                               ;   in Loop: Header=BB92_25 Depth=3
	v_lshl_add_u32 v13, v12, 3, v13
	ds_add_f32 v13, v32 offset:2048
	s_xor_b64 s[52:53], exec, -1
.LBB92_31:                              ;   in Loop: Header=BB92_25 Depth=3
	s_or_b64 exec, exec, s[54:55]
	s_andn2_b64 s[48:49], s[48:49], exec
	s_and_b64 s[52:53], s[52:53], exec
	s_or_b64 s[48:49], s[48:49], s[52:53]
.LBB92_32:                              ;   in Loop: Header=BB92_25 Depth=3
	s_or_b64 exec, exec, s[50:51]
	s_and_b64 s[48:49], s[48:49], exec
                                        ; implicit-def: $vgpr13
.LBB92_33:                              ;   in Loop: Header=BB92_25 Depth=3
	s_andn2_saveexec_b64 s[42:43], s[42:43]
	s_cbranch_execz .LBB92_24
; %bb.34:                               ;   in Loop: Header=BB92_25 Depth=3
	v_lshl_add_u32 v13, v12, 3, v13
	ds_add_f32 v13, v32 offset:2048
	s_andn2_b64 s[48:49], s[48:49], exec
	s_branch .LBB92_24
.LBB92_35:                              ;   in Loop: Header=BB92_23 Depth=2
	s_or_b64 exec, exec, s[36:37]
	s_waitcnt vmcnt(0)
	v_mul_f32_e32 v32, v26, v29
	v_fmac_f32_e32 v32, v27, v28
	s_mov_b64 s[36:37], 0
	v_pk_mov_b32 v[12:13], v[10:11], v[10:11] op_sel:[0,1]
	s_branch .LBB92_37
.LBB92_36:                              ;   in Loop: Header=BB92_37 Depth=3
	s_or_b64 exec, exec, s[42:43]
	s_xor_b64 s[42:43], s[48:49], -1
	s_and_b64 s[42:43], exec, s[42:43]
	s_or_b64 s[36:37], s[42:43], s[36:37]
	s_andn2_b64 exec, exec, s[36:37]
	s_cbranch_execz .LBB92_47
.LBB92_37:                              ;   Parent Loop BB92_20 Depth=1
                                        ;     Parent Loop BB92_23 Depth=2
                                        ; =>    This Inner Loop Header: Depth=3
	v_lshl_add_u32 v13, v12, 3, 0
	ds_read_b64 v[14:15], v13
                                        ; implicit-def: $sgpr48_sgpr49
	s_waitcnt lgkmcnt(0)
	v_cmp_ne_u64_e32 vcc, v[14:15], v[8:9]
	s_and_saveexec_b64 s[42:43], vcc
	s_xor_b64 s[42:43], exec, s[42:43]
	s_cbranch_execz .LBB92_45
; %bb.38:                               ;   in Loop: Header=BB92_37 Depth=3
	v_cmp_ne_u64_e32 vcc, s[40:41], v[14:15]
                                        ; implicit-def: $sgpr48_sgpr49
	s_and_saveexec_b64 s[50:51], vcc
	s_xor_b64 s[50:51], exec, s[50:51]
; %bb.39:                               ;   in Loop: Header=BB92_37 Depth=3
	v_add_u32_e32 v12, 1, v12
	v_and_b32_e32 v12, 0xff, v12
	s_mov_b64 s[48:49], -1
                                        ; implicit-def: $vgpr13
; %bb.40:                               ;   in Loop: Header=BB92_37 Depth=3
	s_andn2_saveexec_b64 s[50:51], s[50:51]
	s_cbranch_execz .LBB92_44
; %bb.41:                               ;   in Loop: Header=BB92_37 Depth=3
	v_pk_mov_b32 v[14:15], s[40:41], s[40:41] op_sel:[0,1]
	ds_cmpst_rtn_b64 v[14:15], v13, v[14:15], v[8:9]
	s_mov_b64 s[52:53], -1
	s_waitcnt lgkmcnt(0)
	v_cmp_eq_u64_e32 vcc, s[40:41], v[14:15]
	s_and_saveexec_b64 s[54:55], vcc
	s_cbranch_execz .LBB92_43
; %bb.42:                               ;   in Loop: Header=BB92_37 Depth=3
	v_lshl_add_u32 v13, v12, 3, v13
	ds_add_f32 v13, v32 offset:2052
	s_xor_b64 s[52:53], exec, -1
.LBB92_43:                              ;   in Loop: Header=BB92_37 Depth=3
	s_or_b64 exec, exec, s[54:55]
	s_andn2_b64 s[48:49], s[48:49], exec
	s_and_b64 s[52:53], s[52:53], exec
	s_or_b64 s[48:49], s[48:49], s[52:53]
.LBB92_44:                              ;   in Loop: Header=BB92_37 Depth=3
	s_or_b64 exec, exec, s[50:51]
	s_and_b64 s[48:49], s[48:49], exec
                                        ; implicit-def: $vgpr13
.LBB92_45:                              ;   in Loop: Header=BB92_37 Depth=3
	s_andn2_saveexec_b64 s[42:43], s[42:43]
	s_cbranch_execz .LBB92_36
; %bb.46:                               ;   in Loop: Header=BB92_37 Depth=3
	v_lshl_add_u32 v13, v12, 3, v13
	ds_add_f32 v13, v32 offset:2052
	s_andn2_b64 s[48:49], s[48:49], exec
	s_branch .LBB92_36
.LBB92_47:                              ;   in Loop: Header=BB92_23 Depth=2
	s_or_b64 exec, exec, s[36:37]
	v_mul_f32_e32 v31, v24, v31
	v_fmac_f32_e32 v31, v25, v30
	s_mov_b64 s[36:37], 0
	v_pk_mov_b32 v[12:13], v[10:11], v[10:11] op_sel:[0,1]
	s_branch .LBB92_49
.LBB92_48:                              ;   in Loop: Header=BB92_49 Depth=3
	s_or_b64 exec, exec, s[42:43]
	s_xor_b64 s[42:43], s[48:49], -1
	s_and_b64 s[42:43], exec, s[42:43]
	s_or_b64 s[36:37], s[42:43], s[36:37]
	s_andn2_b64 exec, exec, s[36:37]
	s_cbranch_execz .LBB92_59
.LBB92_49:                              ;   Parent Loop BB92_20 Depth=1
                                        ;     Parent Loop BB92_23 Depth=2
                                        ; =>    This Inner Loop Header: Depth=3
	v_lshl_add_u32 v13, v12, 3, 0
	ds_read_b64 v[14:15], v13
                                        ; implicit-def: $sgpr48_sgpr49
	s_waitcnt lgkmcnt(0)
	v_cmp_ne_u64_e32 vcc, v[14:15], v[8:9]
	s_and_saveexec_b64 s[42:43], vcc
	s_xor_b64 s[42:43], exec, s[42:43]
	s_cbranch_execz .LBB92_57
; %bb.50:                               ;   in Loop: Header=BB92_49 Depth=3
	v_cmp_ne_u64_e32 vcc, s[40:41], v[14:15]
                                        ; implicit-def: $sgpr48_sgpr49
	s_and_saveexec_b64 s[50:51], vcc
	s_xor_b64 s[50:51], exec, s[50:51]
; %bb.51:                               ;   in Loop: Header=BB92_49 Depth=3
	v_add_u32_e32 v12, 1, v12
	v_and_b32_e32 v12, 0xff, v12
	s_mov_b64 s[48:49], -1
                                        ; implicit-def: $vgpr13
; %bb.52:                               ;   in Loop: Header=BB92_49 Depth=3
	s_andn2_saveexec_b64 s[50:51], s[50:51]
	s_cbranch_execz .LBB92_56
; %bb.53:                               ;   in Loop: Header=BB92_49 Depth=3
	v_pk_mov_b32 v[14:15], s[40:41], s[40:41] op_sel:[0,1]
	ds_cmpst_rtn_b64 v[14:15], v13, v[14:15], v[8:9]
	s_mov_b64 s[52:53], -1
	s_waitcnt lgkmcnt(0)
	v_cmp_eq_u64_e32 vcc, s[40:41], v[14:15]
	s_and_saveexec_b64 s[54:55], vcc
	s_cbranch_execz .LBB92_55
; %bb.54:                               ;   in Loop: Header=BB92_49 Depth=3
	v_lshl_add_u32 v13, v12, 3, v13
	ds_add_f32 v13, v31 offset:2056
	s_xor_b64 s[52:53], exec, -1
.LBB92_55:                              ;   in Loop: Header=BB92_49 Depth=3
	s_or_b64 exec, exec, s[54:55]
	s_andn2_b64 s[48:49], s[48:49], exec
	s_and_b64 s[52:53], s[52:53], exec
	s_or_b64 s[48:49], s[48:49], s[52:53]
.LBB92_56:                              ;   in Loop: Header=BB92_49 Depth=3
	s_or_b64 exec, exec, s[50:51]
	s_and_b64 s[48:49], s[48:49], exec
                                        ; implicit-def: $vgpr13
.LBB92_57:                              ;   in Loop: Header=BB92_49 Depth=3
	s_andn2_saveexec_b64 s[42:43], s[42:43]
	s_cbranch_execz .LBB92_48
; %bb.58:                               ;   in Loop: Header=BB92_49 Depth=3
	v_lshl_add_u32 v13, v12, 3, v13
	ds_add_f32 v13, v31 offset:2056
	s_andn2_b64 s[48:49], s[48:49], exec
	s_branch .LBB92_48
.LBB92_59:                              ;   in Loop: Header=BB92_23 Depth=2
	s_or_b64 exec, exec, s[36:37]
	v_mul_f32_e32 v14, v24, v29
	v_fmac_f32_e32 v14, v25, v28
	s_mov_b64 s[36:37], 0
	s_branch .LBB92_61
.LBB92_60:                              ;   in Loop: Header=BB92_61 Depth=3
	s_or_b64 exec, exec, s[42:43]
	s_xor_b64 s[42:43], s[48:49], -1
	s_and_b64 s[42:43], exec, s[42:43]
	s_or_b64 s[36:37], s[42:43], s[36:37]
	s_andn2_b64 exec, exec, s[36:37]
	s_cbranch_execz .LBB92_22
.LBB92_61:                              ;   Parent Loop BB92_20 Depth=1
                                        ;     Parent Loop BB92_23 Depth=2
                                        ; =>    This Inner Loop Header: Depth=3
	v_lshl_add_u32 v15, v10, 3, 0
	ds_read_b64 v[12:13], v15
                                        ; implicit-def: $sgpr48_sgpr49
	s_waitcnt lgkmcnt(0)
	v_cmp_ne_u64_e32 vcc, v[12:13], v[8:9]
	s_and_saveexec_b64 s[42:43], vcc
	s_xor_b64 s[42:43], exec, s[42:43]
	s_cbranch_execz .LBB92_69
; %bb.62:                               ;   in Loop: Header=BB92_61 Depth=3
	v_cmp_ne_u64_e32 vcc, s[40:41], v[12:13]
                                        ; implicit-def: $sgpr48_sgpr49
	s_and_saveexec_b64 s[50:51], vcc
	s_xor_b64 s[50:51], exec, s[50:51]
; %bb.63:                               ;   in Loop: Header=BB92_61 Depth=3
	v_add_u32_e32 v10, 1, v10
	v_and_b32_e32 v10, 0xff, v10
	s_mov_b64 s[48:49], -1
                                        ; implicit-def: $vgpr15
; %bb.64:                               ;   in Loop: Header=BB92_61 Depth=3
	s_andn2_saveexec_b64 s[50:51], s[50:51]
	s_cbranch_execz .LBB92_68
; %bb.65:                               ;   in Loop: Header=BB92_61 Depth=3
	v_pk_mov_b32 v[12:13], s[40:41], s[40:41] op_sel:[0,1]
	ds_cmpst_rtn_b64 v[12:13], v15, v[12:13], v[8:9]
	s_mov_b64 s[52:53], -1
	s_waitcnt lgkmcnt(0)
	v_cmp_eq_u64_e32 vcc, s[40:41], v[12:13]
	s_and_saveexec_b64 s[54:55], vcc
	s_cbranch_execz .LBB92_67
; %bb.66:                               ;   in Loop: Header=BB92_61 Depth=3
	v_lshl_add_u32 v12, v10, 3, v15
	ds_add_f32 v12, v14 offset:2060
	s_xor_b64 s[52:53], exec, -1
.LBB92_67:                              ;   in Loop: Header=BB92_61 Depth=3
	s_or_b64 exec, exec, s[54:55]
	s_andn2_b64 s[48:49], s[48:49], exec
	s_and_b64 s[52:53], s[52:53], exec
	s_or_b64 s[48:49], s[48:49], s[52:53]
.LBB92_68:                              ;   in Loop: Header=BB92_61 Depth=3
	s_or_b64 exec, exec, s[50:51]
	s_and_b64 s[48:49], s[48:49], exec
                                        ; implicit-def: $vgpr15
.LBB92_69:                              ;   in Loop: Header=BB92_61 Depth=3
	s_andn2_saveexec_b64 s[42:43], s[42:43]
	s_cbranch_execz .LBB92_60
; %bb.70:                               ;   in Loop: Header=BB92_61 Depth=3
	v_lshl_add_u32 v12, v10, 3, v15
	ds_add_f32 v12, v14 offset:2060
	s_andn2_b64 s[48:49], s[48:49], exec
	s_branch .LBB92_60
.LBB92_71:
	s_or_b64 exec, exec, s[8:9]
.LBB92_72:
	s_andn2_b64 vcc, exec, s[2:3]
	s_waitcnt lgkmcnt(0)
	s_barrier
	s_cbranch_vccnz .LBB92_125
; %bb.73:
	s_lshl_b64 s[2:3], s[6:7], 3
	s_add_u32 s2, s12, s2
	s_addc_u32 s3, s13, s3
	s_load_dwordx4 s[20:23], s[2:3], 0x0
	v_subrev_co_u32_e32 v0, vcc, s39, v0
	v_subb_co_u32_e64 v1, s[4:5], 0, 0, vcc
	s_waitcnt lgkmcnt(0)
	s_sub_u32 s2, s22, s39
	v_mov_b32_e32 v2, s21
	v_add_co_u32_e32 v0, vcc, s20, v0
	s_subb_u32 s3, s23, 0
	v_addc_co_u32_e32 v1, vcc, v2, v1, vcc
	s_mov_b32 s10, 0
	v_cmp_gt_i64_e32 vcc, s[2:3], v[0:1]
	s_and_saveexec_b64 s[4:5], vcc
	s_cbranch_execz .LBB92_124
; %bb.74:
	s_cmp_eq_u32 s33, 0
	s_mov_b32 s34, s39
	s_cselect_b32 s35, 1, 2
	s_cselect_b32 s36, 2, 1
	s_mov_b64 s[8:9], 0
	v_mov_b32_e32 v5, s17
	v_mov_b32_e32 v10, s15
	v_mov_b32_e32 v12, s10
	s_movk_i32 s15, 0x89
	s_branch .LBB92_76
.LBB92_75:                              ;   in Loop: Header=BB92_76 Depth=1
	s_or_b64 exec, exec, s[10:11]
	v_add_co_u32_e32 v0, vcc, 0x100, v0
	v_addc_co_u32_e32 v1, vcc, 0, v1, vcc
	v_cmp_le_i64_e32 vcc, s[2:3], v[0:1]
	s_or_b64 s[8:9], vcc, s[8:9]
	s_andn2_b64 exec, exec, s[8:9]
	s_cbranch_execz .LBB92_124
.LBB92_76:                              ; =>This Loop Header: Depth=1
                                        ;     Child Loop BB92_78 Depth 2
                                        ;     Child Loop BB92_90 Depth 2
	;; [unrolled: 1-line block ×4, first 2 shown]
	v_lshlrev_b64 v[2:3], 2, v[0:1]
	v_lshlrev_b64 v[8:9], 4, v[0:1]
	v_or_b32_e32 v7, 0, v3
	v_or_b32_e32 v6, s35, v2
	v_add_co_u32_e32 v8, vcc, s16, v8
	v_addc_co_u32_e32 v9, vcc, v5, v9, vcc
	v_lshlrev_b64 v[6:7], 2, v[6:7]
	v_add_co_u32_e32 v6, vcc, s16, v6
	v_addc_co_u32_e32 v7, vcc, v5, v7, vcc
	v_lshlrev_b64 v[14:15], 3, v[0:1]
	v_add_co_u32_e32 v14, vcc, s14, v14
	v_or_b32_e32 v3, 0, v3
	v_or_b32_e32 v2, s36, v2
	v_addc_co_u32_e32 v15, vcc, v10, v15, vcc
	v_lshlrev_b64 v[2:3], 2, v[2:3]
	global_load_dwordx2 v[20:21], v[14:15], off
	global_load_dword v4, v[8:9], off
	v_add_co_u32_e32 v2, vcc, s16, v2
	v_addc_co_u32_e32 v3, vcc, v5, v3, vcc
	global_load_dword v14, v[2:3], off
	global_load_dword v15, v[6:7], off
	global_load_dword v13, v[8:9], off offset:12
	s_mov_b64 s[10:11], 0
	s_waitcnt vmcnt(4)
	v_subrev_co_u32_e32 v2, vcc, s34, v20
	s_waitcnt vmcnt(3)
	v_mul_f32_e32 v18, v16, v4
	v_mul_lo_u32 v4, v2, s15
	v_and_b32_e32 v4, 0xff, v4
	v_subb_co_u32_e32 v3, vcc, v21, v12, vcc
	v_pk_mov_b32 v[6:7], v[4:5], v[4:5] op_sel:[0,1]
	s_branch .LBB92_78
.LBB92_77:                              ;   in Loop: Header=BB92_78 Depth=2
	s_or_b64 exec, exec, s[12:13]
	s_xor_b64 s[12:13], s[20:21], -1
	s_and_b64 s[12:13], exec, s[12:13]
	s_or_b64 s[10:11], s[12:13], s[10:11]
	s_andn2_b64 exec, exec, s[10:11]
	s_cbranch_execz .LBB92_88
.LBB92_78:                              ;   Parent Loop BB92_76 Depth=1
                                        ; =>  This Inner Loop Header: Depth=2
	v_lshl_add_u32 v7, v6, 3, 0
	ds_read_b64 v[8:9], v7
                                        ; implicit-def: $sgpr20_sgpr21
	s_waitcnt lgkmcnt(0)
	v_cmp_ne_u64_e32 vcc, v[8:9], v[2:3]
	s_and_saveexec_b64 s[12:13], vcc
	s_xor_b64 s[12:13], exec, s[12:13]
	s_cbranch_execz .LBB92_86
; %bb.79:                               ;   in Loop: Header=BB92_78 Depth=2
	v_cmp_ne_u64_e32 vcc, s[40:41], v[8:9]
                                        ; implicit-def: $sgpr20_sgpr21
	s_and_saveexec_b64 s[22:23], vcc
	s_xor_b64 s[22:23], exec, s[22:23]
; %bb.80:                               ;   in Loop: Header=BB92_78 Depth=2
	v_add_u32_e32 v6, 1, v6
	v_and_b32_e32 v6, 0xff, v6
	s_mov_b64 s[20:21], -1
                                        ; implicit-def: $vgpr7
; %bb.81:                               ;   in Loop: Header=BB92_78 Depth=2
	s_andn2_saveexec_b64 s[22:23], s[22:23]
	s_cbranch_execz .LBB92_85
; %bb.82:                               ;   in Loop: Header=BB92_78 Depth=2
	v_pk_mov_b32 v[8:9], s[40:41], s[40:41] op_sel:[0,1]
	ds_cmpst_rtn_b64 v[8:9], v7, v[8:9], v[2:3]
	s_mov_b64 s[24:25], -1
	s_waitcnt lgkmcnt(0)
	v_cmp_eq_u64_e32 vcc, s[40:41], v[8:9]
	s_and_saveexec_b64 s[26:27], vcc
	s_cbranch_execz .LBB92_84
; %bb.83:                               ;   in Loop: Header=BB92_78 Depth=2
	v_lshl_add_u32 v7, v6, 3, v7
	ds_add_f32 v7, v18 offset:2048
	s_xor_b64 s[24:25], exec, -1
.LBB92_84:                              ;   in Loop: Header=BB92_78 Depth=2
	s_or_b64 exec, exec, s[26:27]
	s_andn2_b64 s[20:21], s[20:21], exec
	s_and_b64 s[24:25], s[24:25], exec
	s_or_b64 s[20:21], s[20:21], s[24:25]
.LBB92_85:                              ;   in Loop: Header=BB92_78 Depth=2
	s_or_b64 exec, exec, s[22:23]
	s_and_b64 s[20:21], s[20:21], exec
                                        ; implicit-def: $vgpr7
.LBB92_86:                              ;   in Loop: Header=BB92_78 Depth=2
	s_andn2_saveexec_b64 s[12:13], s[12:13]
	s_cbranch_execz .LBB92_77
; %bb.87:                               ;   in Loop: Header=BB92_78 Depth=2
	v_lshl_add_u32 v7, v6, 3, v7
	ds_add_f32 v7, v18 offset:2048
	s_andn2_b64 s[20:21], s[20:21], exec
	s_branch .LBB92_77
.LBB92_88:                              ;   in Loop: Header=BB92_76 Depth=1
	s_or_b64 exec, exec, s[10:11]
	s_waitcnt vmcnt(1)
	v_mul_f32_e32 v15, v16, v15
	s_mov_b64 s[10:11], 0
	v_pk_mov_b32 v[6:7], v[4:5], v[4:5] op_sel:[0,1]
	s_branch .LBB92_90
.LBB92_89:                              ;   in Loop: Header=BB92_90 Depth=2
	s_or_b64 exec, exec, s[12:13]
	s_xor_b64 s[12:13], s[20:21], -1
	s_and_b64 s[12:13], exec, s[12:13]
	s_or_b64 s[10:11], s[12:13], s[10:11]
	s_andn2_b64 exec, exec, s[10:11]
	s_cbranch_execz .LBB92_100
.LBB92_90:                              ;   Parent Loop BB92_76 Depth=1
                                        ; =>  This Inner Loop Header: Depth=2
	v_lshl_add_u32 v7, v6, 3, 0
	ds_read_b64 v[8:9], v7
                                        ; implicit-def: $sgpr20_sgpr21
	s_waitcnt lgkmcnt(0)
	v_cmp_ne_u64_e32 vcc, v[8:9], v[2:3]
	s_and_saveexec_b64 s[12:13], vcc
	s_xor_b64 s[12:13], exec, s[12:13]
	s_cbranch_execz .LBB92_98
; %bb.91:                               ;   in Loop: Header=BB92_90 Depth=2
	v_cmp_ne_u64_e32 vcc, s[40:41], v[8:9]
                                        ; implicit-def: $sgpr20_sgpr21
	s_and_saveexec_b64 s[22:23], vcc
	s_xor_b64 s[22:23], exec, s[22:23]
; %bb.92:                               ;   in Loop: Header=BB92_90 Depth=2
	v_add_u32_e32 v6, 1, v6
	v_and_b32_e32 v6, 0xff, v6
	s_mov_b64 s[20:21], -1
                                        ; implicit-def: $vgpr7
; %bb.93:                               ;   in Loop: Header=BB92_90 Depth=2
	s_andn2_saveexec_b64 s[22:23], s[22:23]
	s_cbranch_execz .LBB92_97
; %bb.94:                               ;   in Loop: Header=BB92_90 Depth=2
	v_pk_mov_b32 v[8:9], s[40:41], s[40:41] op_sel:[0,1]
	ds_cmpst_rtn_b64 v[8:9], v7, v[8:9], v[2:3]
	s_mov_b64 s[24:25], -1
	s_waitcnt lgkmcnt(0)
	v_cmp_eq_u64_e32 vcc, s[40:41], v[8:9]
	s_and_saveexec_b64 s[26:27], vcc
	s_cbranch_execz .LBB92_96
; %bb.95:                               ;   in Loop: Header=BB92_90 Depth=2
	v_lshl_add_u32 v7, v6, 3, v7
	ds_add_f32 v7, v15 offset:2052
	s_xor_b64 s[24:25], exec, -1
.LBB92_96:                              ;   in Loop: Header=BB92_90 Depth=2
	s_or_b64 exec, exec, s[26:27]
	s_andn2_b64 s[20:21], s[20:21], exec
	s_and_b64 s[24:25], s[24:25], exec
	s_or_b64 s[20:21], s[20:21], s[24:25]
.LBB92_97:                              ;   in Loop: Header=BB92_90 Depth=2
	s_or_b64 exec, exec, s[22:23]
	s_and_b64 s[20:21], s[20:21], exec
                                        ; implicit-def: $vgpr7
.LBB92_98:                              ;   in Loop: Header=BB92_90 Depth=2
	s_andn2_saveexec_b64 s[12:13], s[12:13]
	s_cbranch_execz .LBB92_89
; %bb.99:                               ;   in Loop: Header=BB92_90 Depth=2
	v_lshl_add_u32 v7, v6, 3, v7
	ds_add_f32 v7, v15 offset:2052
	s_andn2_b64 s[20:21], s[20:21], exec
	s_branch .LBB92_89
.LBB92_100:                             ;   in Loop: Header=BB92_76 Depth=1
	s_or_b64 exec, exec, s[10:11]
	v_mul_f32_e32 v14, v16, v14
	s_mov_b64 s[10:11], 0
	v_pk_mov_b32 v[6:7], v[4:5], v[4:5] op_sel:[0,1]
	s_branch .LBB92_102
.LBB92_101:                             ;   in Loop: Header=BB92_102 Depth=2
	s_or_b64 exec, exec, s[12:13]
	s_xor_b64 s[12:13], s[20:21], -1
	s_and_b64 s[12:13], exec, s[12:13]
	s_or_b64 s[10:11], s[12:13], s[10:11]
	s_andn2_b64 exec, exec, s[10:11]
	s_cbranch_execz .LBB92_112
.LBB92_102:                             ;   Parent Loop BB92_76 Depth=1
                                        ; =>  This Inner Loop Header: Depth=2
	v_lshl_add_u32 v7, v6, 3, 0
	ds_read_b64 v[8:9], v7
                                        ; implicit-def: $sgpr20_sgpr21
	s_waitcnt lgkmcnt(0)
	v_cmp_ne_u64_e32 vcc, v[8:9], v[2:3]
	s_and_saveexec_b64 s[12:13], vcc
	s_xor_b64 s[12:13], exec, s[12:13]
	s_cbranch_execz .LBB92_110
; %bb.103:                              ;   in Loop: Header=BB92_102 Depth=2
	v_cmp_ne_u64_e32 vcc, s[40:41], v[8:9]
                                        ; implicit-def: $sgpr20_sgpr21
	s_and_saveexec_b64 s[22:23], vcc
	s_xor_b64 s[22:23], exec, s[22:23]
; %bb.104:                              ;   in Loop: Header=BB92_102 Depth=2
	v_add_u32_e32 v6, 1, v6
	v_and_b32_e32 v6, 0xff, v6
	s_mov_b64 s[20:21], -1
                                        ; implicit-def: $vgpr7
; %bb.105:                              ;   in Loop: Header=BB92_102 Depth=2
	s_andn2_saveexec_b64 s[22:23], s[22:23]
	s_cbranch_execz .LBB92_109
; %bb.106:                              ;   in Loop: Header=BB92_102 Depth=2
	v_pk_mov_b32 v[8:9], s[40:41], s[40:41] op_sel:[0,1]
	ds_cmpst_rtn_b64 v[8:9], v7, v[8:9], v[2:3]
	s_mov_b64 s[24:25], -1
	s_waitcnt lgkmcnt(0)
	v_cmp_eq_u64_e32 vcc, s[40:41], v[8:9]
	s_and_saveexec_b64 s[26:27], vcc
	s_cbranch_execz .LBB92_108
; %bb.107:                              ;   in Loop: Header=BB92_102 Depth=2
	v_lshl_add_u32 v7, v6, 3, v7
	ds_add_f32 v7, v14 offset:2056
	s_xor_b64 s[24:25], exec, -1
.LBB92_108:                             ;   in Loop: Header=BB92_102 Depth=2
	s_or_b64 exec, exec, s[26:27]
	s_andn2_b64 s[20:21], s[20:21], exec
	s_and_b64 s[24:25], s[24:25], exec
	s_or_b64 s[20:21], s[20:21], s[24:25]
.LBB92_109:                             ;   in Loop: Header=BB92_102 Depth=2
	s_or_b64 exec, exec, s[22:23]
	s_and_b64 s[20:21], s[20:21], exec
                                        ; implicit-def: $vgpr7
.LBB92_110:                             ;   in Loop: Header=BB92_102 Depth=2
	s_andn2_saveexec_b64 s[12:13], s[12:13]
	s_cbranch_execz .LBB92_101
; %bb.111:                              ;   in Loop: Header=BB92_102 Depth=2
	v_lshl_add_u32 v7, v6, 3, v7
	ds_add_f32 v7, v14 offset:2056
	s_andn2_b64 s[20:21], s[20:21], exec
	s_branch .LBB92_101
.LBB92_112:                             ;   in Loop: Header=BB92_76 Depth=1
	s_or_b64 exec, exec, s[10:11]
	s_waitcnt vmcnt(0)
	v_mul_f32_e32 v8, v16, v13
	s_mov_b64 s[10:11], 0
	s_branch .LBB92_114
.LBB92_113:                             ;   in Loop: Header=BB92_114 Depth=2
	s_or_b64 exec, exec, s[12:13]
	s_xor_b64 s[12:13], s[20:21], -1
	s_and_b64 s[12:13], exec, s[12:13]
	s_or_b64 s[10:11], s[12:13], s[10:11]
	s_andn2_b64 exec, exec, s[10:11]
	s_cbranch_execz .LBB92_75
.LBB92_114:                             ;   Parent Loop BB92_76 Depth=1
                                        ; =>  This Inner Loop Header: Depth=2
	v_lshl_add_u32 v9, v4, 3, 0
	ds_read_b64 v[6:7], v9
                                        ; implicit-def: $sgpr20_sgpr21
	s_waitcnt lgkmcnt(0)
	v_cmp_ne_u64_e32 vcc, v[6:7], v[2:3]
	s_and_saveexec_b64 s[12:13], vcc
	s_xor_b64 s[12:13], exec, s[12:13]
	s_cbranch_execz .LBB92_122
; %bb.115:                              ;   in Loop: Header=BB92_114 Depth=2
	v_cmp_ne_u64_e32 vcc, s[40:41], v[6:7]
                                        ; implicit-def: $sgpr20_sgpr21
	s_and_saveexec_b64 s[22:23], vcc
	s_xor_b64 s[22:23], exec, s[22:23]
; %bb.116:                              ;   in Loop: Header=BB92_114 Depth=2
	v_add_u32_e32 v4, 1, v4
	v_and_b32_e32 v4, 0xff, v4
	s_mov_b64 s[20:21], -1
                                        ; implicit-def: $vgpr9
; %bb.117:                              ;   in Loop: Header=BB92_114 Depth=2
	s_andn2_saveexec_b64 s[22:23], s[22:23]
	s_cbranch_execz .LBB92_121
; %bb.118:                              ;   in Loop: Header=BB92_114 Depth=2
	v_pk_mov_b32 v[6:7], s[40:41], s[40:41] op_sel:[0,1]
	ds_cmpst_rtn_b64 v[6:7], v9, v[6:7], v[2:3]
	s_mov_b64 s[24:25], -1
	s_waitcnt lgkmcnt(0)
	v_cmp_eq_u64_e32 vcc, s[40:41], v[6:7]
	s_and_saveexec_b64 s[26:27], vcc
	s_cbranch_execz .LBB92_120
; %bb.119:                              ;   in Loop: Header=BB92_114 Depth=2
	v_lshl_add_u32 v6, v4, 3, v9
	ds_add_f32 v6, v8 offset:2060
	s_xor_b64 s[24:25], exec, -1
.LBB92_120:                             ;   in Loop: Header=BB92_114 Depth=2
	s_or_b64 exec, exec, s[26:27]
	s_andn2_b64 s[20:21], s[20:21], exec
	s_and_b64 s[24:25], s[24:25], exec
	s_or_b64 s[20:21], s[20:21], s[24:25]
.LBB92_121:                             ;   in Loop: Header=BB92_114 Depth=2
	s_or_b64 exec, exec, s[22:23]
	s_and_b64 s[20:21], s[20:21], exec
                                        ; implicit-def: $vgpr9
.LBB92_122:                             ;   in Loop: Header=BB92_114 Depth=2
	s_andn2_saveexec_b64 s[12:13], s[12:13]
	s_cbranch_execz .LBB92_113
; %bb.123:                              ;   in Loop: Header=BB92_114 Depth=2
	v_lshl_add_u32 v6, v4, 3, v9
	ds_add_f32 v6, v8 offset:2060
	s_andn2_b64 s[20:21], s[20:21], exec
	s_branch .LBB92_113
.LBB92_124:
	s_or_b64 exec, exec, s[4:5]
.LBB92_125:
	s_waitcnt lgkmcnt(0)
	s_barrier
	s_and_saveexec_b64 s[2:3], s[0:1]
	s_cbranch_execz .LBB92_130
; %bb.126:
	ds_read_b64 v[0:1], v17
	s_mov_b32 s0, 0
	s_waitcnt lgkmcnt(0)
	v_cmp_gt_i64_e32 vcc, s[40:41], v[0:1]
	s_and_b64 exec, exec, vcc
	s_cbranch_execz .LBB92_130
; %bb.127:
	s_lshl_b64 s[2:3], s[6:7], 3
	s_add_u32 s2, s18, s2
	s_addc_u32 s3, s19, s3
	s_load_dwordx2 s[2:3], s[2:3], 0x0
	s_mov_b32 s1, s0
	s_waitcnt lgkmcnt(0)
	s_sub_u32 s2, s2, s38
	s_subb_u32 s3, s3, 0
	v_pk_mov_b32 v[2:3], s[2:3], s[2:3] op_sel:[0,1]
.LBB92_128:                             ; =>This Inner Loop Header: Depth=1
	s_add_i32 s2, s1, 0
	v_mov_b32_e32 v8, s2
	ds_read2_b64 v[4:7], v8 offset1:1
	ds_read2_b64 v[12:15], v8 offset0:2 offset1:3
	ds_read2_b64 v[16:19], v8 offset0:4 offset1:5
	;; [unrolled: 1-line block ×7, first 2 shown]
	s_waitcnt lgkmcnt(7)
	v_cmp_gt_i64_e32 vcc, v[0:1], v[4:5]
	v_cndmask_b32_e64 v4, 0, 1, vcc
	v_cmp_gt_i64_e32 vcc, v[0:1], v[6:7]
	v_cndmask_b32_e64 v5, 0, 1, vcc
	s_waitcnt lgkmcnt(6)
	v_cmp_gt_i64_e32 vcc, v[0:1], v[12:13]
	v_cndmask_b32_e64 v6, 0, 1, vcc
	v_cmp_gt_i64_e32 vcc, v[0:1], v[14:15]
	v_cndmask_b32_e64 v7, 0, 1, vcc
	;; [unrolled: 5-line block ×8, first 2 shown]
	v_add_co_u32_e32 v2, vcc, v2, v4
	v_addc_co_u32_e32 v3, vcc, 0, v3, vcc
	v_add_co_u32_e32 v2, vcc, v2, v5
	v_addc_co_u32_e32 v3, vcc, 0, v3, vcc
	;; [unrolled: 2-line block ×15, first 2 shown]
	s_addk_i32 s1, 0x80
	v_add_co_u32_e32 v2, vcc, v2, v20
	s_cmpk_lg_i32 s1, 0x800
	v_addc_co_u32_e32 v3, vcc, 0, v3, vcc
	s_cbranch_scc1 .LBB92_128
; %bb.129:
	v_mov_b32_e32 v4, s0
	v_add_co_u32_e32 v0, vcc, s38, v0
	v_addc_co_u32_e32 v1, vcc, v1, v4, vcc
	v_lshlrev_b64 v[4:5], 3, v[2:3]
	v_mov_b32_e32 v6, s29
	v_add_co_u32_e32 v4, vcc, s28, v4
	s_add_i32 s1, 0, 0x800
	v_addc_co_u32_e32 v5, vcc, v6, v5, vcc
	s_cmp_eq_u32 s33, 0
	global_store_dwordx2 v[4:5], v[0:1], off
	v_lshlrev_b32_e32 v1, 2, v11
	v_lshlrev_b64 v[4:5], 4, v[2:3]
	v_add_u32_e32 v3, s1, v1
	s_cselect_b32 s0, 1, 2
	s_cselect_b32 s1, 2, 1
	v_add_u32_e32 v0, 0, v1
	v_or_b32_e32 v1, s0, v11
	v_or_b32_e32 v2, s1, v11
	v_lshl_add_u32 v1, v1, 2, 0
	v_lshl_add_u32 v2, v2, 2, 0
	ds_read_b32 v0, v0 offset:2048
	ds_read_b32 v2, v2 offset:2048
	;; [unrolled: 1-line block ×4, first 2 shown]
	v_mov_b32_e32 v6, s31
	v_add_co_u32_e32 v4, vcc, s30, v4
	v_addc_co_u32_e32 v5, vcc, v6, v5, vcc
	s_waitcnt lgkmcnt(0)
	global_store_dwordx4 v[4:5], v[0:3], off
.LBB92_130:
	s_endpgm
	.section	.rodata,"a",@progbits
	.p2align	6, 0x0
	.amdhsa_kernel _ZN9rocsparseL30bsrgemm_fill_block_per_row_2x2ILj256ELj16ELj256ELj137EllfEEv20rocsparse_direction_T4_S2_PKS2_S4_NS_24const_host_device_scalarIT5_EEPKT3_S4_PKS6_SA_S4_SC_S7_SA_S4_SC_SA_PS2_PS6_21rocsparse_index_base_SF_SF_SF_bbb
		.amdhsa_group_segment_fixed_size 0
		.amdhsa_private_segment_fixed_size 0
		.amdhsa_kernarg_size 172
		.amdhsa_user_sgpr_count 6
		.amdhsa_user_sgpr_private_segment_buffer 1
		.amdhsa_user_sgpr_dispatch_ptr 0
		.amdhsa_user_sgpr_queue_ptr 0
		.amdhsa_user_sgpr_kernarg_segment_ptr 1
		.amdhsa_user_sgpr_dispatch_id 0
		.amdhsa_user_sgpr_flat_scratch_init 0
		.amdhsa_user_sgpr_kernarg_preload_length 0
		.amdhsa_user_sgpr_kernarg_preload_offset 0
		.amdhsa_user_sgpr_private_segment_size 0
		.amdhsa_uses_dynamic_stack 0
		.amdhsa_system_sgpr_private_segment_wavefront_offset 0
		.amdhsa_system_sgpr_workgroup_id_x 1
		.amdhsa_system_sgpr_workgroup_id_y 0
		.amdhsa_system_sgpr_workgroup_id_z 0
		.amdhsa_system_sgpr_workgroup_info 0
		.amdhsa_system_vgpr_workitem_id 0
		.amdhsa_next_free_vgpr 40
		.amdhsa_next_free_sgpr 61
		.amdhsa_accum_offset 40
		.amdhsa_reserve_vcc 1
		.amdhsa_reserve_flat_scratch 0
		.amdhsa_float_round_mode_32 0
		.amdhsa_float_round_mode_16_64 0
		.amdhsa_float_denorm_mode_32 3
		.amdhsa_float_denorm_mode_16_64 3
		.amdhsa_dx10_clamp 1
		.amdhsa_ieee_mode 1
		.amdhsa_fp16_overflow 0
		.amdhsa_tg_split 0
		.amdhsa_exception_fp_ieee_invalid_op 0
		.amdhsa_exception_fp_denorm_src 0
		.amdhsa_exception_fp_ieee_div_zero 0
		.amdhsa_exception_fp_ieee_overflow 0
		.amdhsa_exception_fp_ieee_underflow 0
		.amdhsa_exception_fp_ieee_inexact 0
		.amdhsa_exception_int_div_zero 0
	.end_amdhsa_kernel
	.section	.text._ZN9rocsparseL30bsrgemm_fill_block_per_row_2x2ILj256ELj16ELj256ELj137EllfEEv20rocsparse_direction_T4_S2_PKS2_S4_NS_24const_host_device_scalarIT5_EEPKT3_S4_PKS6_SA_S4_SC_S7_SA_S4_SC_SA_PS2_PS6_21rocsparse_index_base_SF_SF_SF_bbb,"axG",@progbits,_ZN9rocsparseL30bsrgemm_fill_block_per_row_2x2ILj256ELj16ELj256ELj137EllfEEv20rocsparse_direction_T4_S2_PKS2_S4_NS_24const_host_device_scalarIT5_EEPKT3_S4_PKS6_SA_S4_SC_S7_SA_S4_SC_SA_PS2_PS6_21rocsparse_index_base_SF_SF_SF_bbb,comdat
.Lfunc_end92:
	.size	_ZN9rocsparseL30bsrgemm_fill_block_per_row_2x2ILj256ELj16ELj256ELj137EllfEEv20rocsparse_direction_T4_S2_PKS2_S4_NS_24const_host_device_scalarIT5_EEPKT3_S4_PKS6_SA_S4_SC_S7_SA_S4_SC_SA_PS2_PS6_21rocsparse_index_base_SF_SF_SF_bbb, .Lfunc_end92-_ZN9rocsparseL30bsrgemm_fill_block_per_row_2x2ILj256ELj16ELj256ELj137EllfEEv20rocsparse_direction_T4_S2_PKS2_S4_NS_24const_host_device_scalarIT5_EEPKT3_S4_PKS6_SA_S4_SC_S7_SA_S4_SC_SA_PS2_PS6_21rocsparse_index_base_SF_SF_SF_bbb
                                        ; -- End function
	.section	.AMDGPU.csdata,"",@progbits
; Kernel info:
; codeLenInByte = 3964
; NumSgprs: 65
; NumVgprs: 40
; NumAgprs: 0
; TotalNumVgprs: 40
; ScratchSize: 0
; MemoryBound: 0
; FloatMode: 240
; IeeeMode: 1
; LDSByteSize: 0 bytes/workgroup (compile time only)
; SGPRBlocks: 8
; VGPRBlocks: 4
; NumSGPRsForWavesPerEU: 65
; NumVGPRsForWavesPerEU: 40
; AccumOffset: 40
; Occupancy: 8
; WaveLimiterHint : 1
; COMPUTE_PGM_RSRC2:SCRATCH_EN: 0
; COMPUTE_PGM_RSRC2:USER_SGPR: 6
; COMPUTE_PGM_RSRC2:TRAP_HANDLER: 0
; COMPUTE_PGM_RSRC2:TGID_X_EN: 1
; COMPUTE_PGM_RSRC2:TGID_Y_EN: 0
; COMPUTE_PGM_RSRC2:TGID_Z_EN: 0
; COMPUTE_PGM_RSRC2:TIDIG_COMP_CNT: 0
; COMPUTE_PGM_RSRC3_GFX90A:ACCUM_OFFSET: 9
; COMPUTE_PGM_RSRC3_GFX90A:TG_SPLIT: 0
	.section	.text._ZN9rocsparseL30bsrgemm_fill_block_per_row_2x2ILj256ELj16ELj512ELj137EllfEEv20rocsparse_direction_T4_S2_PKS2_S4_NS_24const_host_device_scalarIT5_EEPKT3_S4_PKS6_SA_S4_SC_S7_SA_S4_SC_SA_PS2_PS6_21rocsparse_index_base_SF_SF_SF_bbb,"axG",@progbits,_ZN9rocsparseL30bsrgemm_fill_block_per_row_2x2ILj256ELj16ELj512ELj137EllfEEv20rocsparse_direction_T4_S2_PKS2_S4_NS_24const_host_device_scalarIT5_EEPKT3_S4_PKS6_SA_S4_SC_S7_SA_S4_SC_SA_PS2_PS6_21rocsparse_index_base_SF_SF_SF_bbb,comdat
	.globl	_ZN9rocsparseL30bsrgemm_fill_block_per_row_2x2ILj256ELj16ELj512ELj137EllfEEv20rocsparse_direction_T4_S2_PKS2_S4_NS_24const_host_device_scalarIT5_EEPKT3_S4_PKS6_SA_S4_SC_S7_SA_S4_SC_SA_PS2_PS6_21rocsparse_index_base_SF_SF_SF_bbb ; -- Begin function _ZN9rocsparseL30bsrgemm_fill_block_per_row_2x2ILj256ELj16ELj512ELj137EllfEEv20rocsparse_direction_T4_S2_PKS2_S4_NS_24const_host_device_scalarIT5_EEPKT3_S4_PKS6_SA_S4_SC_S7_SA_S4_SC_SA_PS2_PS6_21rocsparse_index_base_SF_SF_SF_bbb
	.p2align	8
	.type	_ZN9rocsparseL30bsrgemm_fill_block_per_row_2x2ILj256ELj16ELj512ELj137EllfEEv20rocsparse_direction_T4_S2_PKS2_S4_NS_24const_host_device_scalarIT5_EEPKT3_S4_PKS6_SA_S4_SC_S7_SA_S4_SC_SA_PS2_PS6_21rocsparse_index_base_SF_SF_SF_bbb,@function
_ZN9rocsparseL30bsrgemm_fill_block_per_row_2x2ILj256ELj16ELj512ELj137EllfEEv20rocsparse_direction_T4_S2_PKS2_S4_NS_24const_host_device_scalarIT5_EEPKT3_S4_PKS6_SA_S4_SC_S7_SA_S4_SC_SA_PS2_PS6_21rocsparse_index_base_SF_SF_SF_bbb: ; @_ZN9rocsparseL30bsrgemm_fill_block_per_row_2x2ILj256ELj16ELj512ELj137EllfEEv20rocsparse_direction_T4_S2_PKS2_S4_NS_24const_host_device_scalarIT5_EEPKT3_S4_PKS6_SA_S4_SC_S7_SA_S4_SC_SA_PS2_PS6_21rocsparse_index_base_SF_SF_SF_bbb
; %bb.0:
	s_load_dword s7, s[4:5], 0xa8
	s_load_dwordx2 s[2:3], s[4:5], 0x28
	s_load_dwordx2 s[0:1], s[4:5], 0x60
	s_waitcnt lgkmcnt(0)
	s_bitcmp1_b32 s7, 0
	s_cselect_b64 s[8:9], -1, 0
	s_bitcmp1_b32 s7, 16
	s_cselect_b64 s[10:11], -1, 0
	s_xor_b64 s[12:13], s[8:9], -1
	s_or_b64 s[12:13], s[12:13], s[10:11]
	s_and_b64 vcc, exec, s[12:13]
	s_cbranch_vccnz .LBB93_2
; %bb.1:
	s_load_dword s2, s[2:3], 0x0
	s_waitcnt lgkmcnt(0)
	v_mov_b32_e32 v11, s2
	s_branch .LBB93_3
.LBB93_2:
	v_mov_b32_e32 v1, s2
	v_cndmask_b32_e64 v11, 0, v1, s[8:9]
.LBB93_3:
	s_load_dwordx4 s[28:31], s[4:5], 0x98
	s_bitcmp1_b32 s7, 8
	s_cselect_b64 s[2:3], -1, 0
	s_xor_b64 s[12:13], s[2:3], -1
	s_or_b64 s[10:11], s[12:13], s[10:11]
	s_and_b64 vcc, exec, s[10:11]
	s_cbranch_vccnz .LBB93_5
; %bb.4:
	s_load_dword s0, s[0:1], 0x0
	s_waitcnt lgkmcnt(0)
	v_mov_b32_e32 v1, s0
	s_branch .LBB93_6
.LBB93_5:
	v_mov_b32_e32 v1, s0
	v_cndmask_b32_e64 v1, 0, v1, s[2:3]
.LBB93_6:
	s_load_dwordx4 s[36:39], s[4:5], 0x88
	s_load_dwordx8 s[12:19], s[4:5], 0x68
	s_load_dwordx4 s[44:47], s[4:5], 0x50
	s_load_dwordx4 s[40:43], s[4:5], 0x10
	s_load_dwordx2 s[10:11], s[4:5], 0x20
	s_load_dwordx8 s[20:27], s[4:5], 0x30
	s_movk_i32 s0, 0x200
	v_cmp_gt_u32_e64 s[0:1], s0, v0
	s_and_saveexec_b64 s[34:35], s[0:1]
	s_cbranch_execz .LBB93_9
; %bb.7:
	v_or_b32_e32 v4, 0xffffff00, v0
	v_lshl_add_u32 v5, v0, 3, 0
	s_mov_b64 s[48:49], 0
	s_waitcnt lgkmcnt(0)
	v_pk_mov_b32 v[2:3], s[40:41], s[40:41] op_sel:[0,1]
.LBB93_8:                               ; =>This Inner Loop Header: Depth=1
	v_add_co_u32_e32 v4, vcc, 0x100, v4
	s_xor_b64 s[50:51], vcc, -1
	s_and_b64 s[50:51], exec, s[50:51]
	ds_write_b64 v5, v[2:3]
	s_or_b64 s[48:49], s[50:51], s[48:49]
	v_add_u32_e32 v5, 0x800, v5
	s_andn2_b64 exec, exec, s[48:49]
	s_cbranch_execnz .LBB93_8
.LBB93_9:
	s_or_b64 exec, exec, s[34:35]
	v_lshl_add_u32 v2, v0, 2, 0
	s_mov_b32 s7, 0
	v_add_u32_e32 v2, 0x1000, v2
	s_mov_b64 s[34:35], 0
	v_mov_b32_e32 v3, 0
	s_branch .LBB93_11
.LBB93_10:                              ;   in Loop: Header=BB93_11 Depth=1
	s_or_b64 exec, exec, s[50:51]
	s_add_i32 s7, s7, 2
	v_cmp_eq_u32_e64 s[48:49], 8, s7
	s_or_b64 s[34:35], s[48:49], s[34:35]
	v_add_u32_e32 v2, 0x800, v2
	s_andn2_b64 exec, exec, s[34:35]
	s_cbranch_execz .LBB93_15
.LBB93_11:                              ; =>This Inner Loop Header: Depth=1
	s_or_b32 s33, s7, 1
	v_cmp_le_u32_e64 s[48:49], s33, 7
	v_cmp_le_u32_e64 s[52:53], s7, 7
	s_and_saveexec_b64 s[50:51], s[52:53]
	s_cbranch_execz .LBB93_13
; %bb.12:                               ;   in Loop: Header=BB93_11 Depth=1
	ds_write_b32 v2, v3
.LBB93_13:                              ;   in Loop: Header=BB93_11 Depth=1
	s_or_b64 exec, exec, s[50:51]
	s_and_saveexec_b64 s[50:51], s[48:49]
	s_cbranch_execz .LBB93_10
; %bb.14:                               ;   in Loop: Header=BB93_11 Depth=1
	ds_write_b32 v2, v3 offset:1024
	s_branch .LBB93_10
.LBB93_15:
	s_or_b64 exec, exec, s[34:35]
	s_waitcnt lgkmcnt(0)
	s_cmp_eq_u64 s[10:11], 0
	s_mov_b32 s7, 0
	s_barrier
	s_cbranch_scc1 .LBB93_17
; %bb.16:
	s_load_dwordx2 s[34:35], s[42:43], 0x0
	s_waitcnt lgkmcnt(0)
	s_lshl_b64 s[34:35], s[34:35], 3
	s_add_u32 s10, s10, s34
	s_addc_u32 s11, s11, s35
	s_lshl_b64 s[6:7], s[6:7], 3
	s_add_u32 s6, s10, s6
	s_addc_u32 s7, s11, s7
	s_load_dwordx2 s[6:7], s[6:7], 0x0
.LBB93_17:
	s_nop 0
	s_load_dword s33, s[4:5], 0x0
	s_andn2_b64 vcc, exec, s[8:9]
	s_cbranch_vccnz .LBB93_73
; %bb.18:
	s_waitcnt lgkmcnt(0)
	s_lshl_b64 s[4:5], s[6:7], 3
	s_add_u32 s4, s20, s4
	s_addc_u32 s5, s21, s5
	s_load_dwordx4 s[8:11], s[4:5], 0x0
	v_lshrrev_b32_e32 v2, 4, v0
	v_subrev_co_u32_e32 v2, vcc, s28, v2
	s_mov_b32 s20, 0
	s_waitcnt lgkmcnt(0)
	s_sub_u32 s4, s10, s28
	s_subb_u32 s5, s11, 0
	v_subb_co_u32_e64 v3, s[10:11], 0, 0, vcc
	v_mov_b32_e32 v4, s9
	v_add_co_u32_e32 v2, vcc, s8, v2
	v_addc_co_u32_e32 v3, vcc, v4, v3, vcc
	v_cmp_gt_i64_e32 vcc, s[4:5], v[2:3]
	s_and_saveexec_b64 s[8:9], vcc
	s_cbranch_execz .LBB93_72
; %bb.19:
	v_and_b32_e32 v4, 15, v0
	v_subrev_co_u32_e32 v16, vcc, s29, v4
	s_cmp_eq_u32 s33, 0
	v_subb_co_u32_e64 v17, s[10:11], 0, 0, vcc
	s_mov_b32 s56, s28
	s_mov_b32 s57, s29
	;; [unrolled: 1-line block ×3, first 2 shown]
	s_cselect_b32 s59, 1, 2
	s_cselect_b32 s60, 2, 1
	s_mov_b64 s[10:11], 0
	v_mov_b32_e32 v18, s23
	v_mov_b32_e32 v19, s20
	;; [unrolled: 1-line block ×4, first 2 shown]
	s_movk_i32 s23, 0x89
	s_branch .LBB93_21
.LBB93_20:                              ;   in Loop: Header=BB93_21 Depth=1
	s_or_b64 exec, exec, s[20:21]
	v_add_co_u32_e32 v2, vcc, 16, v2
	v_addc_co_u32_e32 v3, vcc, 0, v3, vcc
	v_cmp_le_i64_e32 vcc, s[4:5], v[2:3]
	s_or_b64 s[10:11], vcc, s[10:11]
	s_andn2_b64 exec, exec, s[10:11]
	s_cbranch_execz .LBB93_72
.LBB93_21:                              ; =>This Loop Header: Depth=1
                                        ;     Child Loop BB93_24 Depth 2
                                        ;       Child Loop BB93_26 Depth 3
                                        ;       Child Loop BB93_38 Depth 3
                                        ;       Child Loop BB93_50 Depth 3
                                        ;       Child Loop BB93_62 Depth 3
	v_lshlrev_b64 v[4:5], 3, v[2:3]
	v_add_co_u32_e32 v4, vcc, s22, v4
	v_addc_co_u32_e32 v5, vcc, v18, v5, vcc
	global_load_dwordx2 v[4:5], v[4:5], off
	s_waitcnt vmcnt(0)
	v_subrev_co_u32_e32 v4, vcc, s56, v4
	v_subb_co_u32_e32 v5, vcc, v5, v19, vcc
	v_lshlrev_b64 v[4:5], 3, v[4:5]
	v_add_co_u32_e32 v4, vcc, s26, v4
	v_addc_co_u32_e32 v5, vcc, v20, v5, vcc
	global_load_dwordx4 v[6:9], v[4:5], off
	s_waitcnt vmcnt(0)
	v_subrev_co_u32_e32 v4, vcc, s57, v8
	v_subb_co_u32_e32 v5, vcc, v9, v21, vcc
	v_add_co_u32_e32 v6, vcc, v6, v16
	v_addc_co_u32_e32 v7, vcc, v7, v17, vcc
	v_cmp_lt_i64_e32 vcc, v[6:7], v[4:5]
	s_and_saveexec_b64 s[20:21], vcc
	s_cbranch_execz .LBB93_20
; %bb.22:                               ;   in Loop: Header=BB93_21 Depth=1
	v_lshlrev_b64 v[8:9], 2, v[2:3]
	v_lshlrev_b64 v[14:15], 4, v[2:3]
	v_or_b32_e32 v13, 0, v9
	v_or_b32_e32 v12, s59, v8
	;; [unrolled: 1-line block ×4, first 2 shown]
	v_mov_b32_e32 v10, s25
	v_add_co_u32_e32 v14, vcc, s24, v14
	v_addc_co_u32_e32 v15, vcc, v10, v15, vcc
	v_lshlrev_b64 v[8:9], 2, v[8:9]
	v_add_co_u32_e32 v8, vcc, s24, v8
	v_addc_co_u32_e32 v9, vcc, v10, v9, vcc
	v_lshlrev_b64 v[12:13], 2, v[12:13]
	v_add_co_u32_e32 v12, vcc, s24, v12
	v_addc_co_u32_e32 v13, vcc, v10, v13, vcc
	global_load_dword v10, v[14:15], off offset:12
	global_load_dword v23, v[8:9], off
	global_load_dword v24, v[12:13], off
	;; [unrolled: 1-line block ×3, first 2 shown]
	s_mov_b64 s[28:29], 0
	s_waitcnt vmcnt(3)
	v_mul_f32_e32 v22, v11, v10
	s_waitcnt vmcnt(2)
	v_mul_f32_e32 v23, v11, v23
	;; [unrolled: 2-line block ×4, first 2 shown]
	s_branch .LBB93_24
.LBB93_23:                              ;   in Loop: Header=BB93_24 Depth=2
	s_or_b64 exec, exec, s[34:35]
	v_add_co_u32_e32 v6, vcc, 16, v6
	v_addc_co_u32_e32 v7, vcc, 0, v7, vcc
	v_cmp_ge_i64_e32 vcc, v[6:7], v[4:5]
	s_or_b64 s[28:29], vcc, s[28:29]
	s_andn2_b64 exec, exec, s[28:29]
	s_cbranch_execz .LBB93_20
.LBB93_24:                              ;   Parent Loop BB93_21 Depth=1
                                        ; =>  This Loop Header: Depth=2
                                        ;       Child Loop BB93_26 Depth 3
                                        ;       Child Loop BB93_38 Depth 3
	;; [unrolled: 1-line block ×4, first 2 shown]
	v_lshlrev_b64 v[8:9], 3, v[6:7]
	v_mov_b32_e32 v10, s45
	v_add_co_u32_e32 v8, vcc, s44, v8
	v_addc_co_u32_e32 v9, vcc, v10, v9, vcc
	v_lshlrev_b64 v[12:13], 2, v[6:7]
	v_lshlrev_b64 v[26:27], 4, v[6:7]
	v_or_b32_e32 v15, 0, v13
	v_or_b32_e32 v14, s59, v12
	;; [unrolled: 1-line block ×4, first 2 shown]
	v_mov_b32_e32 v10, s47
	v_add_co_u32_e32 v30, vcc, s46, v26
	v_addc_co_u32_e32 v31, vcc, v10, v27, vcc
	v_lshlrev_b64 v[12:13], 2, v[12:13]
	global_load_dwordx2 v[8:9], v[8:9], off
	v_add_co_u32_e32 v12, vcc, s46, v12
	v_lshlrev_b64 v[14:15], 2, v[14:15]
	v_addc_co_u32_e32 v13, vcc, v10, v13, vcc
	global_load_dword v28, v[30:31], off
	global_load_dword v29, v[12:13], off
	v_add_co_u32_e32 v12, vcc, s46, v14
	v_addc_co_u32_e32 v13, vcc, v10, v15, vcc
	global_load_dword v26, v[12:13], off
	global_load_dword v27, v[30:31], off offset:12
	v_mov_b32_e32 v10, s58
	s_mov_b64 s[34:35], 0
	s_waitcnt vmcnt(4)
	v_subrev_co_u32_e32 v8, vcc, s57, v8
	v_subb_co_u32_e32 v9, vcc, v9, v10, vcc
	v_mul_lo_u32 v10, v8, s23
	v_and_b32_e32 v10, 0x1ff, v10
	v_pk_mov_b32 v[12:13], v[10:11], v[10:11] op_sel:[0,1]
	s_waitcnt vmcnt(2)
	v_mul_f32_e32 v30, v24, v29
	v_fmac_f32_e32 v30, v25, v28
	s_branch .LBB93_26
.LBB93_25:                              ;   in Loop: Header=BB93_26 Depth=3
	s_or_b64 exec, exec, s[42:43]
	s_xor_b64 s[42:43], s[48:49], -1
	s_and_b64 s[42:43], exec, s[42:43]
	s_or_b64 s[34:35], s[42:43], s[34:35]
	s_andn2_b64 exec, exec, s[34:35]
	s_cbranch_execz .LBB93_36
.LBB93_26:                              ;   Parent Loop BB93_21 Depth=1
                                        ;     Parent Loop BB93_24 Depth=2
                                        ; =>    This Inner Loop Header: Depth=3
	v_lshl_add_u32 v13, v12, 3, 0
	ds_read_b64 v[14:15], v13
                                        ; implicit-def: $sgpr48_sgpr49
	s_waitcnt lgkmcnt(0)
	v_cmp_ne_u64_e32 vcc, v[14:15], v[8:9]
	s_and_saveexec_b64 s[42:43], vcc
	s_xor_b64 s[42:43], exec, s[42:43]
	s_cbranch_execz .LBB93_34
; %bb.27:                               ;   in Loop: Header=BB93_26 Depth=3
	v_cmp_ne_u64_e32 vcc, s[40:41], v[14:15]
                                        ; implicit-def: $sgpr48_sgpr49
	s_and_saveexec_b64 s[50:51], vcc
	s_xor_b64 s[50:51], exec, s[50:51]
; %bb.28:                               ;   in Loop: Header=BB93_26 Depth=3
	v_add_u32_e32 v12, 1, v12
	v_and_b32_e32 v12, 0x1ff, v12
	s_mov_b64 s[48:49], -1
                                        ; implicit-def: $vgpr13
; %bb.29:                               ;   in Loop: Header=BB93_26 Depth=3
	s_andn2_saveexec_b64 s[50:51], s[50:51]
	s_cbranch_execz .LBB93_33
; %bb.30:                               ;   in Loop: Header=BB93_26 Depth=3
	v_pk_mov_b32 v[14:15], s[40:41], s[40:41] op_sel:[0,1]
	ds_cmpst_rtn_b64 v[14:15], v13, v[14:15], v[8:9]
	s_mov_b64 s[52:53], -1
	s_waitcnt lgkmcnt(0)
	v_cmp_eq_u64_e32 vcc, s[40:41], v[14:15]
	s_and_saveexec_b64 s[54:55], vcc
	s_cbranch_execz .LBB93_32
; %bb.31:                               ;   in Loop: Header=BB93_26 Depth=3
	v_lshl_add_u32 v13, v12, 3, v13
	ds_add_f32 v13, v30 offset:4096
	s_xor_b64 s[52:53], exec, -1
.LBB93_32:                              ;   in Loop: Header=BB93_26 Depth=3
	s_or_b64 exec, exec, s[54:55]
	s_andn2_b64 s[48:49], s[48:49], exec
	s_and_b64 s[52:53], s[52:53], exec
	s_or_b64 s[48:49], s[48:49], s[52:53]
.LBB93_33:                              ;   in Loop: Header=BB93_26 Depth=3
	s_or_b64 exec, exec, s[50:51]
	s_and_b64 s[48:49], s[48:49], exec
                                        ; implicit-def: $vgpr13
.LBB93_34:                              ;   in Loop: Header=BB93_26 Depth=3
	s_andn2_saveexec_b64 s[42:43], s[42:43]
	s_cbranch_execz .LBB93_25
; %bb.35:                               ;   in Loop: Header=BB93_26 Depth=3
	v_lshl_add_u32 v13, v12, 3, v13
	ds_add_f32 v13, v30 offset:4096
	s_andn2_b64 s[48:49], s[48:49], exec
	s_branch .LBB93_25
.LBB93_36:                              ;   in Loop: Header=BB93_24 Depth=2
	s_or_b64 exec, exec, s[34:35]
	s_waitcnt vmcnt(0)
	v_mul_f32_e32 v30, v24, v27
	v_fmac_f32_e32 v30, v25, v26
	s_mov_b64 s[34:35], 0
	v_pk_mov_b32 v[12:13], v[10:11], v[10:11] op_sel:[0,1]
	s_branch .LBB93_38
.LBB93_37:                              ;   in Loop: Header=BB93_38 Depth=3
	s_or_b64 exec, exec, s[42:43]
	s_xor_b64 s[42:43], s[48:49], -1
	s_and_b64 s[42:43], exec, s[42:43]
	s_or_b64 s[34:35], s[42:43], s[34:35]
	s_andn2_b64 exec, exec, s[34:35]
	s_cbranch_execz .LBB93_48
.LBB93_38:                              ;   Parent Loop BB93_21 Depth=1
                                        ;     Parent Loop BB93_24 Depth=2
                                        ; =>    This Inner Loop Header: Depth=3
	v_lshl_add_u32 v13, v12, 3, 0
	ds_read_b64 v[14:15], v13
                                        ; implicit-def: $sgpr48_sgpr49
	s_waitcnt lgkmcnt(0)
	v_cmp_ne_u64_e32 vcc, v[14:15], v[8:9]
	s_and_saveexec_b64 s[42:43], vcc
	s_xor_b64 s[42:43], exec, s[42:43]
	s_cbranch_execz .LBB93_46
; %bb.39:                               ;   in Loop: Header=BB93_38 Depth=3
	v_cmp_ne_u64_e32 vcc, s[40:41], v[14:15]
                                        ; implicit-def: $sgpr48_sgpr49
	s_and_saveexec_b64 s[50:51], vcc
	s_xor_b64 s[50:51], exec, s[50:51]
; %bb.40:                               ;   in Loop: Header=BB93_38 Depth=3
	v_add_u32_e32 v12, 1, v12
	v_and_b32_e32 v12, 0x1ff, v12
	s_mov_b64 s[48:49], -1
                                        ; implicit-def: $vgpr13
; %bb.41:                               ;   in Loop: Header=BB93_38 Depth=3
	s_andn2_saveexec_b64 s[50:51], s[50:51]
	s_cbranch_execz .LBB93_45
; %bb.42:                               ;   in Loop: Header=BB93_38 Depth=3
	v_pk_mov_b32 v[14:15], s[40:41], s[40:41] op_sel:[0,1]
	ds_cmpst_rtn_b64 v[14:15], v13, v[14:15], v[8:9]
	s_mov_b64 s[52:53], -1
	s_waitcnt lgkmcnt(0)
	v_cmp_eq_u64_e32 vcc, s[40:41], v[14:15]
	s_and_saveexec_b64 s[54:55], vcc
	s_cbranch_execz .LBB93_44
; %bb.43:                               ;   in Loop: Header=BB93_38 Depth=3
	v_lshl_add_u32 v13, v12, 3, v13
	ds_add_f32 v13, v30 offset:4100
	s_xor_b64 s[52:53], exec, -1
.LBB93_44:                              ;   in Loop: Header=BB93_38 Depth=3
	s_or_b64 exec, exec, s[54:55]
	s_andn2_b64 s[48:49], s[48:49], exec
	s_and_b64 s[52:53], s[52:53], exec
	s_or_b64 s[48:49], s[48:49], s[52:53]
.LBB93_45:                              ;   in Loop: Header=BB93_38 Depth=3
	s_or_b64 exec, exec, s[50:51]
	s_and_b64 s[48:49], s[48:49], exec
                                        ; implicit-def: $vgpr13
.LBB93_46:                              ;   in Loop: Header=BB93_38 Depth=3
	s_andn2_saveexec_b64 s[42:43], s[42:43]
	s_cbranch_execz .LBB93_37
; %bb.47:                               ;   in Loop: Header=BB93_38 Depth=3
	v_lshl_add_u32 v13, v12, 3, v13
	ds_add_f32 v13, v30 offset:4100
	s_andn2_b64 s[48:49], s[48:49], exec
	s_branch .LBB93_37
.LBB93_48:                              ;   in Loop: Header=BB93_24 Depth=2
	s_or_b64 exec, exec, s[34:35]
	v_mul_f32_e32 v29, v22, v29
	v_fmac_f32_e32 v29, v23, v28
	s_mov_b64 s[34:35], 0
	v_pk_mov_b32 v[12:13], v[10:11], v[10:11] op_sel:[0,1]
	s_branch .LBB93_50
.LBB93_49:                              ;   in Loop: Header=BB93_50 Depth=3
	s_or_b64 exec, exec, s[42:43]
	s_xor_b64 s[42:43], s[48:49], -1
	s_and_b64 s[42:43], exec, s[42:43]
	s_or_b64 s[34:35], s[42:43], s[34:35]
	s_andn2_b64 exec, exec, s[34:35]
	s_cbranch_execz .LBB93_60
.LBB93_50:                              ;   Parent Loop BB93_21 Depth=1
                                        ;     Parent Loop BB93_24 Depth=2
                                        ; =>    This Inner Loop Header: Depth=3
	v_lshl_add_u32 v13, v12, 3, 0
	ds_read_b64 v[14:15], v13
                                        ; implicit-def: $sgpr48_sgpr49
	s_waitcnt lgkmcnt(0)
	v_cmp_ne_u64_e32 vcc, v[14:15], v[8:9]
	s_and_saveexec_b64 s[42:43], vcc
	s_xor_b64 s[42:43], exec, s[42:43]
	s_cbranch_execz .LBB93_58
; %bb.51:                               ;   in Loop: Header=BB93_50 Depth=3
	v_cmp_ne_u64_e32 vcc, s[40:41], v[14:15]
                                        ; implicit-def: $sgpr48_sgpr49
	s_and_saveexec_b64 s[50:51], vcc
	s_xor_b64 s[50:51], exec, s[50:51]
; %bb.52:                               ;   in Loop: Header=BB93_50 Depth=3
	v_add_u32_e32 v12, 1, v12
	v_and_b32_e32 v12, 0x1ff, v12
	s_mov_b64 s[48:49], -1
                                        ; implicit-def: $vgpr13
; %bb.53:                               ;   in Loop: Header=BB93_50 Depth=3
	s_andn2_saveexec_b64 s[50:51], s[50:51]
	s_cbranch_execz .LBB93_57
; %bb.54:                               ;   in Loop: Header=BB93_50 Depth=3
	v_pk_mov_b32 v[14:15], s[40:41], s[40:41] op_sel:[0,1]
	ds_cmpst_rtn_b64 v[14:15], v13, v[14:15], v[8:9]
	s_mov_b64 s[52:53], -1
	s_waitcnt lgkmcnt(0)
	v_cmp_eq_u64_e32 vcc, s[40:41], v[14:15]
	s_and_saveexec_b64 s[54:55], vcc
	s_cbranch_execz .LBB93_56
; %bb.55:                               ;   in Loop: Header=BB93_50 Depth=3
	v_lshl_add_u32 v13, v12, 3, v13
	ds_add_f32 v13, v29 offset:4104
	s_xor_b64 s[52:53], exec, -1
.LBB93_56:                              ;   in Loop: Header=BB93_50 Depth=3
	s_or_b64 exec, exec, s[54:55]
	s_andn2_b64 s[48:49], s[48:49], exec
	s_and_b64 s[52:53], s[52:53], exec
	s_or_b64 s[48:49], s[48:49], s[52:53]
.LBB93_57:                              ;   in Loop: Header=BB93_50 Depth=3
	s_or_b64 exec, exec, s[50:51]
	s_and_b64 s[48:49], s[48:49], exec
                                        ; implicit-def: $vgpr13
.LBB93_58:                              ;   in Loop: Header=BB93_50 Depth=3
	s_andn2_saveexec_b64 s[42:43], s[42:43]
	s_cbranch_execz .LBB93_49
; %bb.59:                               ;   in Loop: Header=BB93_50 Depth=3
	v_lshl_add_u32 v13, v12, 3, v13
	ds_add_f32 v13, v29 offset:4104
	s_andn2_b64 s[48:49], s[48:49], exec
	s_branch .LBB93_49
.LBB93_60:                              ;   in Loop: Header=BB93_24 Depth=2
	s_or_b64 exec, exec, s[34:35]
	v_mul_f32_e32 v14, v22, v27
	v_fmac_f32_e32 v14, v23, v26
	s_mov_b64 s[34:35], 0
	s_branch .LBB93_62
.LBB93_61:                              ;   in Loop: Header=BB93_62 Depth=3
	s_or_b64 exec, exec, s[42:43]
	s_xor_b64 s[42:43], s[48:49], -1
	s_and_b64 s[42:43], exec, s[42:43]
	s_or_b64 s[34:35], s[42:43], s[34:35]
	s_andn2_b64 exec, exec, s[34:35]
	s_cbranch_execz .LBB93_23
.LBB93_62:                              ;   Parent Loop BB93_21 Depth=1
                                        ;     Parent Loop BB93_24 Depth=2
                                        ; =>    This Inner Loop Header: Depth=3
	v_lshl_add_u32 v15, v10, 3, 0
	ds_read_b64 v[12:13], v15
                                        ; implicit-def: $sgpr48_sgpr49
	s_waitcnt lgkmcnt(0)
	v_cmp_ne_u64_e32 vcc, v[12:13], v[8:9]
	s_and_saveexec_b64 s[42:43], vcc
	s_xor_b64 s[42:43], exec, s[42:43]
	s_cbranch_execz .LBB93_70
; %bb.63:                               ;   in Loop: Header=BB93_62 Depth=3
	v_cmp_ne_u64_e32 vcc, s[40:41], v[12:13]
                                        ; implicit-def: $sgpr48_sgpr49
	s_and_saveexec_b64 s[50:51], vcc
	s_xor_b64 s[50:51], exec, s[50:51]
; %bb.64:                               ;   in Loop: Header=BB93_62 Depth=3
	v_add_u32_e32 v10, 1, v10
	v_and_b32_e32 v10, 0x1ff, v10
	s_mov_b64 s[48:49], -1
                                        ; implicit-def: $vgpr15
; %bb.65:                               ;   in Loop: Header=BB93_62 Depth=3
	s_andn2_saveexec_b64 s[50:51], s[50:51]
	s_cbranch_execz .LBB93_69
; %bb.66:                               ;   in Loop: Header=BB93_62 Depth=3
	v_pk_mov_b32 v[12:13], s[40:41], s[40:41] op_sel:[0,1]
	ds_cmpst_rtn_b64 v[12:13], v15, v[12:13], v[8:9]
	s_mov_b64 s[52:53], -1
	s_waitcnt lgkmcnt(0)
	v_cmp_eq_u64_e32 vcc, s[40:41], v[12:13]
	s_and_saveexec_b64 s[54:55], vcc
	s_cbranch_execz .LBB93_68
; %bb.67:                               ;   in Loop: Header=BB93_62 Depth=3
	v_lshl_add_u32 v12, v10, 3, v15
	ds_add_f32 v12, v14 offset:4108
	s_xor_b64 s[52:53], exec, -1
.LBB93_68:                              ;   in Loop: Header=BB93_62 Depth=3
	s_or_b64 exec, exec, s[54:55]
	s_andn2_b64 s[48:49], s[48:49], exec
	s_and_b64 s[52:53], s[52:53], exec
	s_or_b64 s[48:49], s[48:49], s[52:53]
.LBB93_69:                              ;   in Loop: Header=BB93_62 Depth=3
	s_or_b64 exec, exec, s[50:51]
	s_and_b64 s[48:49], s[48:49], exec
                                        ; implicit-def: $vgpr15
.LBB93_70:                              ;   in Loop: Header=BB93_62 Depth=3
	s_andn2_saveexec_b64 s[42:43], s[42:43]
	s_cbranch_execz .LBB93_61
; %bb.71:                               ;   in Loop: Header=BB93_62 Depth=3
	v_lshl_add_u32 v12, v10, 3, v15
	ds_add_f32 v12, v14 offset:4108
	s_andn2_b64 s[48:49], s[48:49], exec
	s_branch .LBB93_61
.LBB93_72:
	s_or_b64 exec, exec, s[8:9]
.LBB93_73:
	s_andn2_b64 vcc, exec, s[2:3]
	s_waitcnt lgkmcnt(0)
	s_barrier
	s_cbranch_vccnz .LBB93_126
; %bb.74:
	s_lshl_b64 s[2:3], s[6:7], 3
	s_add_u32 s2, s12, s2
	s_addc_u32 s3, s13, s3
	s_load_dwordx4 s[20:23], s[2:3], 0x0
	v_subrev_co_u32_e32 v2, vcc, s31, v0
	v_subb_co_u32_e64 v3, s[4:5], 0, 0, vcc
	s_waitcnt lgkmcnt(0)
	s_sub_u32 s2, s22, s31
	v_mov_b32_e32 v4, s21
	v_add_co_u32_e32 v2, vcc, s20, v2
	s_subb_u32 s3, s23, 0
	v_addc_co_u32_e32 v3, vcc, v4, v3, vcc
	s_mov_b32 s10, 0
	v_cmp_gt_i64_e32 vcc, s[2:3], v[2:3]
	s_and_saveexec_b64 s[4:5], vcc
	s_cbranch_execz .LBB93_125
; %bb.75:
	s_cmp_eq_u32 s33, 0
	s_mov_b32 s28, s31
	s_cselect_b32 s29, 1, 2
	s_cselect_b32 s31, 2, 1
	s_mov_b64 s[8:9], 0
	v_mov_b32_e32 v7, s17
	v_mov_b32_e32 v12, s15
	;; [unrolled: 1-line block ×3, first 2 shown]
	s_movk_i32 s15, 0x89
	s_branch .LBB93_77
.LBB93_76:                              ;   in Loop: Header=BB93_77 Depth=1
	s_or_b64 exec, exec, s[10:11]
	v_add_co_u32_e32 v2, vcc, 0x100, v2
	v_addc_co_u32_e32 v3, vcc, 0, v3, vcc
	v_cmp_le_i64_e32 vcc, s[2:3], v[2:3]
	s_or_b64 s[8:9], vcc, s[8:9]
	s_andn2_b64 exec, exec, s[8:9]
	s_cbranch_execz .LBB93_125
.LBB93_77:                              ; =>This Loop Header: Depth=1
                                        ;     Child Loop BB93_79 Depth 2
                                        ;     Child Loop BB93_91 Depth 2
	;; [unrolled: 1-line block ×4, first 2 shown]
	v_lshlrev_b64 v[4:5], 2, v[2:3]
	v_lshlrev_b64 v[10:11], 4, v[2:3]
	v_or_b32_e32 v9, 0, v5
	v_or_b32_e32 v8, s29, v4
	v_add_co_u32_e32 v10, vcc, s16, v10
	v_addc_co_u32_e32 v11, vcc, v7, v11, vcc
	v_lshlrev_b64 v[8:9], 2, v[8:9]
	v_add_co_u32_e32 v8, vcc, s16, v8
	v_addc_co_u32_e32 v9, vcc, v7, v9, vcc
	v_lshlrev_b64 v[14:15], 3, v[2:3]
	v_add_co_u32_e32 v14, vcc, s14, v14
	v_or_b32_e32 v5, 0, v5
	v_or_b32_e32 v4, s31, v4
	v_addc_co_u32_e32 v15, vcc, v12, v15, vcc
	v_lshlrev_b64 v[4:5], 2, v[4:5]
	global_load_dwordx2 v[18:19], v[14:15], off
	global_load_dword v6, v[10:11], off
	v_add_co_u32_e32 v4, vcc, s16, v4
	v_addc_co_u32_e32 v5, vcc, v7, v5, vcc
	global_load_dword v15, v[4:5], off
	global_load_dword v16, v[8:9], off
	global_load_dword v14, v[10:11], off offset:12
	s_mov_b64 s[10:11], 0
	s_waitcnt vmcnt(4)
	v_subrev_co_u32_e32 v4, vcc, s28, v18
	s_waitcnt vmcnt(3)
	v_mul_f32_e32 v17, v1, v6
	v_mul_lo_u32 v6, v4, s15
	v_and_b32_e32 v6, 0x1ff, v6
	v_subb_co_u32_e32 v5, vcc, v19, v13, vcc
	v_pk_mov_b32 v[8:9], v[6:7], v[6:7] op_sel:[0,1]
	s_branch .LBB93_79
.LBB93_78:                              ;   in Loop: Header=BB93_79 Depth=2
	s_or_b64 exec, exec, s[12:13]
	s_xor_b64 s[12:13], s[20:21], -1
	s_and_b64 s[12:13], exec, s[12:13]
	s_or_b64 s[10:11], s[12:13], s[10:11]
	s_andn2_b64 exec, exec, s[10:11]
	s_cbranch_execz .LBB93_89
.LBB93_79:                              ;   Parent Loop BB93_77 Depth=1
                                        ; =>  This Inner Loop Header: Depth=2
	v_lshl_add_u32 v9, v8, 3, 0
	ds_read_b64 v[10:11], v9
                                        ; implicit-def: $sgpr20_sgpr21
	s_waitcnt lgkmcnt(0)
	v_cmp_ne_u64_e32 vcc, v[10:11], v[4:5]
	s_and_saveexec_b64 s[12:13], vcc
	s_xor_b64 s[12:13], exec, s[12:13]
	s_cbranch_execz .LBB93_87
; %bb.80:                               ;   in Loop: Header=BB93_79 Depth=2
	v_cmp_ne_u64_e32 vcc, s[40:41], v[10:11]
                                        ; implicit-def: $sgpr20_sgpr21
	s_and_saveexec_b64 s[22:23], vcc
	s_xor_b64 s[22:23], exec, s[22:23]
; %bb.81:                               ;   in Loop: Header=BB93_79 Depth=2
	v_add_u32_e32 v8, 1, v8
	v_and_b32_e32 v8, 0x1ff, v8
	s_mov_b64 s[20:21], -1
                                        ; implicit-def: $vgpr9
; %bb.82:                               ;   in Loop: Header=BB93_79 Depth=2
	s_andn2_saveexec_b64 s[22:23], s[22:23]
	s_cbranch_execz .LBB93_86
; %bb.83:                               ;   in Loop: Header=BB93_79 Depth=2
	v_pk_mov_b32 v[10:11], s[40:41], s[40:41] op_sel:[0,1]
	ds_cmpst_rtn_b64 v[10:11], v9, v[10:11], v[4:5]
	s_mov_b64 s[24:25], -1
	s_waitcnt lgkmcnt(0)
	v_cmp_eq_u64_e32 vcc, s[40:41], v[10:11]
	s_and_saveexec_b64 s[26:27], vcc
	s_cbranch_execz .LBB93_85
; %bb.84:                               ;   in Loop: Header=BB93_79 Depth=2
	v_lshl_add_u32 v9, v8, 3, v9
	ds_add_f32 v9, v17 offset:4096
	s_xor_b64 s[24:25], exec, -1
.LBB93_85:                              ;   in Loop: Header=BB93_79 Depth=2
	s_or_b64 exec, exec, s[26:27]
	s_andn2_b64 s[20:21], s[20:21], exec
	s_and_b64 s[24:25], s[24:25], exec
	s_or_b64 s[20:21], s[20:21], s[24:25]
.LBB93_86:                              ;   in Loop: Header=BB93_79 Depth=2
	s_or_b64 exec, exec, s[22:23]
	s_and_b64 s[20:21], s[20:21], exec
                                        ; implicit-def: $vgpr9
.LBB93_87:                              ;   in Loop: Header=BB93_79 Depth=2
	s_andn2_saveexec_b64 s[12:13], s[12:13]
	s_cbranch_execz .LBB93_78
; %bb.88:                               ;   in Loop: Header=BB93_79 Depth=2
	v_lshl_add_u32 v9, v8, 3, v9
	ds_add_f32 v9, v17 offset:4096
	s_andn2_b64 s[20:21], s[20:21], exec
	s_branch .LBB93_78
.LBB93_89:                              ;   in Loop: Header=BB93_77 Depth=1
	s_or_b64 exec, exec, s[10:11]
	s_waitcnt vmcnt(1)
	v_mul_f32_e32 v16, v1, v16
	s_mov_b64 s[10:11], 0
	v_pk_mov_b32 v[8:9], v[6:7], v[6:7] op_sel:[0,1]
	s_branch .LBB93_91
.LBB93_90:                              ;   in Loop: Header=BB93_91 Depth=2
	s_or_b64 exec, exec, s[12:13]
	s_xor_b64 s[12:13], s[20:21], -1
	s_and_b64 s[12:13], exec, s[12:13]
	s_or_b64 s[10:11], s[12:13], s[10:11]
	s_andn2_b64 exec, exec, s[10:11]
	s_cbranch_execz .LBB93_101
.LBB93_91:                              ;   Parent Loop BB93_77 Depth=1
                                        ; =>  This Inner Loop Header: Depth=2
	v_lshl_add_u32 v9, v8, 3, 0
	ds_read_b64 v[10:11], v9
                                        ; implicit-def: $sgpr20_sgpr21
	s_waitcnt lgkmcnt(0)
	v_cmp_ne_u64_e32 vcc, v[10:11], v[4:5]
	s_and_saveexec_b64 s[12:13], vcc
	s_xor_b64 s[12:13], exec, s[12:13]
	s_cbranch_execz .LBB93_99
; %bb.92:                               ;   in Loop: Header=BB93_91 Depth=2
	v_cmp_ne_u64_e32 vcc, s[40:41], v[10:11]
                                        ; implicit-def: $sgpr20_sgpr21
	s_and_saveexec_b64 s[22:23], vcc
	s_xor_b64 s[22:23], exec, s[22:23]
; %bb.93:                               ;   in Loop: Header=BB93_91 Depth=2
	v_add_u32_e32 v8, 1, v8
	v_and_b32_e32 v8, 0x1ff, v8
	s_mov_b64 s[20:21], -1
                                        ; implicit-def: $vgpr9
; %bb.94:                               ;   in Loop: Header=BB93_91 Depth=2
	s_andn2_saveexec_b64 s[22:23], s[22:23]
	s_cbranch_execz .LBB93_98
; %bb.95:                               ;   in Loop: Header=BB93_91 Depth=2
	v_pk_mov_b32 v[10:11], s[40:41], s[40:41] op_sel:[0,1]
	ds_cmpst_rtn_b64 v[10:11], v9, v[10:11], v[4:5]
	s_mov_b64 s[24:25], -1
	s_waitcnt lgkmcnt(0)
	v_cmp_eq_u64_e32 vcc, s[40:41], v[10:11]
	s_and_saveexec_b64 s[26:27], vcc
	s_cbranch_execz .LBB93_97
; %bb.96:                               ;   in Loop: Header=BB93_91 Depth=2
	v_lshl_add_u32 v9, v8, 3, v9
	ds_add_f32 v9, v16 offset:4100
	s_xor_b64 s[24:25], exec, -1
.LBB93_97:                              ;   in Loop: Header=BB93_91 Depth=2
	s_or_b64 exec, exec, s[26:27]
	s_andn2_b64 s[20:21], s[20:21], exec
	s_and_b64 s[24:25], s[24:25], exec
	s_or_b64 s[20:21], s[20:21], s[24:25]
.LBB93_98:                              ;   in Loop: Header=BB93_91 Depth=2
	s_or_b64 exec, exec, s[22:23]
	s_and_b64 s[20:21], s[20:21], exec
                                        ; implicit-def: $vgpr9
.LBB93_99:                              ;   in Loop: Header=BB93_91 Depth=2
	s_andn2_saveexec_b64 s[12:13], s[12:13]
	s_cbranch_execz .LBB93_90
; %bb.100:                              ;   in Loop: Header=BB93_91 Depth=2
	v_lshl_add_u32 v9, v8, 3, v9
	ds_add_f32 v9, v16 offset:4100
	s_andn2_b64 s[20:21], s[20:21], exec
	s_branch .LBB93_90
.LBB93_101:                             ;   in Loop: Header=BB93_77 Depth=1
	s_or_b64 exec, exec, s[10:11]
	v_mul_f32_e32 v15, v1, v15
	s_mov_b64 s[10:11], 0
	v_pk_mov_b32 v[8:9], v[6:7], v[6:7] op_sel:[0,1]
	s_branch .LBB93_103
.LBB93_102:                             ;   in Loop: Header=BB93_103 Depth=2
	s_or_b64 exec, exec, s[12:13]
	s_xor_b64 s[12:13], s[20:21], -1
	s_and_b64 s[12:13], exec, s[12:13]
	s_or_b64 s[10:11], s[12:13], s[10:11]
	s_andn2_b64 exec, exec, s[10:11]
	s_cbranch_execz .LBB93_113
.LBB93_103:                             ;   Parent Loop BB93_77 Depth=1
                                        ; =>  This Inner Loop Header: Depth=2
	v_lshl_add_u32 v9, v8, 3, 0
	ds_read_b64 v[10:11], v9
                                        ; implicit-def: $sgpr20_sgpr21
	s_waitcnt lgkmcnt(0)
	v_cmp_ne_u64_e32 vcc, v[10:11], v[4:5]
	s_and_saveexec_b64 s[12:13], vcc
	s_xor_b64 s[12:13], exec, s[12:13]
	s_cbranch_execz .LBB93_111
; %bb.104:                              ;   in Loop: Header=BB93_103 Depth=2
	v_cmp_ne_u64_e32 vcc, s[40:41], v[10:11]
                                        ; implicit-def: $sgpr20_sgpr21
	s_and_saveexec_b64 s[22:23], vcc
	s_xor_b64 s[22:23], exec, s[22:23]
; %bb.105:                              ;   in Loop: Header=BB93_103 Depth=2
	v_add_u32_e32 v8, 1, v8
	v_and_b32_e32 v8, 0x1ff, v8
	s_mov_b64 s[20:21], -1
                                        ; implicit-def: $vgpr9
; %bb.106:                              ;   in Loop: Header=BB93_103 Depth=2
	s_andn2_saveexec_b64 s[22:23], s[22:23]
	s_cbranch_execz .LBB93_110
; %bb.107:                              ;   in Loop: Header=BB93_103 Depth=2
	v_pk_mov_b32 v[10:11], s[40:41], s[40:41] op_sel:[0,1]
	ds_cmpst_rtn_b64 v[10:11], v9, v[10:11], v[4:5]
	s_mov_b64 s[24:25], -1
	s_waitcnt lgkmcnt(0)
	v_cmp_eq_u64_e32 vcc, s[40:41], v[10:11]
	s_and_saveexec_b64 s[26:27], vcc
	s_cbranch_execz .LBB93_109
; %bb.108:                              ;   in Loop: Header=BB93_103 Depth=2
	v_lshl_add_u32 v9, v8, 3, v9
	ds_add_f32 v9, v15 offset:4104
	s_xor_b64 s[24:25], exec, -1
.LBB93_109:                             ;   in Loop: Header=BB93_103 Depth=2
	s_or_b64 exec, exec, s[26:27]
	s_andn2_b64 s[20:21], s[20:21], exec
	s_and_b64 s[24:25], s[24:25], exec
	s_or_b64 s[20:21], s[20:21], s[24:25]
.LBB93_110:                             ;   in Loop: Header=BB93_103 Depth=2
	s_or_b64 exec, exec, s[22:23]
	s_and_b64 s[20:21], s[20:21], exec
                                        ; implicit-def: $vgpr9
.LBB93_111:                             ;   in Loop: Header=BB93_103 Depth=2
	s_andn2_saveexec_b64 s[12:13], s[12:13]
	s_cbranch_execz .LBB93_102
; %bb.112:                              ;   in Loop: Header=BB93_103 Depth=2
	v_lshl_add_u32 v9, v8, 3, v9
	ds_add_f32 v9, v15 offset:4104
	s_andn2_b64 s[20:21], s[20:21], exec
	s_branch .LBB93_102
.LBB93_113:                             ;   in Loop: Header=BB93_77 Depth=1
	s_or_b64 exec, exec, s[10:11]
	s_waitcnt vmcnt(0)
	v_mul_f32_e32 v10, v1, v14
	s_mov_b64 s[10:11], 0
	s_branch .LBB93_115
.LBB93_114:                             ;   in Loop: Header=BB93_115 Depth=2
	s_or_b64 exec, exec, s[12:13]
	s_xor_b64 s[12:13], s[20:21], -1
	s_and_b64 s[12:13], exec, s[12:13]
	s_or_b64 s[10:11], s[12:13], s[10:11]
	s_andn2_b64 exec, exec, s[10:11]
	s_cbranch_execz .LBB93_76
.LBB93_115:                             ;   Parent Loop BB93_77 Depth=1
                                        ; =>  This Inner Loop Header: Depth=2
	v_lshl_add_u32 v11, v6, 3, 0
	ds_read_b64 v[8:9], v11
                                        ; implicit-def: $sgpr20_sgpr21
	s_waitcnt lgkmcnt(0)
	v_cmp_ne_u64_e32 vcc, v[8:9], v[4:5]
	s_and_saveexec_b64 s[12:13], vcc
	s_xor_b64 s[12:13], exec, s[12:13]
	s_cbranch_execz .LBB93_123
; %bb.116:                              ;   in Loop: Header=BB93_115 Depth=2
	v_cmp_ne_u64_e32 vcc, s[40:41], v[8:9]
                                        ; implicit-def: $sgpr20_sgpr21
	s_and_saveexec_b64 s[22:23], vcc
	s_xor_b64 s[22:23], exec, s[22:23]
; %bb.117:                              ;   in Loop: Header=BB93_115 Depth=2
	v_add_u32_e32 v6, 1, v6
	v_and_b32_e32 v6, 0x1ff, v6
	s_mov_b64 s[20:21], -1
                                        ; implicit-def: $vgpr11
; %bb.118:                              ;   in Loop: Header=BB93_115 Depth=2
	s_andn2_saveexec_b64 s[22:23], s[22:23]
	s_cbranch_execz .LBB93_122
; %bb.119:                              ;   in Loop: Header=BB93_115 Depth=2
	v_pk_mov_b32 v[8:9], s[40:41], s[40:41] op_sel:[0,1]
	ds_cmpst_rtn_b64 v[8:9], v11, v[8:9], v[4:5]
	s_mov_b64 s[24:25], -1
	s_waitcnt lgkmcnt(0)
	v_cmp_eq_u64_e32 vcc, s[40:41], v[8:9]
	s_and_saveexec_b64 s[26:27], vcc
	s_cbranch_execz .LBB93_121
; %bb.120:                              ;   in Loop: Header=BB93_115 Depth=2
	v_lshl_add_u32 v8, v6, 3, v11
	ds_add_f32 v8, v10 offset:4108
	s_xor_b64 s[24:25], exec, -1
.LBB93_121:                             ;   in Loop: Header=BB93_115 Depth=2
	s_or_b64 exec, exec, s[26:27]
	s_andn2_b64 s[20:21], s[20:21], exec
	s_and_b64 s[24:25], s[24:25], exec
	s_or_b64 s[20:21], s[20:21], s[24:25]
.LBB93_122:                             ;   in Loop: Header=BB93_115 Depth=2
	s_or_b64 exec, exec, s[22:23]
	s_and_b64 s[20:21], s[20:21], exec
                                        ; implicit-def: $vgpr11
.LBB93_123:                             ;   in Loop: Header=BB93_115 Depth=2
	s_andn2_saveexec_b64 s[12:13], s[12:13]
	s_cbranch_execz .LBB93_114
; %bb.124:                              ;   in Loop: Header=BB93_115 Depth=2
	v_lshl_add_u32 v8, v6, 3, v11
	ds_add_f32 v8, v10 offset:4108
	s_andn2_b64 s[20:21], s[20:21], exec
	s_branch .LBB93_114
.LBB93_125:
	s_or_b64 exec, exec, s[4:5]
.LBB93_126:
	s_waitcnt lgkmcnt(0)
	s_barrier
	s_and_saveexec_b64 s[2:3], s[0:1]
	s_cbranch_execz .LBB93_133
; %bb.127:
	s_lshl_b64 s[0:1], s[6:7], 3
	s_add_u32 s0, s18, s0
	s_addc_u32 s1, s19, s1
	s_load_dwordx2 s[2:3], s[0:1], 0x0
	s_mov_b32 s6, 0
	s_mov_b64 s[0:1], 0
	s_movk_i32 s10, 0xff
	s_waitcnt lgkmcnt(0)
	s_sub_u32 s2, s2, s30
	s_subb_u32 s3, s3, 0
	s_cmp_eq_u32 s33, 0
	s_cselect_b32 s7, 1, 2
	s_cselect_b32 s8, 2, 1
	s_add_i32 s9, 0, 0x1000
	s_branch .LBB93_129
.LBB93_128:                             ;   in Loop: Header=BB93_129 Depth=1
	s_or_b64 exec, exec, s[4:5]
	v_add_u32_e32 v1, 0x100, v0
	v_cmp_lt_u32_e32 vcc, s10, v0
	s_or_b64 s[0:1], vcc, s[0:1]
	v_mov_b32_e32 v0, v1
	s_andn2_b64 exec, exec, s[0:1]
	s_cbranch_execz .LBB93_133
.LBB93_129:                             ; =>This Loop Header: Depth=1
                                        ;     Child Loop BB93_131 Depth 2
	v_lshl_add_u32 v1, v0, 3, 0
	ds_read_b64 v[2:3], v1
	s_waitcnt lgkmcnt(0)
	v_cmp_gt_i64_e32 vcc, s[40:41], v[2:3]
	s_and_saveexec_b64 s[4:5], vcc
	s_cbranch_execz .LBB93_128
; %bb.130:                              ;   in Loop: Header=BB93_129 Depth=1
	s_mov_b32 s11, 0
	v_pk_mov_b32 v[4:5], s[2:3], s[2:3] op_sel:[0,1]
.LBB93_131:                             ;   Parent Loop BB93_129 Depth=1
                                        ; =>  This Inner Loop Header: Depth=2
	s_add_i32 s12, s11, 0
	v_mov_b32_e32 v1, s12
	ds_read2_b64 v[6:9], v1 offset1:1
	ds_read2_b64 v[10:13], v1 offset0:2 offset1:3
	ds_read2_b64 v[14:17], v1 offset0:4 offset1:5
	;; [unrolled: 1-line block ×7, first 2 shown]
	s_waitcnt lgkmcnt(7)
	v_cmp_gt_i64_e32 vcc, v[2:3], v[6:7]
	v_cndmask_b32_e64 v1, 0, 1, vcc
	v_cmp_gt_i64_e32 vcc, v[2:3], v[8:9]
	v_cndmask_b32_e64 v6, 0, 1, vcc
	s_waitcnt lgkmcnt(6)
	v_cmp_gt_i64_e32 vcc, v[2:3], v[10:11]
	v_cndmask_b32_e64 v7, 0, 1, vcc
	v_cmp_gt_i64_e32 vcc, v[2:3], v[12:13]
	v_cndmask_b32_e64 v8, 0, 1, vcc
	;; [unrolled: 5-line block ×8, first 2 shown]
	v_add_co_u32_e32 v1, vcc, v4, v1
	v_addc_co_u32_e32 v4, vcc, 0, v5, vcc
	v_add_co_u32_e32 v1, vcc, v1, v6
	v_addc_co_u32_e32 v4, vcc, 0, v4, vcc
	;; [unrolled: 2-line block ×15, first 2 shown]
	s_addk_i32 s11, 0x80
	v_add_co_u32_e32 v4, vcc, v1, v20
	s_cmpk_lg_i32 s11, 0x1000
	v_addc_co_u32_e32 v5, vcc, 0, v5, vcc
	s_cbranch_scc1 .LBB93_131
; %bb.132:                              ;   in Loop: Header=BB93_129 Depth=1
	v_mov_b32_e32 v1, s6
	v_add_co_u32_e32 v2, vcc, s30, v2
	v_addc_co_u32_e32 v3, vcc, v3, v1, vcc
	v_lshlrev_b64 v[6:7], 3, v[4:5]
	v_mov_b32_e32 v1, s37
	v_add_co_u32_e32 v6, vcc, s36, v6
	v_addc_co_u32_e32 v7, vcc, v1, v7, vcc
	v_lshlrev_b32_e32 v1, 2, v0
	global_store_dwordx2 v[6:7], v[2:3], off
	v_or_b32_e32 v3, s7, v1
	v_lshl_add_u32 v3, v3, 2, s9
	v_or_b32_e32 v1, s8, v1
	v_lshl_add_u32 v2, v0, 4, s9
	v_lshlrev_b64 v[6:7], 4, v[4:5]
	v_lshl_add_u32 v1, v1, 2, s9
	ds_read_b32 v3, v3
	ds_read_b32 v4, v1
	ds_read2_b32 v[8:9], v2 offset1:3
	v_mov_b32_e32 v5, s39
	v_add_co_u32_e32 v6, vcc, s38, v6
	v_addc_co_u32_e32 v7, vcc, v5, v7, vcc
	s_waitcnt lgkmcnt(0)
	v_mov_b32_e32 v2, v8
	v_mov_b32_e32 v5, v9
	global_store_dwordx4 v[6:7], v[2:5], off
	s_branch .LBB93_128
.LBB93_133:
	s_endpgm
	.section	.rodata,"a",@progbits
	.p2align	6, 0x0
	.amdhsa_kernel _ZN9rocsparseL30bsrgemm_fill_block_per_row_2x2ILj256ELj16ELj512ELj137EllfEEv20rocsparse_direction_T4_S2_PKS2_S4_NS_24const_host_device_scalarIT5_EEPKT3_S4_PKS6_SA_S4_SC_S7_SA_S4_SC_SA_PS2_PS6_21rocsparse_index_base_SF_SF_SF_bbb
		.amdhsa_group_segment_fixed_size 0
		.amdhsa_private_segment_fixed_size 0
		.amdhsa_kernarg_size 172
		.amdhsa_user_sgpr_count 6
		.amdhsa_user_sgpr_private_segment_buffer 1
		.amdhsa_user_sgpr_dispatch_ptr 0
		.amdhsa_user_sgpr_queue_ptr 0
		.amdhsa_user_sgpr_kernarg_segment_ptr 1
		.amdhsa_user_sgpr_dispatch_id 0
		.amdhsa_user_sgpr_flat_scratch_init 0
		.amdhsa_user_sgpr_kernarg_preload_length 0
		.amdhsa_user_sgpr_kernarg_preload_offset 0
		.amdhsa_user_sgpr_private_segment_size 0
		.amdhsa_uses_dynamic_stack 0
		.amdhsa_system_sgpr_private_segment_wavefront_offset 0
		.amdhsa_system_sgpr_workgroup_id_x 1
		.amdhsa_system_sgpr_workgroup_id_y 0
		.amdhsa_system_sgpr_workgroup_id_z 0
		.amdhsa_system_sgpr_workgroup_info 0
		.amdhsa_system_vgpr_workitem_id 0
		.amdhsa_next_free_vgpr 38
		.amdhsa_next_free_sgpr 61
		.amdhsa_accum_offset 40
		.amdhsa_reserve_vcc 1
		.amdhsa_reserve_flat_scratch 0
		.amdhsa_float_round_mode_32 0
		.amdhsa_float_round_mode_16_64 0
		.amdhsa_float_denorm_mode_32 3
		.amdhsa_float_denorm_mode_16_64 3
		.amdhsa_dx10_clamp 1
		.amdhsa_ieee_mode 1
		.amdhsa_fp16_overflow 0
		.amdhsa_tg_split 0
		.amdhsa_exception_fp_ieee_invalid_op 0
		.amdhsa_exception_fp_denorm_src 0
		.amdhsa_exception_fp_ieee_div_zero 0
		.amdhsa_exception_fp_ieee_overflow 0
		.amdhsa_exception_fp_ieee_underflow 0
		.amdhsa_exception_fp_ieee_inexact 0
		.amdhsa_exception_int_div_zero 0
	.end_amdhsa_kernel
	.section	.text._ZN9rocsparseL30bsrgemm_fill_block_per_row_2x2ILj256ELj16ELj512ELj137EllfEEv20rocsparse_direction_T4_S2_PKS2_S4_NS_24const_host_device_scalarIT5_EEPKT3_S4_PKS6_SA_S4_SC_S7_SA_S4_SC_SA_PS2_PS6_21rocsparse_index_base_SF_SF_SF_bbb,"axG",@progbits,_ZN9rocsparseL30bsrgemm_fill_block_per_row_2x2ILj256ELj16ELj512ELj137EllfEEv20rocsparse_direction_T4_S2_PKS2_S4_NS_24const_host_device_scalarIT5_EEPKT3_S4_PKS6_SA_S4_SC_S7_SA_S4_SC_SA_PS2_PS6_21rocsparse_index_base_SF_SF_SF_bbb,comdat
.Lfunc_end93:
	.size	_ZN9rocsparseL30bsrgemm_fill_block_per_row_2x2ILj256ELj16ELj512ELj137EllfEEv20rocsparse_direction_T4_S2_PKS2_S4_NS_24const_host_device_scalarIT5_EEPKT3_S4_PKS6_SA_S4_SC_S7_SA_S4_SC_SA_PS2_PS6_21rocsparse_index_base_SF_SF_SF_bbb, .Lfunc_end93-_ZN9rocsparseL30bsrgemm_fill_block_per_row_2x2ILj256ELj16ELj512ELj137EllfEEv20rocsparse_direction_T4_S2_PKS2_S4_NS_24const_host_device_scalarIT5_EEPKT3_S4_PKS6_SA_S4_SC_S7_SA_S4_SC_SA_PS2_PS6_21rocsparse_index_base_SF_SF_SF_bbb
                                        ; -- End function
	.section	.AMDGPU.csdata,"",@progbits
; Kernel info:
; codeLenInByte = 4068
; NumSgprs: 65
; NumVgprs: 38
; NumAgprs: 0
; TotalNumVgprs: 38
; ScratchSize: 0
; MemoryBound: 0
; FloatMode: 240
; IeeeMode: 1
; LDSByteSize: 0 bytes/workgroup (compile time only)
; SGPRBlocks: 8
; VGPRBlocks: 4
; NumSGPRsForWavesPerEU: 65
; NumVGPRsForWavesPerEU: 38
; AccumOffset: 40
; Occupancy: 8
; WaveLimiterHint : 1
; COMPUTE_PGM_RSRC2:SCRATCH_EN: 0
; COMPUTE_PGM_RSRC2:USER_SGPR: 6
; COMPUTE_PGM_RSRC2:TRAP_HANDLER: 0
; COMPUTE_PGM_RSRC2:TGID_X_EN: 1
; COMPUTE_PGM_RSRC2:TGID_Y_EN: 0
; COMPUTE_PGM_RSRC2:TGID_Z_EN: 0
; COMPUTE_PGM_RSRC2:TIDIG_COMP_CNT: 0
; COMPUTE_PGM_RSRC3_GFX90A:ACCUM_OFFSET: 9
; COMPUTE_PGM_RSRC3_GFX90A:TG_SPLIT: 0
	.section	.text._ZN9rocsparseL38bsrgemm_block_per_row_atomic_multipassILj256ELj256ELj2EllfEEv20rocsparse_direction_T3_S2_PKS2_S4_NS_24const_host_device_scalarIT4_EEPKT2_S4_PKS6_SA_S4_SC_S7_SA_S4_SC_SA_PS2_PS6_PS8_21rocsparse_index_base_SG_SG_SG_bbb,"axG",@progbits,_ZN9rocsparseL38bsrgemm_block_per_row_atomic_multipassILj256ELj256ELj2EllfEEv20rocsparse_direction_T3_S2_PKS2_S4_NS_24const_host_device_scalarIT4_EEPKT2_S4_PKS6_SA_S4_SC_S7_SA_S4_SC_SA_PS2_PS6_PS8_21rocsparse_index_base_SG_SG_SG_bbb,comdat
	.globl	_ZN9rocsparseL38bsrgemm_block_per_row_atomic_multipassILj256ELj256ELj2EllfEEv20rocsparse_direction_T3_S2_PKS2_S4_NS_24const_host_device_scalarIT4_EEPKT2_S4_PKS6_SA_S4_SC_S7_SA_S4_SC_SA_PS2_PS6_PS8_21rocsparse_index_base_SG_SG_SG_bbb ; -- Begin function _ZN9rocsparseL38bsrgemm_block_per_row_atomic_multipassILj256ELj256ELj2EllfEEv20rocsparse_direction_T3_S2_PKS2_S4_NS_24const_host_device_scalarIT4_EEPKT2_S4_PKS6_SA_S4_SC_S7_SA_S4_SC_SA_PS2_PS6_PS8_21rocsparse_index_base_SG_SG_SG_bbb
	.p2align	8
	.type	_ZN9rocsparseL38bsrgemm_block_per_row_atomic_multipassILj256ELj256ELj2EllfEEv20rocsparse_direction_T3_S2_PKS2_S4_NS_24const_host_device_scalarIT4_EEPKT2_S4_PKS6_SA_S4_SC_S7_SA_S4_SC_SA_PS2_PS6_PS8_21rocsparse_index_base_SG_SG_SG_bbb,@function
_ZN9rocsparseL38bsrgemm_block_per_row_atomic_multipassILj256ELj256ELj2EllfEEv20rocsparse_direction_T3_S2_PKS2_S4_NS_24const_host_device_scalarIT4_EEPKT2_S4_PKS6_SA_S4_SC_S7_SA_S4_SC_SA_PS2_PS6_PS8_21rocsparse_index_base_SG_SG_SG_bbb: ; @_ZN9rocsparseL38bsrgemm_block_per_row_atomic_multipassILj256ELj256ELj2EllfEEv20rocsparse_direction_T3_S2_PKS2_S4_NS_24const_host_device_scalarIT4_EEPKT2_S4_PKS6_SA_S4_SC_S7_SA_S4_SC_SA_PS2_PS6_PS8_21rocsparse_index_base_SG_SG_SG_bbb
; %bb.0:
	s_load_dword s7, s[4:5], 0xb0
	s_load_dwordx4 s[52:55], s[4:5], 0xa0
	s_load_dwordx2 s[0:1], s[4:5], 0x28
	s_load_dwordx2 s[8:9], s[4:5], 0x60
	s_waitcnt lgkmcnt(0)
	s_bitcmp1_b32 s7, 0
	s_cselect_b64 s[10:11], -1, 0
	s_bitcmp1_b32 s7, 16
	s_cselect_b64 s[12:13], -1, 0
	s_xor_b64 s[2:3], s[10:11], -1
	s_or_b64 s[2:3], s[2:3], s[12:13]
	s_and_b64 vcc, exec, s[2:3]
	s_cbranch_vccnz .LBB94_2
; %bb.1:
	s_load_dword s0, s[0:1], 0x0
	s_waitcnt lgkmcnt(0)
	v_mov_b32_e32 v9, s0
	s_branch .LBB94_3
.LBB94_2:
	v_mov_b32_e32 v1, s0
	v_cndmask_b32_e64 v9, 0, v1, s[10:11]
.LBB94_3:
	s_load_dwordx2 s[2:3], s[4:5], 0x20
	s_bitcmp1_b32 s7, 8
	s_cselect_b64 s[0:1], -1, 0
	s_xor_b64 s[14:15], s[0:1], -1
	s_or_b64 s[12:13], s[14:15], s[12:13]
	s_mov_b32 s7, 0
	s_and_b64 vcc, exec, s[12:13]
	s_cbranch_vccnz .LBB94_5
; %bb.4:
	s_load_dword s8, s[8:9], 0x0
	s_waitcnt lgkmcnt(0)
	v_mov_b32_e32 v34, s8
	s_branch .LBB94_6
.LBB94_5:
	v_mov_b32_e32 v1, s8
	v_cndmask_b32_e64 v34, 0, v1, s[0:1]
.LBB94_6:
	s_load_dwordx2 s[8:9], s[4:5], 0x30
	s_mov_b64 s[12:13], 0
                                        ; implicit-def: $vgpr62 : SGPR spill to VGPR lane
	s_waitcnt lgkmcnt(0)
	s_cmp_eq_u64 s[2:3], 0
	v_writelane_b32 v62, s12, 0
	v_writelane_b32 v62, s13, 1
	s_cbranch_scc1 .LBB94_8
; %bb.7:
	s_load_dwordx2 s[12:13], s[4:5], 0x18
	s_waitcnt lgkmcnt(0)
	s_load_dwordx2 s[12:13], s[12:13], 0x0
	s_waitcnt lgkmcnt(0)
	s_lshl_b64 s[12:13], s[12:13], 3
	s_add_u32 s12, s2, s12
	s_addc_u32 s13, s3, s13
	s_lshl_b64 s[2:3], s[6:7], 3
	s_add_u32 s2, s12, s2
	s_addc_u32 s3, s13, s3
	s_load_dwordx2 s[6:7], s[2:3], 0x0
.LBB94_8:
	v_cndmask_b32_e64 v1, 0, 1, s[10:11]
	v_cmp_ne_u32_e64 s[2:3], 1, v1
	s_andn2_b64 vcc, exec, s[10:11]
	s_cbranch_vccz .LBB94_11
; %bb.9:
	s_and_b64 vcc, exec, s[2:3]
	s_mov_b64 s[60:61], 0
	s_cbranch_vccz .LBB94_12
.LBB94_10:
	s_load_dwordx4 s[56:59], s[4:5], 0x8
	s_waitcnt lgkmcnt(0)
	v_cmp_lt_i64_e64 s[2:3], s[56:57], 1
	s_and_b64 vcc, exec, s[2:3]
	s_cbranch_vccz .LBB94_13
	s_branch .LBB94_102
.LBB94_11:
	s_waitcnt lgkmcnt(0)
	s_lshl_b64 s[12:13], s[6:7], 3
	s_add_u32 s12, s8, s12
	s_addc_u32 s13, s9, s13
	s_load_dwordx2 s[12:13], s[12:13], 0x0
	s_waitcnt lgkmcnt(0)
	s_sub_u32 s12, s12, s52
	s_subb_u32 s13, s13, 0
	v_writelane_b32 v62, s12, 0
	v_writelane_b32 v62, s13, 1
	s_and_b64 vcc, exec, s[2:3]
	s_mov_b64 s[60:61], 0
	s_cbranch_vccnz .LBB94_10
.LBB94_12:
	s_waitcnt lgkmcnt(0)
	s_lshl_b64 s[2:3], s[6:7], 3
	s_add_u32 s2, s8, s2
	s_addc_u32 s3, s9, s3
	s_load_dwordx2 s[2:3], s[2:3], 0x8
	s_waitcnt lgkmcnt(0)
	s_sub_u32 s60, s2, s52
	s_subb_u32 s61, s3, 0
	s_load_dwordx4 s[56:59], s[4:5], 0x8
	s_waitcnt lgkmcnt(0)
	v_cmp_lt_i64_e64 s[2:3], s[56:57], 1
	s_and_b64 vcc, exec, s[2:3]
	s_cbranch_vccnz .LBB94_102
.LBB94_13:
	s_load_dwordx2 s[62:63], s[4:5], 0x98
	s_load_dwordx4 s[24:27], s[4:5], 0x88
	s_load_dwordx8 s[36:43], s[4:5], 0x68
	s_load_dwordx2 s[64:65], s[4:5], 0x58
	s_load_dwordx8 s[44:51], s[4:5], 0x38
	s_lshl_b64 s[8:9], s[6:7], 3
	v_readlane_b32 s6, v62, 0
	s_waitcnt lgkmcnt(0)
	s_add_u32 s2, s42, s8
	s_addc_u32 s3, s43, s9
	s_load_dwordx2 s[2:3], s[2:3], 0x0
	v_pk_mov_b32 v[6:7], s[60:61], s[60:61] op_sel:[0,1]
	v_readlane_b32 s7, v62, 1
	v_cmp_lt_i64_e32 vcc, s[6:7], v[6:7]
	s_mul_i32 s6, s58, s59
	s_waitcnt lgkmcnt(0)
	s_sub_u32 s22, s2, s54
	s_mul_hi_u32 s7, s58, s58
	v_bfe_u32 v16, v0, 1, 1
	s_subb_u32 s23, s3, 0
	s_add_i32 s7, s7, s6
	s_add_i32 s43, s7, s6
	v_mad_u64_u32 v[6:7], s[6:7], v16, s58, 0
	v_mov_b32_e32 v8, v7
	v_mad_u64_u32 v[10:11], s[6:7], v16, s59, v[8:9]
	v_mov_b32_e32 v7, v10
	v_lshlrev_b64 v[10:11], 2, v[6:7]
	v_and_b32_e32 v4, 1, v0
	v_mov_b32_e32 v6, s47
	v_add_co_u32_e64 v8, s[6:7], s46, v10
	v_addc_co_u32_e64 v12, s[6:7], v6, v11, s[6:7]
	v_lshlrev_b32_e32 v6, 2, v4
	v_mov_b32_e32 v3, 0
	v_add_co_u32_e64 v37, s[6:7], v8, v6
	v_mov_b32_e32 v5, v3
	v_mov_b32_e32 v17, v3
	v_addc_co_u32_e64 v38, s[6:7], 0, v12, s[6:7]
	v_mul_lo_u32 v13, v4, s59
	v_mul_lo_u32 v12, v4, s58
	v_cmp_gt_i64_e64 s[14:15], s[58:59], v[4:5]
	v_cmp_gt_i64_e64 s[6:7], s[58:59], v[16:17]
	v_lshlrev_b64 v[12:13], 2, v[12:13]
	s_and_b64 s[46:47], s[14:15], s[6:7]
	v_mov_b32_e32 v5, s27
	v_add_co_u32_e64 v8, s[6:7], s26, v12
	v_cmp_gt_u64_e64 s[12:13], s[58:59], v[16:17]
	v_lshlrev_b64 v[14:15], 2, v[16:17]
	v_addc_co_u32_e64 v17, s[6:7], v5, v13, s[6:7]
	v_add_co_u32_e64 v8, s[6:7], v8, v14
	s_load_dword s16, s[4:5], 0x0
	v_addc_co_u32_e64 v17, s[6:7], v17, v15, s[6:7]
	v_add_co_u32_e64 v18, s[6:7], s26, v10
	v_addc_co_u32_e64 v5, s[6:7], v5, v11, s[6:7]
	v_add_co_u32_e64 v18, s[6:7], v18, v6
	v_lshrrev_b32_e32 v2, 2, v0
	v_addc_co_u32_e64 v5, s[6:7], 0, v5, s[6:7]
	s_waitcnt lgkmcnt(0)
	s_cmp_eq_u32 s16, 0
	v_subrev_co_u32_e64 v40, s[6:7], s55, v2
	s_cselect_b64 s[20:21], -1, 0
	s_cmp_lg_u32 s16, 0
	v_subb_co_u32_e64 v41, s[6:7], 0, 0, s[6:7]
	s_cselect_b64 s[66:67], -1, 0
	s_add_u32 s36, s36, s8
	v_mov_b32_e32 v19, s41
	v_add_co_u32_e64 v12, s[6:7], s40, v12
	s_mul_i32 s42, s58, s58
	s_addc_u32 s37, s37, s9
	v_addc_co_u32_e64 v13, s[6:7], v19, v13, s[6:7]
	v_add_co_u32_e64 v12, s[6:7], v12, v14
	v_writelane_b32 v62, s36, 2
	v_addc_co_u32_e64 v13, s[6:7], v13, v15, s[6:7]
	v_writelane_b32 v62, s37, 3
	v_writelane_b32 v62, s38, 4
	v_add_co_u32_e64 v10, s[6:7], s40, v10
	v_writelane_b32 v62, s39, 5
	v_addc_co_u32_e64 v11, s[6:7], v19, v11, s[6:7]
	v_writelane_b32 v62, s40, 6
	v_add_co_u32_e64 v10, s[6:7], v10, v6
	v_and_b32_e32 v1, 3, v0
	v_writelane_b32 v62, s41, 7
	v_addc_co_u32_e64 v11, s[6:7], 0, v11, s[6:7]
	v_writelane_b32 v62, s42, 8
	v_cmp_eq_u32_e64 s[6:7], 3, v1
	v_add_co_u32_e64 v1, s[8:9], -1, v0
	v_mov_b32_e32 v14, 0x1000
	v_writelane_b32 v62, s43, 9
	v_lshl_add_u32 v43, v1, 2, v14
	s_and_b64 s[40:41], s[10:11], vcc
	v_cndmask_b32_e64 v1, v17, v5, s[20:21]
	v_cndmask_b32_e64 v10, v12, v10, s[20:21]
	v_mov_b32_e32 v5, s65
	v_add_co_u32_e32 v12, vcc, s64, v6
	v_cndmask_b32_e64 v11, v13, v11, s[20:21]
	v_addc_co_u32_e32 v13, vcc, 0, v5, vcc
	v_lshlrev_b32_e32 v5, 2, v16
	v_lshlrev_b32_e32 v35, 2, v0
	v_lshl_or_b32 v5, v2, 4, v5
	s_and_b64 s[68:69], s[14:15], s[12:13]
	v_add_u32_e32 v53, 0x1400, v5
	v_and_b32_e32 v5, 0x3f8, v35
	v_and_b32_e32 v39, 2, v0
	s_mov_b32 s93, s55
	s_add_u32 s55, s48, 8
	v_or_b32_e32 v54, 0x1400, v5
	v_and_b32_e32 v5, 0xfc, v0
	s_addc_u32 s95, s49, 0
	v_or3_b32 v16, v5, v39, v4
	s_mov_b32 s33, 0
	s_movk_i32 s2, 0x100
	s_add_u32 s38, s24, -8
	v_add_co_u32_e32 v48, vcc, 64, v40
	s_movk_i32 s24, 0x7f
	v_lshlrev_b32_e32 v55, 2, v16
	v_mov_b32_e32 v16, 0x100
	v_cmp_gt_u32_e64 s[2:3], s2, v0
	v_cmp_eq_u32_e64 s[4:5], 0, v0
	v_or_b32_e32 v36, 0x1400, v35
	v_mov_b32_e32 v7, v3
	s_mov_b32 s92, s33
	s_mov_b32 s94, s33
	v_or_b32_e32 v42, 0x1000, v35
	v_cmp_ne_u32_e64 s[10:11], 0, v0
	v_cmp_lt_u32_e64 s[12:13], 1, v0
	v_add_u32_e32 v44, 0xff8, v35
	v_cmp_lt_u32_e64 s[14:15], 3, v0
	v_add_u32_e32 v45, 0xff0, v35
	;; [unrolled: 2-line block ×4, first 2 shown]
	v_cndmask_b32_e64 v8, v8, v18, s[20:21]
	s_addc_u32 s39, s25, -1
	v_addc_co_u32_e32 v49, vcc, 0, v41, vcc
	v_cmp_lt_u32_e64 s[20:21], 31, v0
	v_add_u32_e32 v50, 0xf80, v35
	v_add_u32_e32 v51, 0xf00, v35
	v_pk_mov_b32 v[14:15], s[22:23], s[22:23] op_sel:[0,1]
	v_cmp_lt_u32_e64 s[22:23], s24, v0
	v_add_u32_e32 v52, 0xe00, v35
	v_or_b32_e32 v56, 0x1000, v5
	v_mov_b32_e32 v17, 0
	v_mov_b32_e32 v57, 1
	s_movk_i32 s34, 0xbf
	v_cmp_lt_u32_e64 s[24:25], 63, v0
	s_lshl_b64 s[70:71], s[58:59], 2
	s_lshl_b64 s[72:73], s[42:43], 2
	;; [unrolled: 1-line block ×3, first 2 shown]
	s_mov_b64 s[76:77], 0
	s_branch .LBB94_15
.LBB94_14:                              ;   in Loop: Header=BB94_15 Depth=1
	s_or_b64 exec, exec, s[26:27]
	s_barrier
	ds_read_b64 v[20:21], v3 offset:6144
	v_ashrrev_i32_e32 v0, 31, v18
	v_add_co_u32_e32 v14, vcc, v14, v18
	v_addc_co_u32_e32 v15, vcc, v15, v0, vcc
	s_waitcnt lgkmcnt(0)
	v_add_co_u32_e32 v16, vcc, 0x100, v20
	v_addc_co_u32_e32 v17, vcc, 0, v21, vcc
	v_cmp_le_i64_e32 vcc, s[56:57], v[20:21]
	v_readfirstlane_b32 s76, v20
	v_readfirstlane_b32 s77, v21
	s_barrier
	s_cbranch_vccnz .LBB94_102
.LBB94_15:                              ; =>This Loop Header: Depth=1
                                        ;     Child Loop BB94_19 Depth 2
                                        ;     Child Loop BB94_28 Depth 2
                                        ;       Child Loop BB94_43 Depth 3
                                        ;         Child Loop BB94_55 Depth 4
                                        ;         Child Loop BB94_51 Depth 4
                                        ;     Child Loop BB94_65 Depth 2
                                        ;     Child Loop BB94_74 Depth 2
	;; [unrolled: 1-line block ×3, first 2 shown]
	s_and_saveexec_b64 s[26:27], s[2:3]
	s_cbranch_execz .LBB94_17
; %bb.16:                               ;   in Loop: Header=BB94_15 Depth=1
	ds_write_b32 v42, v3
.LBB94_17:                              ;   in Loop: Header=BB94_15 Depth=1
	s_or_b64 exec, exec, s[26:27]
	s_mov_b32 s35, 0
	s_mov_b64 s[26:27], 0
	v_mov_b32_e32 v0, v35
	s_branch .LBB94_19
.LBB94_18:                              ;   in Loop: Header=BB94_19 Depth=2
	s_or_b64 exec, exec, s[30:31]
	s_add_i32 s35, s35, 2
	v_cmp_eq_u32_e64 s[28:29], 4, s35
	s_or_b64 s[26:27], s[28:29], s[26:27]
	v_add_u32_e32 v0, 0x800, v0
	s_andn2_b64 exec, exec, s[26:27]
	s_cbranch_execz .LBB94_23
.LBB94_19:                              ;   Parent Loop BB94_15 Depth=1
                                        ; =>  This Inner Loop Header: Depth=2
	s_or_b32 s28, s35, 1
	v_cmp_le_u32_e64 s[28:29], s28, 3
	v_cmp_le_u32_e64 s[78:79], s35, 3
	s_and_saveexec_b64 s[30:31], s[78:79]
	s_cbranch_execz .LBB94_21
; %bb.20:                               ;   in Loop: Header=BB94_19 Depth=2
	ds_write_b32 v0, v3
.LBB94_21:                              ;   in Loop: Header=BB94_19 Depth=2
	s_or_b64 exec, exec, s[30:31]
	s_and_saveexec_b64 s[30:31], s[28:29]
	s_cbranch_execz .LBB94_18
; %bb.22:                               ;   in Loop: Header=BB94_19 Depth=2
	ds_write_b32 v0, v3 offset:1024
	s_branch .LBB94_18
.LBB94_23:                              ;   in Loop: Header=BB94_15 Depth=1
	s_or_b64 exec, exec, s[26:27]
	s_and_saveexec_b64 s[26:27], s[4:5]
	s_cbranch_execz .LBB94_25
; %bb.24:                               ;   in Loop: Header=BB94_15 Depth=1
	v_pk_mov_b32 v[18:19], s[56:57], s[56:57] op_sel:[0,1]
	ds_write_b64 v3, v[18:19] offset:6144
.LBB94_25:                              ;   in Loop: Header=BB94_15 Depth=1
	s_or_b64 exec, exec, s[26:27]
	s_andn2_b64 vcc, exec, s[40:41]
	v_pk_mov_b32 v[18:19], s[56:57], s[56:57] op_sel:[0,1]
	s_waitcnt lgkmcnt(0)
	s_barrier
	s_cbranch_vccnz .LBB94_60
; %bb.26:                               ;   in Loop: Header=BB94_15 Depth=1
	s_cmp_lg_u64 s[76:77], 0
	v_readlane_b32 s78, v62, 0
	s_cselect_b64 s[30:31], -1, 0
	v_pk_mov_b32 v[18:19], s[56:57], s[56:57] op_sel:[0,1]
	v_readlane_b32 s79, v62, 1
	s_branch .LBB94_28
.LBB94_27:                              ;   in Loop: Header=BB94_28 Depth=2
	s_or_b64 exec, exec, s[28:29]
	s_add_u32 s78, s78, 64
	s_addc_u32 s79, s79, 0
	v_pk_mov_b32 v[20:21], s[60:61], s[60:61] op_sel:[0,1]
	v_cmp_lt_i64_e32 vcc, s[78:79], v[20:21]
	s_cbranch_vccz .LBB94_60
.LBB94_28:                              ;   Parent Loop BB94_15 Depth=1
                                        ; =>  This Loop Header: Depth=2
                                        ;       Child Loop BB94_43 Depth 3
                                        ;         Child Loop BB94_55 Depth 4
                                        ;         Child Loop BB94_51 Depth 4
	v_mov_b32_e32 v0, s79
	v_add_co_u32_e32 v20, vcc, s78, v2
	v_addc_co_u32_e32 v21, vcc, 0, v0, vcc
	v_cmp_gt_i64_e64 s[26:27], s[60:61], v[20:21]
	s_barrier
	s_and_saveexec_b64 s[28:29], s[26:27]
	s_cbranch_execz .LBB94_32
; %bb.29:                               ;   in Loop: Header=BB94_28 Depth=2
	v_mov_b32_e32 v0, 0
	s_and_saveexec_b64 s[80:81], s[68:69]
	s_cbranch_execz .LBB94_31
; %bb.30:                               ;   in Loop: Header=BB94_28 Depth=2
	v_mul_lo_u32 v0, v21, s42
	v_mul_lo_u32 v5, v20, s43
	v_mad_u64_u32 v[22:23], s[82:83], v20, s42, 0
	v_add3_u32 v23, v23, v5, v0
	v_lshlrev_b64 v[22:23], 2, v[22:23]
	v_add_co_u32_e32 v22, vcc, v37, v22
	v_addc_co_u32_e32 v23, vcc, v38, v23, vcc
	global_load_dword v0, v[22:23], off
.LBB94_31:                              ;   in Loop: Header=BB94_28 Depth=2
	s_or_b64 exec, exec, s[80:81]
	s_waitcnt vmcnt(0)
	ds_write_b32 v36, v0
.LBB94_32:                              ;   in Loop: Header=BB94_28 Depth=2
	s_or_b64 exec, exec, s[28:29]
	v_pk_mov_b32 v[22:23], 0, 0
	v_lshlrev_b64 v[20:21], 3, v[20:21]
	s_waitcnt lgkmcnt(0)
	s_barrier
	s_and_saveexec_b64 s[80:81], s[26:27]
	s_cbranch_execz .LBB94_58
; %bb.33:                               ;   in Loop: Header=BB94_28 Depth=2
	v_mov_b32_e32 v0, s45
	v_add_co_u32_e32 v22, vcc, s44, v20
	v_addc_co_u32_e32 v23, vcc, v0, v21, vcc
	global_load_dwordx2 v[24:25], v[22:23], off
	s_and_b64 vcc, exec, s[30:31]
	s_cbranch_vccz .LBB94_35
; %bb.34:                               ;   in Loop: Header=BB94_28 Depth=2
	v_mov_b32_e32 v0, s63
	v_add_co_u32_e32 v22, vcc, s62, v20
	v_addc_co_u32_e32 v23, vcc, v0, v21, vcc
	global_load_dwordx2 v[22:23], v[22:23], off
	s_mov_b64 s[28:29], 0
	s_branch .LBB94_36
.LBB94_35:                              ;   in Loop: Header=BB94_28 Depth=2
	s_mov_b64 s[28:29], -1
                                        ; implicit-def: $vgpr22_vgpr23
.LBB94_36:                              ;   in Loop: Header=BB94_28 Depth=2
	v_mov_b32_e32 v0, s92
	s_waitcnt vmcnt(0)
	v_subrev_co_u32_e32 v24, vcc, s52, v24
	v_subb_co_u32_e32 v25, vcc, v25, v0, vcc
	s_andn2_b64 vcc, exec, s[28:29]
	v_lshlrev_b64 v[24:25], 3, v[24:25]
	s_cbranch_vccnz .LBB94_38
; %bb.37:                               ;   in Loop: Header=BB94_28 Depth=2
	v_mov_b32_e32 v0, s49
	v_add_co_u32_e32 v22, vcc, s48, v24
	v_addc_co_u32_e32 v23, vcc, v0, v25, vcc
	global_load_dwordx2 v[22:23], v[22:23], off
	v_mov_b32_e32 v0, s33
	s_waitcnt vmcnt(0)
	v_subrev_co_u32_e32 v22, vcc, s53, v22
	v_subb_co_u32_e32 v23, vcc, v23, v0, vcc
.LBB94_38:                              ;   in Loop: Header=BB94_28 Depth=2
	v_mov_b32_e32 v0, s95
	v_add_co_u32_e32 v24, vcc, s55, v24
	v_addc_co_u32_e32 v25, vcc, v0, v25, vcc
	global_load_dwordx2 v[24:25], v[24:25], off
	v_mov_b32_e32 v0, s33
	s_waitcnt vmcnt(0)
	v_subrev_co_u32_e32 v24, vcc, s53, v24
	v_subb_co_u32_e32 v25, vcc, v25, v0, vcc
	v_cmp_lt_i64_e32 vcc, v[22:23], v[24:25]
	s_and_saveexec_b64 s[82:83], vcc
	s_cbranch_execz .LBB94_57
; %bb.39:                               ;   in Loop: Header=BB94_28 Depth=2
	v_mad_u64_u32 v[26:27], s[28:29], s70, v22, v[6:7]
	v_mul_lo_u32 v0, s70, v23
	v_mul_lo_u32 v5, s71, v22
	v_add3_u32 v0, v5, v27, v0
	v_pk_mov_b32 v[28:29], s[64:65], s[64:65] op_sel:[0,1]
	v_mul_lo_u32 v5, s59, v26
	v_mul_lo_u32 v0, s58, v0
	v_mad_u64_u32 v[26:27], s[28:29], s58, v26, v[28:29]
	v_add3_u32 v27, v5, v27, v0
	v_mad_u64_u32 v[28:29], s[28:29], s72, v22, v[12:13]
	v_mul_lo_u32 v0, s72, v23
	v_mul_lo_u32 v5, s73, v22
	v_add3_u32 v29, v5, v29, v0
	s_mov_b64 s[84:85], 0
	v_pk_mov_b32 v[30:31], v[22:23], v[22:23] op_sel:[0,1]
	s_branch .LBB94_43
.LBB94_40:                              ;   in Loop: Header=BB94_43 Depth=3
	v_or3_b32 v0, v0, v39, v4
	v_lshlrev_b32_e32 v0, 2, v0
	v_mul_f32_e32 v5, v9, v5
	ds_add_f32 v0, v5
.LBB94_41:                              ;   in Loop: Header=BB94_43 Depth=3
	s_or_b64 exec, exec, s[88:89]
	s_or_b64 s[28:29], s[28:29], exec
.LBB94_42:                              ;   in Loop: Header=BB94_43 Depth=3
	s_or_b64 exec, exec, s[86:87]
	v_add_co_u32_e32 v22, vcc, 1, v22
	v_addc_co_u32_e32 v23, vcc, 0, v23, vcc
	v_cmp_ge_i64_e32 vcc, v[22:23], v[24:25]
	s_xor_b64 s[28:29], s[28:29], -1
	s_or_b64 s[28:29], s[28:29], vcc
	v_mov_b32_e32 v0, s73
	v_add_co_u32_e32 v26, vcc, s72, v26
	v_addc_co_u32_e32 v27, vcc, v27, v0, vcc
	s_and_b64 s[28:29], exec, s[28:29]
	v_add_co_u32_e32 v28, vcc, s72, v28
	s_or_b64 s[84:85], s[28:29], s[84:85]
	v_addc_co_u32_e32 v29, vcc, v29, v0, vcc
	s_andn2_b64 exec, exec, s[84:85]
	s_cbranch_execz .LBB94_56
.LBB94_43:                              ;   Parent Loop BB94_15 Depth=1
                                        ;     Parent Loop BB94_28 Depth=2
                                        ; =>    This Loop Header: Depth=3
                                        ;         Child Loop BB94_55 Depth 4
                                        ;         Child Loop BB94_51 Depth 4
	v_lshlrev_b64 v[32:33], 3, v[22:23]
	v_mov_b32_e32 v0, s51
	v_add_co_u32_e32 v32, vcc, s50, v32
	v_addc_co_u32_e32 v33, vcc, v0, v33, vcc
	global_load_dwordx2 v[32:33], v[32:33], off
	v_mov_b32_e32 v0, s33
	s_waitcnt vmcnt(0)
	v_subrev_co_u32_e32 v32, vcc, s53, v32
	v_subb_co_u32_e32 v33, vcc, v33, v0, vcc
	v_cmp_gt_i64_e64 s[28:29], s[76:77], v[32:33]
	v_cmp_ge_i64_e32 vcc, v[32:33], v[16:17]
	s_or_b64 s[86:87], s[28:29], vcc
                                        ; implicit-def: $sgpr28_sgpr29
	s_and_saveexec_b64 s[88:89], s[86:87]
	s_xor_b64 s[86:87], exec, s[88:89]
	s_cbranch_execz .LBB94_47
; %bb.44:                               ;   in Loop: Header=BB94_43 Depth=3
	s_mov_b64 s[28:29], -1
	s_and_saveexec_b64 s[88:89], vcc
; %bb.45:                               ;   in Loop: Header=BB94_43 Depth=3
	v_cmp_lt_i64_e32 vcc, v[32:33], v[18:19]
	v_cndmask_b32_e32 v19, v19, v33, vcc
	v_cndmask_b32_e32 v18, v18, v32, vcc
	s_xor_b64 s[28:29], exec, -1
	v_pk_mov_b32 v[30:31], v[22:23], v[22:23] op_sel:[0,1]
; %bb.46:                               ;   in Loop: Header=BB94_43 Depth=3
	s_or_b64 exec, exec, s[88:89]
	s_and_b64 s[28:29], s[28:29], exec
                                        ; implicit-def: $vgpr32_vgpr33
.LBB94_47:                              ;   in Loop: Header=BB94_43 Depth=3
	s_andn2_saveexec_b64 s[86:87], s[86:87]
	s_cbranch_execz .LBB94_42
; %bb.48:                               ;   in Loop: Header=BB94_43 Depth=3
	v_subrev_u32_e32 v0, s76, v32
	v_lshlrev_b32_e32 v0, 2, v0
	ds_write_b32 v0, v57 offset:4096
	s_and_saveexec_b64 s[88:89], s[46:47]
	s_cbranch_execz .LBB94_41
; %bb.49:                               ;   in Loop: Header=BB94_43 Depth=3
	s_andn2_b64 vcc, exec, s[66:67]
	s_cbranch_vccnz .LBB94_53
; %bb.50:                               ;   in Loop: Header=BB94_43 Depth=3
	v_mov_b32_e32 v5, 0
	v_mov_b32_e32 v58, v53
	s_mov_b64 s[90:91], s[58:59]
	v_pk_mov_b32 v[32:33], v[26:27], v[26:27] op_sel:[0,1]
.LBB94_51:                              ;   Parent Loop BB94_15 Depth=1
                                        ;     Parent Loop BB94_28 Depth=2
                                        ;       Parent Loop BB94_43 Depth=3
                                        ; =>      This Inner Loop Header: Depth=4
	global_load_dword v59, v[32:33], off
	ds_read_b32 v60, v58
	s_add_u32 s90, s90, -1
	v_add_co_u32_e32 v32, vcc, 4, v32
	s_addc_u32 s91, s91, -1
	v_addc_co_u32_e32 v33, vcc, 0, v33, vcc
	v_add_u32_e32 v58, 8, v58
	s_cmp_lg_u64 s[90:91], 0
	s_waitcnt vmcnt(0) lgkmcnt(0)
	v_fmac_f32_e32 v5, v60, v59
	s_cbranch_scc1 .LBB94_51
; %bb.52:                               ;   in Loop: Header=BB94_43 Depth=3
	s_branch .LBB94_40
.LBB94_53:                              ;   in Loop: Header=BB94_43 Depth=3
                                        ; implicit-def: $vgpr5
	s_cbranch_execz .LBB94_40
; %bb.54:                               ;   in Loop: Header=BB94_43 Depth=3
	v_mov_b32_e32 v5, 0
	v_mov_b32_e32 v58, v54
	v_pk_mov_b32 v[32:33], v[28:29], v[28:29] op_sel:[0,1]
	s_mov_b64 s[90:91], s[58:59]
.LBB94_55:                              ;   Parent Loop BB94_15 Depth=1
                                        ;     Parent Loop BB94_28 Depth=2
                                        ;       Parent Loop BB94_43 Depth=3
                                        ; =>      This Inner Loop Header: Depth=4
	global_load_dword v59, v[32:33], off
	ds_read_b32 v60, v58
	s_add_u32 s90, s90, -1
	v_mov_b32_e32 v61, s71
	v_add_co_u32_e32 v32, vcc, s70, v32
	s_addc_u32 s91, s91, -1
	v_add_u32_e32 v58, 4, v58
	v_addc_co_u32_e32 v33, vcc, v33, v61, vcc
	s_cmp_eq_u64 s[90:91], 0
	s_waitcnt vmcnt(0) lgkmcnt(0)
	v_fmac_f32_e32 v5, v60, v59
	s_cbranch_scc0 .LBB94_55
	s_branch .LBB94_40
.LBB94_56:                              ;   in Loop: Header=BB94_28 Depth=2
	s_or_b64 exec, exec, s[84:85]
	v_pk_mov_b32 v[22:23], v[30:31], v[30:31] op_sel:[0,1]
.LBB94_57:                              ;   in Loop: Header=BB94_28 Depth=2
	s_or_b64 exec, exec, s[82:83]
.LBB94_58:                              ;   in Loop: Header=BB94_28 Depth=2
	s_or_b64 exec, exec, s[80:81]
	s_waitcnt lgkmcnt(0)
	s_barrier
	s_and_saveexec_b64 s[28:29], s[26:27]
	s_cbranch_execz .LBB94_27
; %bb.59:                               ;   in Loop: Header=BB94_28 Depth=2
	v_mov_b32_e32 v0, s63
	v_add_co_u32_e32 v20, vcc, s62, v20
	v_addc_co_u32_e32 v21, vcc, v0, v21, vcc
	global_store_dwordx2 v[20:21], v[22:23], off
	s_branch .LBB94_27
.LBB94_60:                              ;   in Loop: Header=BB94_15 Depth=1
	s_andn2_b64 vcc, exec, s[0:1]
	s_cbranch_vccnz .LBB94_72
; %bb.61:                               ;   in Loop: Header=BB94_15 Depth=1
	s_load_dwordx4 s[28:31], s[36:37], 0x0
	s_waitcnt lgkmcnt(0)
	s_sub_u32 s30, s30, s93
	v_mov_b32_e32 v0, s29
	v_add_co_u32_e32 v24, vcc, s28, v40
	s_subb_u32 s31, s31, 0
	v_addc_co_u32_e32 v25, vcc, v0, v41, vcc
	v_cmp_gt_i64_e32 vcc, s[30:31], v[24:25]
	s_and_saveexec_b64 s[78:79], vcc
	s_cbranch_execz .LBB94_71
; %bb.62:                               ;   in Loop: Header=BB94_15 Depth=1
	v_readlane_b32 s80, v62, 2
	v_readlane_b32 s82, v62, 4
	;; [unrolled: 1-line block ×3, first 2 shown]
	v_lshlrev_b64 v[20:21], 3, v[24:25]
	s_mov_b64 s[26:27], s[82:83]
	v_mov_b32_e32 v0, s27
	v_add_co_u32_e32 v20, vcc, s26, v20
	v_addc_co_u32_e32 v21, vcc, v0, v21, vcc
	v_mad_u64_u32 v[22:23], s[26:27], s72, v24, v[10:11]
	v_mul_lo_u32 v0, s72, v25
	v_mul_lo_u32 v5, s73, v24
	v_add3_u32 v23, v5, v23, v0
	v_mov_b32_e32 v0, s29
	v_add_co_u32_e32 v24, vcc, s28, v48
	v_addc_co_u32_e32 v25, vcc, v49, v0, vcc
	s_mov_b64 s[28:29], 0
	v_readlane_b32 s81, v62, 3
	v_readlane_b32 s84, v62, 6
	;; [unrolled: 1-line block ×5, first 2 shown]
	s_branch .LBB94_65
.LBB94_63:                              ;   in Loop: Header=BB94_65 Depth=2
	s_or_b64 exec, exec, s[82:83]
	s_or_b64 s[26:27], s[26:27], exec
.LBB94_64:                              ;   in Loop: Header=BB94_65 Depth=2
	s_or_b64 exec, exec, s[80:81]
	v_cmp_le_i64_e32 vcc, s[30:31], v[24:25]
	s_xor_b64 s[26:27], s[26:27], -1
	s_or_b64 s[26:27], s[26:27], vcc
	v_add_co_u32_e32 v20, vcc, 0x200, v20
	v_addc_co_u32_e32 v21, vcc, 0, v21, vcc
	v_mov_b32_e32 v0, s75
	v_add_co_u32_e32 v22, vcc, s74, v22
	v_addc_co_u32_e32 v23, vcc, v23, v0, vcc
	s_and_b64 s[26:27], exec, s[26:27]
	v_add_co_u32_e32 v24, vcc, 64, v24
	s_or_b64 s[28:29], s[26:27], s[28:29]
	v_addc_co_u32_e32 v25, vcc, 0, v25, vcc
	s_andn2_b64 exec, exec, s[28:29]
	s_cbranch_execz .LBB94_70
.LBB94_65:                              ;   Parent Loop BB94_15 Depth=1
                                        ; =>  This Inner Loop Header: Depth=2
	global_load_dwordx2 v[26:27], v[20:21], off
	v_mov_b32_e32 v0, s94
	s_waitcnt vmcnt(0)
	v_subrev_co_u32_e32 v26, vcc, s93, v26
	v_subb_co_u32_e32 v27, vcc, v27, v0, vcc
	v_cmp_lt_i64_e32 vcc, v[26:27], v[16:17]
	v_cmp_gt_i64_e64 s[26:27], s[76:77], v[26:27]
	s_xor_b64 s[80:81], vcc, -1
	s_or_b64 s[80:81], s[26:27], s[80:81]
                                        ; implicit-def: $sgpr26_sgpr27
	s_and_saveexec_b64 s[82:83], s[80:81]
	s_xor_b64 s[80:81], exec, s[82:83]
; %bb.66:                               ;   in Loop: Header=BB94_65 Depth=2
	v_cmp_lt_i64_e64 s[26:27], v[26:27], v[18:19]
	v_cndmask_b32_e64 v0, v18, v26, s[26:27]
	v_cndmask_b32_e64 v5, v19, v27, s[26:27]
	v_cndmask_b32_e32 v19, v5, v19, vcc
	v_cndmask_b32_e32 v18, v0, v18, vcc
	s_and_b64 s[26:27], vcc, exec
                                        ; implicit-def: $vgpr26
; %bb.67:                               ;   in Loop: Header=BB94_65 Depth=2
	s_andn2_saveexec_b64 s[80:81], s[80:81]
	s_cbranch_execz .LBB94_64
; %bb.68:                               ;   in Loop: Header=BB94_65 Depth=2
	v_subrev_u32_e32 v0, s76, v26
	v_lshlrev_b32_e32 v0, 2, v0
	ds_write_b32 v0, v57 offset:4096
	s_and_saveexec_b64 s[82:83], s[68:69]
	s_cbranch_execz .LBB94_63
; %bb.69:                               ;   in Loop: Header=BB94_65 Depth=2
	global_load_dword v5, v[22:23], off
	v_or3_b32 v0, v0, v39, v4
	v_lshlrev_b32_e32 v0, 2, v0
	s_waitcnt vmcnt(0)
	v_mul_f32_e32 v5, v34, v5
	ds_add_f32 v0, v5
	s_branch .LBB94_63
.LBB94_70:                              ;   in Loop: Header=BB94_15 Depth=1
	s_or_b64 exec, exec, s[28:29]
.LBB94_71:                              ;   in Loop: Header=BB94_15 Depth=1
	s_or_b64 exec, exec, s[78:79]
.LBB94_72:                              ;   in Loop: Header=BB94_15 Depth=1
	s_and_saveexec_b64 s[26:27], s[6:7]
	s_cbranch_execz .LBB94_77
; %bb.73:                               ;   in Loop: Header=BB94_15 Depth=1
	s_mov_b64 s[30:31], exec
	s_mov_b64 s[28:29], -1
.LBB94_74:                              ;   Parent Loop BB94_15 Depth=1
                                        ; =>  This Inner Loop Header: Depth=2
	s_ff1_i32_b64 s35, s[30:31]
	v_readlane_b32 s80, v19, s35
	v_readlane_b32 s81, v18, s35
	v_mov_b32_e32 v16, s81
	v_mov_b32_e32 v17, s80
	v_cmp_lt_u64_e32 vcc, s[28:29], v[16:17]
	s_and_b64 s[78:79], vcc, exec
	s_cselect_b32 s29, s29, s80
	s_cselect_b32 s28, s28, s81
	s_lshl_b64 s[78:79], 1, s35
	s_andn2_b64 s[30:31], s[30:31], s[78:79]
	s_cmp_lg_u64 s[30:31], 0
	s_cbranch_scc1 .LBB94_74
; %bb.75:                               ;   in Loop: Header=BB94_15 Depth=1
	v_mbcnt_lo_u32_b32 v0, exec_lo, 0
	v_mbcnt_hi_u32_b32 v0, exec_hi, v0
	v_cmp_eq_u32_e32 vcc, 0, v0
	s_and_saveexec_b64 s[30:31], vcc
	s_xor_b64 s[30:31], exec, s[30:31]
	s_cbranch_execz .LBB94_77
; %bb.76:                               ;   in Loop: Header=BB94_15 Depth=1
	v_pk_mov_b32 v[16:17], s[28:29], s[28:29] op_sel:[0,1]
	ds_min_u64 v3, v[16:17] offset:6144
.LBB94_77:                              ;   in Loop: Header=BB94_15 Depth=1
	s_or_b64 exec, exec, s[26:27]
	s_waitcnt lgkmcnt(0)
	s_barrier
	ds_read_b32 v0, v42
	s_waitcnt lgkmcnt(0)
	s_barrier
	s_and_saveexec_b64 s[26:27], s[10:11]
	s_cbranch_execz .LBB94_79
; %bb.78:                               ;   in Loop: Header=BB94_15 Depth=1
	ds_read_b32 v5, v43
	s_waitcnt lgkmcnt(0)
	v_add_u32_e32 v0, v5, v0
.LBB94_79:                              ;   in Loop: Header=BB94_15 Depth=1
	s_or_b64 exec, exec, s[26:27]
	s_barrier
	ds_write_b32 v42, v0
	s_waitcnt lgkmcnt(0)
	s_barrier
	s_and_saveexec_b64 s[26:27], s[12:13]
	s_cbranch_execz .LBB94_81
; %bb.80:                               ;   in Loop: Header=BB94_15 Depth=1
	ds_read_b32 v5, v44
	s_waitcnt lgkmcnt(0)
	v_add_u32_e32 v0, v5, v0
.LBB94_81:                              ;   in Loop: Header=BB94_15 Depth=1
	s_or_b64 exec, exec, s[26:27]
	s_barrier
	ds_write_b32 v42, v0
	;; [unrolled: 12-line block ×8, first 2 shown]
	s_waitcnt lgkmcnt(0)
	s_barrier
	ds_read_b32 v18, v3 offset:5116
	v_mov_b32_e32 v5, 0
	s_and_saveexec_b64 s[26:27], s[8:9]
	s_cbranch_execz .LBB94_95
; %bb.94:                               ;   in Loop: Header=BB94_15 Depth=1
	ds_read_b32 v5, v43
.LBB94_95:                              ;   in Loop: Header=BB94_15 Depth=1
	s_or_b64 exec, exec, s[26:27]
	s_waitcnt lgkmcnt(0)
	v_cmp_eq_u32_e32 vcc, v0, v5
	s_and_b64 s[28:29], s[8:9], vcc
	s_barrier
	s_and_saveexec_b64 s[26:27], s[28:29]
	s_cbranch_execz .LBB94_97
; %bb.96:                               ;   in Loop: Header=BB94_15 Depth=1
	ds_write_b32 v42, v3
.LBB94_97:                              ;   in Loop: Header=BB94_15 Depth=1
	s_or_b64 exec, exec, s[26:27]
	v_add_co_u32_e32 v19, vcc, -1, v14
	s_add_u32 s30, s54, s76
	v_addc_co_u32_e32 v20, vcc, -1, v15, vcc
	s_addc_u32 s31, 0, s77
	s_mov_b64 s[26:27], 0
	v_mov_b32_e32 v21, v56
	v_mov_b32_e32 v22, v55
	v_pk_mov_b32 v[16:17], v[2:3], v[2:3] op_sel:[0,1]
	s_waitcnt lgkmcnt(0)
	s_barrier
	s_branch .LBB94_99
.LBB94_98:                              ;   in Loop: Header=BB94_99 Depth=2
	s_or_b64 exec, exec, s[28:29]
	v_add_co_u32_e32 v16, vcc, 64, v16
	v_addc_co_u32_e32 v17, vcc, 0, v17, vcc
	v_subrev_u32_e32 v0, 64, v16
	v_cmp_lt_u32_e32 vcc, s34, v0
	v_add_u32_e32 v22, 0x400, v22
	s_or_b64 s[26:27], vcc, s[26:27]
	v_add_u32_e32 v21, 0x100, v21
	s_andn2_b64 exec, exec, s[26:27]
	s_cbranch_execz .LBB94_14
.LBB94_99:                              ;   Parent Loop BB94_15 Depth=1
                                        ; =>  This Inner Loop Header: Depth=2
	ds_read_b32 v0, v21
	s_waitcnt lgkmcnt(0)
	v_cmp_ne_u32_e32 vcc, 0, v0
	s_and_saveexec_b64 s[28:29], vcc
	s_cbranch_execz .LBB94_98
; %bb.100:                              ;   in Loop: Header=BB94_99 Depth=2
	v_mov_b32_e32 v23, s31
	v_add_co_u32_e32 v24, vcc, s30, v16
	v_addc_co_u32_e32 v25, vcc, v23, v17, vcc
	v_ashrrev_i32_e32 v5, 31, v0
	v_add_co_u32_e32 v26, vcc, v14, v0
	v_addc_co_u32_e32 v27, vcc, v15, v5, vcc
	v_lshlrev_b64 v[26:27], 3, v[26:27]
	v_mov_b32_e32 v23, s39
	v_add_co_u32_e32 v26, vcc, s38, v26
	v_addc_co_u32_e32 v27, vcc, v23, v27, vcc
	global_store_dwordx2 v[26:27], v[24:25], off
	s_and_b64 exec, exec, s[68:69]
	s_cbranch_execz .LBB94_98
; %bb.101:                              ;   in Loop: Header=BB94_99 Depth=2
	v_add_co_u32_e32 v0, vcc, v19, v0
	v_addc_co_u32_e32 v5, vcc, v20, v5, vcc
	ds_read_b32 v23, v22
	v_mul_lo_u32 v5, v5, s42
	v_mul_lo_u32 v26, v0, s43
	v_mad_u64_u32 v[24:25], s[76:77], v0, s42, 0
	v_add3_u32 v25, v25, v26, v5
	v_lshlrev_b64 v[24:25], 2, v[24:25]
	v_add_co_u32_e32 v24, vcc, v8, v24
	v_addc_co_u32_e32 v25, vcc, v1, v25, vcc
	s_waitcnt lgkmcnt(0)
	global_store_dword v[24:25], v23, off
	s_branch .LBB94_98
.LBB94_102:
	s_endpgm
	.section	.rodata,"a",@progbits
	.p2align	6, 0x0
	.amdhsa_kernel _ZN9rocsparseL38bsrgemm_block_per_row_atomic_multipassILj256ELj256ELj2EllfEEv20rocsparse_direction_T3_S2_PKS2_S4_NS_24const_host_device_scalarIT4_EEPKT2_S4_PKS6_SA_S4_SC_S7_SA_S4_SC_SA_PS2_PS6_PS8_21rocsparse_index_base_SG_SG_SG_bbb
		.amdhsa_group_segment_fixed_size 6152
		.amdhsa_private_segment_fixed_size 0
		.amdhsa_kernarg_size 180
		.amdhsa_user_sgpr_count 6
		.amdhsa_user_sgpr_private_segment_buffer 1
		.amdhsa_user_sgpr_dispatch_ptr 0
		.amdhsa_user_sgpr_queue_ptr 0
		.amdhsa_user_sgpr_kernarg_segment_ptr 1
		.amdhsa_user_sgpr_dispatch_id 0
		.amdhsa_user_sgpr_flat_scratch_init 0
		.amdhsa_user_sgpr_kernarg_preload_length 0
		.amdhsa_user_sgpr_kernarg_preload_offset 0
		.amdhsa_user_sgpr_private_segment_size 0
		.amdhsa_uses_dynamic_stack 0
		.amdhsa_system_sgpr_private_segment_wavefront_offset 0
		.amdhsa_system_sgpr_workgroup_id_x 1
		.amdhsa_system_sgpr_workgroup_id_y 0
		.amdhsa_system_sgpr_workgroup_id_z 0
		.amdhsa_system_sgpr_workgroup_info 0
		.amdhsa_system_vgpr_workitem_id 0
		.amdhsa_next_free_vgpr 63
		.amdhsa_next_free_sgpr 96
		.amdhsa_accum_offset 64
		.amdhsa_reserve_vcc 1
		.amdhsa_reserve_flat_scratch 0
		.amdhsa_float_round_mode_32 0
		.amdhsa_float_round_mode_16_64 0
		.amdhsa_float_denorm_mode_32 3
		.amdhsa_float_denorm_mode_16_64 3
		.amdhsa_dx10_clamp 1
		.amdhsa_ieee_mode 1
		.amdhsa_fp16_overflow 0
		.amdhsa_tg_split 0
		.amdhsa_exception_fp_ieee_invalid_op 0
		.amdhsa_exception_fp_denorm_src 0
		.amdhsa_exception_fp_ieee_div_zero 0
		.amdhsa_exception_fp_ieee_overflow 0
		.amdhsa_exception_fp_ieee_underflow 0
		.amdhsa_exception_fp_ieee_inexact 0
		.amdhsa_exception_int_div_zero 0
	.end_amdhsa_kernel
	.section	.text._ZN9rocsparseL38bsrgemm_block_per_row_atomic_multipassILj256ELj256ELj2EllfEEv20rocsparse_direction_T3_S2_PKS2_S4_NS_24const_host_device_scalarIT4_EEPKT2_S4_PKS6_SA_S4_SC_S7_SA_S4_SC_SA_PS2_PS6_PS8_21rocsparse_index_base_SG_SG_SG_bbb,"axG",@progbits,_ZN9rocsparseL38bsrgemm_block_per_row_atomic_multipassILj256ELj256ELj2EllfEEv20rocsparse_direction_T3_S2_PKS2_S4_NS_24const_host_device_scalarIT4_EEPKT2_S4_PKS6_SA_S4_SC_S7_SA_S4_SC_SA_PS2_PS6_PS8_21rocsparse_index_base_SG_SG_SG_bbb,comdat
.Lfunc_end94:
	.size	_ZN9rocsparseL38bsrgemm_block_per_row_atomic_multipassILj256ELj256ELj2EllfEEv20rocsparse_direction_T3_S2_PKS2_S4_NS_24const_host_device_scalarIT4_EEPKT2_S4_PKS6_SA_S4_SC_S7_SA_S4_SC_SA_PS2_PS6_PS8_21rocsparse_index_base_SG_SG_SG_bbb, .Lfunc_end94-_ZN9rocsparseL38bsrgemm_block_per_row_atomic_multipassILj256ELj256ELj2EllfEEv20rocsparse_direction_T3_S2_PKS2_S4_NS_24const_host_device_scalarIT4_EEPKT2_S4_PKS6_SA_S4_SC_S7_SA_S4_SC_SA_PS2_PS6_PS8_21rocsparse_index_base_SG_SG_SG_bbb
                                        ; -- End function
	.section	.AMDGPU.csdata,"",@progbits
; Kernel info:
; codeLenInByte = 3936
; NumSgprs: 100
; NumVgprs: 63
; NumAgprs: 0
; TotalNumVgprs: 63
; ScratchSize: 0
; MemoryBound: 0
; FloatMode: 240
; IeeeMode: 1
; LDSByteSize: 6152 bytes/workgroup (compile time only)
; SGPRBlocks: 12
; VGPRBlocks: 7
; NumSGPRsForWavesPerEU: 100
; NumVGPRsForWavesPerEU: 63
; AccumOffset: 64
; Occupancy: 8
; WaveLimiterHint : 1
; COMPUTE_PGM_RSRC2:SCRATCH_EN: 0
; COMPUTE_PGM_RSRC2:USER_SGPR: 6
; COMPUTE_PGM_RSRC2:TRAP_HANDLER: 0
; COMPUTE_PGM_RSRC2:TGID_X_EN: 1
; COMPUTE_PGM_RSRC2:TGID_Y_EN: 0
; COMPUTE_PGM_RSRC2:TGID_Z_EN: 0
; COMPUTE_PGM_RSRC2:TIDIG_COMP_CNT: 0
; COMPUTE_PGM_RSRC3_GFX90A:ACCUM_OFFSET: 15
; COMPUTE_PGM_RSRC3_GFX90A:TG_SPLIT: 0
	.section	.text._ZN9rocsparseL23bsrgemm_fill_wf_per_rowILj256ELj64ELj8ELj137ELj4EllfEEv20rocsparse_direction_T5_S2_S2_PKS2_S4_NS_24const_host_device_scalarIT6_EEPKT4_S4_PKS6_SA_S4_SC_S7_SA_S4_SC_SA_PS2_PS6_21rocsparse_index_base_SF_SF_SF_bbb,"axG",@progbits,_ZN9rocsparseL23bsrgemm_fill_wf_per_rowILj256ELj64ELj8ELj137ELj4EllfEEv20rocsparse_direction_T5_S2_S2_PKS2_S4_NS_24const_host_device_scalarIT6_EEPKT4_S4_PKS6_SA_S4_SC_S7_SA_S4_SC_SA_PS2_PS6_21rocsparse_index_base_SF_SF_SF_bbb,comdat
	.globl	_ZN9rocsparseL23bsrgemm_fill_wf_per_rowILj256ELj64ELj8ELj137ELj4EllfEEv20rocsparse_direction_T5_S2_S2_PKS2_S4_NS_24const_host_device_scalarIT6_EEPKT4_S4_PKS6_SA_S4_SC_S7_SA_S4_SC_SA_PS2_PS6_21rocsparse_index_base_SF_SF_SF_bbb ; -- Begin function _ZN9rocsparseL23bsrgemm_fill_wf_per_rowILj256ELj64ELj8ELj137ELj4EllfEEv20rocsparse_direction_T5_S2_S2_PKS2_S4_NS_24const_host_device_scalarIT6_EEPKT4_S4_PKS6_SA_S4_SC_S7_SA_S4_SC_SA_PS2_PS6_21rocsparse_index_base_SF_SF_SF_bbb
	.p2align	8
	.type	_ZN9rocsparseL23bsrgemm_fill_wf_per_rowILj256ELj64ELj8ELj137ELj4EllfEEv20rocsparse_direction_T5_S2_S2_PKS2_S4_NS_24const_host_device_scalarIT6_EEPKT4_S4_PKS6_SA_S4_SC_S7_SA_S4_SC_SA_PS2_PS6_21rocsparse_index_base_SF_SF_SF_bbb,@function
_ZN9rocsparseL23bsrgemm_fill_wf_per_rowILj256ELj64ELj8ELj137ELj4EllfEEv20rocsparse_direction_T5_S2_S2_PKS2_S4_NS_24const_host_device_scalarIT6_EEPKT4_S4_PKS6_SA_S4_SC_S7_SA_S4_SC_SA_PS2_PS6_21rocsparse_index_base_SF_SF_SF_bbb: ; @_ZN9rocsparseL23bsrgemm_fill_wf_per_rowILj256ELj64ELj8ELj137ELj4EllfEEv20rocsparse_direction_T5_S2_S2_PKS2_S4_NS_24const_host_device_scalarIT6_EEPKT4_S4_PKS6_SA_S4_SC_S7_SA_S4_SC_SA_PS2_PS6_21rocsparse_index_base_SF_SF_SF_bbb
; %bb.0:
	s_load_dword s7, s[4:5], 0xb0
	s_load_dwordx2 s[0:1], s[4:5], 0x30
	s_load_dwordx2 s[8:9], s[4:5], 0x68
	s_waitcnt lgkmcnt(0)
	s_bitcmp1_b32 s7, 0
	s_cselect_b64 s[2:3], -1, 0
	s_bitcmp1_b32 s7, 16
	s_cselect_b64 s[10:11], -1, 0
	s_xor_b64 s[12:13], s[2:3], -1
	s_or_b64 s[12:13], s[12:13], s[10:11]
	s_and_b64 vcc, exec, s[12:13]
	s_cbranch_vccnz .LBB95_2
; %bb.1:
	s_load_dword s0, s[0:1], 0x0
	s_waitcnt lgkmcnt(0)
	v_mov_b32_e32 v37, s0
	s_branch .LBB95_3
.LBB95_2:
	v_mov_b32_e32 v1, s0
	v_cndmask_b32_e64 v37, 0, v1, s[2:3]
.LBB95_3:
	s_bitcmp1_b32 s7, 8
	s_cselect_b64 s[0:1], -1, 0
	s_xor_b64 s[12:13], s[0:1], -1
	s_or_b64 s[10:11], s[12:13], s[10:11]
	s_and_b64 vcc, exec, s[10:11]
	s_cbranch_vccnz .LBB95_5
; %bb.4:
	s_load_dword s7, s[8:9], 0x0
	s_waitcnt lgkmcnt(0)
	v_mov_b32_e32 v34, s7
	s_branch .LBB95_6
.LBB95_5:
	v_mov_b32_e32 v1, s8
	v_cndmask_b32_e64 v34, 0, v1, s[0:1]
.LBB95_6:
	s_load_dwordx4 s[16:19], s[4:5], 0x8
	s_load_dwordx2 s[24:25], s[4:5], 0x18
	v_and_b32_e32 v1, 63, v0
	v_and_b32_e32 v2, 0xc0, v0
	v_lshrrev_b32_e32 v33, 6, v0
	v_or_b32_e32 v32, 0x800, v2
	v_cmp_gt_u32_e32 vcc, 8, v1
	s_and_saveexec_b64 s[8:9], vcc
	s_cbranch_execz .LBB95_8
; %bb.7:
	v_lshl_add_u32 v4, v1, 3, v32
	s_waitcnt lgkmcnt(0)
	v_pk_mov_b32 v[2:3], s[18:19], s[18:19] op_sel:[0,1]
	ds_write_b64 v4, v[2:3]
.LBB95_8:
	s_or_b64 exec, exec, s[8:9]
	v_lshl_or_b32 v2, s6, 2, v33
	v_mov_b32_e32 v3, 0
	v_lshlrev_b32_e32 v36, 9, v33
	v_lshl_or_b32 v4, v1, 2, v36
	s_waitcnt lgkmcnt(0)
	v_cmp_gt_i64_e32 vcc, s[16:17], v[2:3]
	ds_write2st64_b32 v4, v3, v3 offset1:1
	s_waitcnt lgkmcnt(0)
	s_barrier
	s_and_saveexec_b64 s[6:7], vcc
	s_cbranch_execz .LBB95_62
; %bb.9:
	s_load_dwordx2 s[6:7], s[4:5], 0x28
	s_load_dwordx4 s[20:23], s[4:5], 0xa0
	s_waitcnt lgkmcnt(0)
	s_cmp_eq_u64 s[6:7], 0
	s_cbranch_scc1 .LBB95_11
; %bb.10:
	s_load_dwordx2 s[8:9], s[4:5], 0x20
	v_lshlrev_b64 v[2:3], 3, v[2:3]
	s_waitcnt lgkmcnt(0)
	s_load_dwordx2 s[8:9], s[8:9], 0x0
	s_waitcnt lgkmcnt(0)
	s_lshl_b64 s[8:9], s[8:9], 3
	s_add_u32 s6, s6, s8
	s_addc_u32 s7, s7, s9
	v_mov_b32_e32 v4, s7
	v_add_co_u32_e32 v2, vcc, s6, v2
	v_addc_co_u32_e32 v3, vcc, v4, v3, vcc
	global_load_dwordx2 v[2:3], v[2:3], off
.LBB95_11:
	s_load_dwordx2 s[26:27], s[4:5], 0x98
	s_load_dwordx2 s[28:29], s[4:5], 0x88
	s_load_dword s59, s[4:5], 0x0
	v_lshrrev_b32_e32 v35, 4, v1
	v_and_b32_e32 v4, 3, v0
	v_bfe_u32 v6, v0, 2, 2
	s_andn2_b64 vcc, exec, s[2:3]
	s_waitcnt vmcnt(0)
	v_lshlrev_b64 v[8:9], 3, v[2:3]
	s_mul_i32 s33, s24, s25
	s_mul_hi_u32 s58, s24, s24
	s_mul_i32 s16, s24, s24
	s_cbranch_vccnz .LBB95_39
; %bb.12:
	s_load_dwordx2 s[2:3], s[4:5], 0x38
	s_mov_b32 s40, 0
	s_waitcnt lgkmcnt(0)
	v_mov_b32_e32 v1, s3
	v_add_co_u32_e32 v0, vcc, s2, v8
	v_addc_co_u32_e32 v1, vcc, v1, v9, vcc
	global_load_dwordx4 v[0:3], v[0:1], off
	v_subrev_co_u32_e32 v5, vcc, s20, v35
	v_subb_co_u32_e64 v7, s[2:3], 0, 0, vcc
	s_waitcnt vmcnt(0)
	v_subrev_co_u32_e32 v10, vcc, s20, v2
	v_subbrev_co_u32_e32 v11, vcc, 0, v3, vcc
	v_add_co_u32_e32 v12, vcc, v0, v5
	v_addc_co_u32_e32 v13, vcc, v1, v7, vcc
	v_cmp_lt_i64_e32 vcc, v[12:13], v[10:11]
	s_and_saveexec_b64 s[6:7], vcc
	s_cbranch_execz .LBB95_38
; %bb.13:
	s_cmp_lg_u32 s59, 0
	s_mov_b32 s60, s20
	s_mov_b32 s61, s21
	v_mov_b32_e32 v5, 0
	s_cselect_b64 s[20:21], -1, 0
	s_add_i32 s17, s58, s33
	v_lshlrev_b32_e32 v14, 2, v4
	v_mov_b32_e32 v7, v5
	v_lshlrev_b32_e32 v0, 4, v6
	s_add_i32 s17, s17, s33
	s_load_dwordx2 s[30:31], s[4:5], 0x60
	s_load_dwordx8 s[8:15], s[4:5], 0x40
	v_cmp_gt_u64_e64 s[2:3], s[24:25], v[6:7]
	v_add3_u32 v7, v36, v14, v0
	v_mul_lo_u32 v2, s17, v12
	v_mul_lo_u32 v3, s16, v13
	v_mad_u64_u32 v[0:1], s[38:39], s16, v12, 0
	v_add3_u32 v1, v1, v3, v2
	v_cmp_gt_i64_e32 vcc, s[24:25], v[4:5]
	v_lshlrev_b64 v[0:1], 2, v[0:1]
	v_lshlrev_b32_e32 v2, 2, v6
	s_and_b64 s[2:3], vcc, s[2:3]
	v_add_co_u32_e32 v0, vcc, v0, v2
	v_addc_co_u32_e32 v1, vcc, 0, v1, vcc
	s_waitcnt lgkmcnt(0)
	v_mov_b32_e32 v3, s11
	v_add_co_u32_e32 v16, vcc, s10, v0
	v_mov_b32_e32 v15, v5
	v_addc_co_u32_e32 v17, vcc, v3, v1, vcc
	v_mul_lo_u32 v3, s25, v12
	v_mul_lo_u32 v5, s24, v13
	v_mad_u64_u32 v[0:1], s[42:43], s24, v12, 0
	v_add3_u32 v1, v1, v5, v3
	v_lshlrev_b64 v[0:1], 2, v[0:1]
	v_add_co_u32_e32 v2, vcc, v0, v2
	v_addc_co_u32_e32 v0, vcc, 0, v1, vcc
	v_mul_lo_u32 v3, s24, v0
	v_pk_mov_b32 v[0:1], s[10:11], s[10:11] op_sel:[0,1]
	v_mul_lo_u32 v5, s25, v2
	v_mad_u64_u32 v[18:19], s[10:11], s24, v2, v[0:1]
	v_mov_b32_e32 v0, s31
	v_add_co_u32_e32 v20, vcc, s30, v14
	s_mov_b32 s62, s40
	s_lshl_b64 s[34:35], s[24:25], 2
	s_lshl_b64 s[36:37], s[16:17], 2
	;; [unrolled: 1-line block ×3, first 2 shown]
	v_add3_u32 v19, v5, v19, v3
	v_addc_co_u32_e32 v21, vcc, 0, v0, vcc
	s_mov_b64 s[10:11], 0
	v_mov_b32_e32 v5, s9
	v_mov_b32_e32 v38, s40
	;; [unrolled: 1-line block ×3, first 2 shown]
	s_branch .LBB95_15
.LBB95_14:                              ;   in Loop: Header=BB95_15 Depth=1
	s_or_b64 exec, exec, s[40:41]
	v_add_co_u32_e32 v12, vcc, 4, v12
	v_addc_co_u32_e32 v13, vcc, 0, v13, vcc
	v_mov_b32_e32 v0, s39
	v_add_co_u32_e32 v16, vcc, s38, v16
	v_addc_co_u32_e32 v17, vcc, v17, v0, vcc
	v_cmp_ge_i64_e32 vcc, v[12:13], v[10:11]
	s_or_b64 s[10:11], vcc, s[10:11]
	v_add_co_u32_e32 v18, vcc, s38, v18
	v_addc_co_u32_e32 v19, vcc, v19, v0, vcc
	s_andn2_b64 exec, exec, s[10:11]
	s_cbranch_execz .LBB95_38
.LBB95_15:                              ; =>This Loop Header: Depth=1
                                        ;     Child Loop BB95_18 Depth 2
                                        ;       Child Loop BB95_25 Depth 3
                                        ;       Child Loop BB95_21 Depth 3
	;; [unrolled: 1-line block ×3, first 2 shown]
	v_lshlrev_b64 v[0:1], 3, v[12:13]
	v_add_co_u32_e32 v0, vcc, s8, v0
	v_addc_co_u32_e32 v1, vcc, v5, v1, vcc
	global_load_dwordx2 v[0:1], v[0:1], off
	s_waitcnt vmcnt(0)
	v_subrev_co_u32_e32 v0, vcc, s60, v0
	v_subb_co_u32_e32 v1, vcc, v1, v38, vcc
	v_lshlrev_b64 v[0:1], 3, v[0:1]
	v_add_co_u32_e32 v0, vcc, s12, v0
	v_addc_co_u32_e32 v1, vcc, v39, v1, vcc
	global_load_dwordx4 v[0:3], v[0:1], off
	s_waitcnt vmcnt(0)
	v_cmp_lt_i64_e32 vcc, v[0:1], v[2:3]
	s_and_saveexec_b64 s[40:41], vcc
	s_cbranch_execz .LBB95_14
; %bb.16:                               ;   in Loop: Header=BB95_15 Depth=1
	v_mov_b32_e32 v22, s62
	v_subrev_co_u32_e32 v2, vcc, s61, v2
	v_subb_co_u32_e32 v3, vcc, v3, v22, vcc
	v_subrev_co_u32_e32 v0, vcc, s61, v0
	v_subb_co_u32_e32 v1, vcc, v1, v22, vcc
	v_mul_lo_u32 v24, s34, v1
	v_mul_lo_u32 v25, s35, v0
	v_mad_u64_u32 v[22:23], s[42:43], s34, v0, v[14:15]
	v_add3_u32 v23, v25, v23, v24
	v_pk_mov_b32 v[24:25], s[30:31], s[30:31] op_sel:[0,1]
	v_mul_lo_u32 v26, s24, v23
	v_mul_lo_u32 v27, s25, v22
	v_mad_u64_u32 v[22:23], s[42:43], s24, v22, v[24:25]
	v_add3_u32 v23, v27, v23, v26
	v_mul_lo_u32 v26, s36, v1
	v_mul_lo_u32 v27, s37, v0
	v_mad_u64_u32 v[24:25], s[42:43], s36, v0, v[20:21]
	v_add3_u32 v25, v27, v25, v26
	s_mov_b64 s[42:43], 0
	s_branch .LBB95_18
.LBB95_17:                              ;   in Loop: Header=BB95_18 Depth=2
	s_or_b64 exec, exec, s[44:45]
	v_add_co_u32_e32 v0, vcc, 1, v0
	v_addc_co_u32_e32 v1, vcc, 0, v1, vcc
	v_mov_b32_e32 v26, s37
	v_add_co_u32_e32 v22, vcc, s36, v22
	v_addc_co_u32_e32 v23, vcc, v23, v26, vcc
	v_cmp_ge_i64_e32 vcc, v[0:1], v[2:3]
	s_or_b64 s[42:43], vcc, s[42:43]
	v_add_co_u32_e32 v24, vcc, s36, v24
	v_addc_co_u32_e32 v25, vcc, v25, v26, vcc
	s_andn2_b64 exec, exec, s[42:43]
	s_cbranch_execz .LBB95_14
.LBB95_18:                              ;   Parent Loop BB95_15 Depth=1
                                        ; =>  This Loop Header: Depth=2
                                        ;       Child Loop BB95_25 Depth 3
                                        ;       Child Loop BB95_21 Depth 3
	;; [unrolled: 1-line block ×3, first 2 shown]
	s_and_saveexec_b64 s[44:45], s[2:3]
	s_cbranch_execz .LBB95_17
; %bb.19:                               ;   in Loop: Header=BB95_18 Depth=2
	v_lshlrev_b64 v[26:27], 3, v[0:1]
	v_mov_b32_e32 v28, s15
	v_add_co_u32_e32 v26, vcc, s14, v26
	v_addc_co_u32_e32 v27, vcc, v28, v27, vcc
	global_load_dwordx2 v[26:27], v[26:27], off
	s_andn2_b64 vcc, exec, s[20:21]
	s_cbranch_vccnz .LBB95_23
; %bb.20:                               ;   in Loop: Header=BB95_18 Depth=2
	v_mov_b32_e32 v40, 0
	v_pk_mov_b32 v[28:29], v[16:17], v[16:17] op_sel:[0,1]
	s_mov_b64 s[46:47], s[24:25]
	v_pk_mov_b32 v[30:31], v[22:23], v[22:23] op_sel:[0,1]
.LBB95_21:                              ;   Parent Loop BB95_15 Depth=1
                                        ;     Parent Loop BB95_18 Depth=2
                                        ; =>    This Inner Loop Header: Depth=3
	global_load_dword v41, v[28:29], off
	global_load_dword v42, v[30:31], off
	v_add_co_u32_e32 v30, vcc, 4, v30
	v_addc_co_u32_e32 v31, vcc, 0, v31, vcc
	s_add_u32 s46, s46, -1
	v_mov_b32_e32 v43, s35
	v_add_co_u32_e32 v28, vcc, s34, v28
	s_addc_u32 s47, s47, -1
	v_addc_co_u32_e32 v29, vcc, v29, v43, vcc
	s_cmp_lg_u64 s[46:47], 0
	s_waitcnt vmcnt(0)
	v_fmac_f32_e32 v40, v41, v42
	s_cbranch_scc1 .LBB95_21
; %bb.22:                               ;   in Loop: Header=BB95_18 Depth=2
	s_branch .LBB95_26
.LBB95_23:                              ;   in Loop: Header=BB95_18 Depth=2
                                        ; implicit-def: $vgpr40
	s_cbranch_execz .LBB95_26
; %bb.24:                               ;   in Loop: Header=BB95_18 Depth=2
	v_mov_b32_e32 v40, 0
	v_pk_mov_b32 v[28:29], v[24:25], v[24:25] op_sel:[0,1]
	s_mov_b64 s[46:47], s[24:25]
	v_pk_mov_b32 v[30:31], v[18:19], v[18:19] op_sel:[0,1]
.LBB95_25:                              ;   Parent Loop BB95_15 Depth=1
                                        ;     Parent Loop BB95_18 Depth=2
                                        ; =>    This Inner Loop Header: Depth=3
	global_load_dword v41, v[30:31], off
	global_load_dword v42, v[28:29], off
	v_add_co_u32_e32 v30, vcc, 4, v30
	v_addc_co_u32_e32 v31, vcc, 0, v31, vcc
	s_add_u32 s46, s46, -1
	v_mov_b32_e32 v43, s35
	v_add_co_u32_e32 v28, vcc, s34, v28
	s_addc_u32 s47, s47, -1
	v_addc_co_u32_e32 v29, vcc, v29, v43, vcc
	s_cmp_eq_u64 s[46:47], 0
	s_waitcnt vmcnt(0)
	v_fmac_f32_e32 v40, v41, v42
	s_cbranch_scc0 .LBB95_25
.LBB95_26:                              ;   in Loop: Header=BB95_18 Depth=2
	v_mov_b32_e32 v28, s62
	s_waitcnt vmcnt(0)
	v_subrev_co_u32_e32 v26, vcc, s61, v26
	v_subb_co_u32_e32 v27, vcc, v27, v28, vcc
	v_mul_f32_e32 v29, v37, v40
	v_and_b32_e32 v28, 7, v26
	s_mov_b64 s[46:47], 0
	s_branch .LBB95_28
.LBB95_27:                              ;   in Loop: Header=BB95_28 Depth=3
	s_or_b64 exec, exec, s[48:49]
	s_xor_b64 s[48:49], s[50:51], -1
	s_and_b64 s[48:49], exec, s[48:49]
	s_or_b64 s[46:47], s[48:49], s[46:47]
	s_andn2_b64 exec, exec, s[46:47]
	s_cbranch_execz .LBB95_17
.LBB95_28:                              ;   Parent Loop BB95_15 Depth=1
                                        ;     Parent Loop BB95_18 Depth=2
                                        ; =>    This Inner Loop Header: Depth=3
	v_lshl_add_u32 v40, v28, 3, v32
	ds_read_b64 v[30:31], v40
                                        ; implicit-def: $sgpr50_sgpr51
	s_waitcnt lgkmcnt(0)
	v_cmp_ne_u64_e32 vcc, v[30:31], v[26:27]
	s_and_saveexec_b64 s[48:49], vcc
	s_xor_b64 s[48:49], exec, s[48:49]
	s_cbranch_execz .LBB95_36
; %bb.29:                               ;   in Loop: Header=BB95_28 Depth=3
	v_cmp_ne_u64_e32 vcc, s[18:19], v[30:31]
                                        ; implicit-def: $sgpr50_sgpr51
	s_and_saveexec_b64 s[52:53], vcc
	s_xor_b64 s[52:53], exec, s[52:53]
; %bb.30:                               ;   in Loop: Header=BB95_28 Depth=3
	v_add_u32_e32 v28, 1, v28
	v_and_b32_e32 v28, 7, v28
	s_mov_b64 s[50:51], -1
                                        ; implicit-def: $vgpr40
; %bb.31:                               ;   in Loop: Header=BB95_28 Depth=3
	s_andn2_saveexec_b64 s[52:53], s[52:53]
	s_cbranch_execz .LBB95_35
; %bb.32:                               ;   in Loop: Header=BB95_28 Depth=3
	v_pk_mov_b32 v[30:31], s[18:19], s[18:19] op_sel:[0,1]
	ds_cmpst_rtn_b64 v[30:31], v40, v[30:31], v[26:27]
	s_mov_b64 s[54:55], -1
	s_waitcnt lgkmcnt(0)
	v_cmp_eq_u64_e32 vcc, s[18:19], v[30:31]
	s_and_saveexec_b64 s[56:57], vcc
	s_cbranch_execz .LBB95_34
; %bb.33:                               ;   in Loop: Header=BB95_28 Depth=3
	v_lshl_add_u32 v30, v28, 6, v7
	ds_add_f32 v30, v29
	s_xor_b64 s[54:55], exec, -1
.LBB95_34:                              ;   in Loop: Header=BB95_28 Depth=3
	s_or_b64 exec, exec, s[56:57]
	s_andn2_b64 s[50:51], s[50:51], exec
	s_and_b64 s[54:55], s[54:55], exec
	s_or_b64 s[50:51], s[50:51], s[54:55]
.LBB95_35:                              ;   in Loop: Header=BB95_28 Depth=3
	s_or_b64 exec, exec, s[52:53]
	s_and_b64 s[50:51], s[50:51], exec
.LBB95_36:                              ;   in Loop: Header=BB95_28 Depth=3
	s_andn2_saveexec_b64 s[48:49], s[48:49]
	s_cbranch_execz .LBB95_27
; %bb.37:                               ;   in Loop: Header=BB95_28 Depth=3
	v_lshl_add_u32 v30, v28, 6, v7
	ds_add_f32 v30, v29
	s_andn2_b64 s[50:51], s[50:51], exec
	s_branch .LBB95_27
.LBB95_38:
	s_or_b64 exec, exec, s[6:7]
.LBB95_39:
	s_load_dwordx2 s[8:9], s[4:5], 0x90
	s_andn2_b64 vcc, exec, s[0:1]
	s_waitcnt lgkmcnt(0)
	s_barrier
	s_cbranch_vccnz .LBB95_57
; %bb.40:
	s_load_dwordx2 s[0:1], s[4:5], 0x70
	s_mov_b32 s17, 0
	s_waitcnt lgkmcnt(0)
	v_mov_b32_e32 v1, s1
	v_add_co_u32_e32 v0, vcc, s0, v8
	v_addc_co_u32_e32 v1, vcc, v1, v9, vcc
	global_load_dwordx4 v[10:13], v[0:1], off
	v_subrev_co_u32_e32 v2, vcc, s23, v35
	v_subb_co_u32_e64 v3, s[0:1], 0, 0, vcc
	s_waitcnt vmcnt(0)
	v_subrev_co_u32_e32 v0, vcc, s23, v12
	v_subbrev_co_u32_e32 v1, vcc, 0, v13, vcc
	v_add_co_u32_e32 v2, vcc, v10, v2
	v_addc_co_u32_e32 v3, vcc, v11, v3, vcc
	v_cmp_lt_i64_e32 vcc, v[2:3], v[0:1]
	s_and_saveexec_b64 s[10:11], vcc
	s_cbranch_execz .LBB95_56
; %bb.41:
	s_load_dwordx4 s[4:7], s[4:5], 0x78
	v_mad_u64_u32 v[10:11], s[2:3], v4, s24, 0
	v_mov_b32_e32 v12, v11
	v_mad_u64_u32 v[12:13], s[2:3], v4, s25, v[12:13]
	v_mov_b32_e32 v11, v12
	v_mov_b32_e32 v5, 0
	v_lshlrev_b64 v[10:11], 2, v[10:11]
	v_cmp_gt_i64_e32 vcc, s[24:25], v[4:5]
	v_mov_b32_e32 v7, v5
	s_waitcnt lgkmcnt(0)
	v_mov_b32_e32 v5, s7
	v_add_co_u32_e64 v12, s[2:3], s6, v10
	v_addc_co_u32_e64 v13, s[2:3], v5, v11, s[2:3]
	v_lshlrev_b64 v[10:11], 2, v[6:7]
	v_add_co_u32_e64 v15, s[2:3], v12, v10
	v_addc_co_u32_e64 v16, s[2:3], v13, v11, s[2:3]
	v_mad_u64_u32 v[10:11], s[2:3], v6, s24, 0
	v_mov_b32_e32 v12, v11
	v_mad_u64_u32 v[12:13], s[2:3], v6, s25, v[12:13]
	v_mov_b32_e32 v11, v12
	v_lshlrev_b64 v[10:11], 2, v[10:11]
	v_cmp_gt_u64_e64 s[0:1], s[24:25], v[6:7]
	v_add_co_u32_e64 v7, s[2:3], s6, v10
	v_lshlrev_b32_e32 v14, 2, v4
	v_addc_co_u32_e64 v5, s[2:3], v5, v11, s[2:3]
	v_add_co_u32_e64 v10, s[2:3], v7, v14
	s_cmp_eq_u32 s59, 0
	v_addc_co_u32_e64 v5, s[2:3], 0, v5, s[2:3]
	s_cselect_b64 s[2:3], -1, 0
	s_add_i32 s6, s58, s33
	v_lshlrev_b32_e32 v7, 4, v6
	s_mov_b32 s38, s23
	s_add_i32 s23, s6, s33
	v_add3_u32 v7, v36, v14, v7
	s_and_b64 s[0:1], vcc, s[0:1]
	v_cndmask_b32_e64 v5, v16, v5, s[2:3]
	v_cndmask_b32_e64 v10, v15, v10, s[2:3]
	s_mov_b64 s[2:3], 0
	s_branch .LBB95_43
.LBB95_42:                              ;   in Loop: Header=BB95_43 Depth=1
	s_or_b64 exec, exec, s[6:7]
	v_add_co_u32_e32 v2, vcc, 4, v2
	v_addc_co_u32_e32 v3, vcc, 0, v3, vcc
	v_cmp_ge_i64_e32 vcc, v[2:3], v[0:1]
	s_or_b64 s[2:3], vcc, s[2:3]
	s_andn2_b64 exec, exec, s[2:3]
	s_cbranch_execz .LBB95_56
.LBB95_43:                              ; =>This Loop Header: Depth=1
                                        ;     Child Loop BB95_46 Depth 2
	s_and_saveexec_b64 s[6:7], s[0:1]
	s_cbranch_execz .LBB95_42
; %bb.44:                               ;   in Loop: Header=BB95_43 Depth=1
	v_lshlrev_b64 v[12:13], 3, v[2:3]
	v_mov_b32_e32 v11, s5
	v_add_co_u32_e32 v12, vcc, s4, v12
	v_addc_co_u32_e32 v13, vcc, v11, v13, vcc
	v_mul_lo_u32 v11, s23, v2
	v_mul_lo_u32 v16, s16, v3
	v_mad_u64_u32 v[14:15], s[12:13], s16, v2, 0
	v_add3_u32 v15, v15, v16, v11
	v_lshlrev_b64 v[14:15], 2, v[14:15]
	v_add_co_u32_e32 v14, vcc, v10, v14
	global_load_dwordx2 v[12:13], v[12:13], off
	v_addc_co_u32_e32 v15, vcc, v5, v15, vcc
	global_load_dword v11, v[14:15], off
	v_mov_b32_e32 v14, s17
	s_mov_b64 s[12:13], 0
	s_waitcnt vmcnt(1)
	v_subrev_co_u32_e32 v12, vcc, s38, v12
	v_subb_co_u32_e32 v13, vcc, v13, v14, vcc
	v_and_b32_e32 v14, 7, v12
	s_waitcnt vmcnt(0)
	v_mul_f32_e32 v11, v34, v11
	s_branch .LBB95_46
.LBB95_45:                              ;   in Loop: Header=BB95_46 Depth=2
	s_or_b64 exec, exec, s[14:15]
	s_xor_b64 s[14:15], s[20:21], -1
	s_and_b64 s[14:15], exec, s[14:15]
	s_or_b64 s[12:13], s[14:15], s[12:13]
	s_andn2_b64 exec, exec, s[12:13]
	s_cbranch_execz .LBB95_42
.LBB95_46:                              ;   Parent Loop BB95_43 Depth=1
                                        ; =>  This Inner Loop Header: Depth=2
	v_lshl_add_u32 v15, v14, 3, v32
	ds_read_b64 v[16:17], v15
                                        ; implicit-def: $sgpr20_sgpr21
	s_waitcnt lgkmcnt(0)
	v_cmp_ne_u64_e32 vcc, v[16:17], v[12:13]
	s_and_saveexec_b64 s[14:15], vcc
	s_xor_b64 s[14:15], exec, s[14:15]
	s_cbranch_execz .LBB95_54
; %bb.47:                               ;   in Loop: Header=BB95_46 Depth=2
	v_cmp_ne_u64_e32 vcc, s[18:19], v[16:17]
                                        ; implicit-def: $sgpr20_sgpr21
	s_and_saveexec_b64 s[30:31], vcc
	s_xor_b64 s[30:31], exec, s[30:31]
; %bb.48:                               ;   in Loop: Header=BB95_46 Depth=2
	v_add_u32_e32 v14, 1, v14
	v_and_b32_e32 v14, 7, v14
	s_mov_b64 s[20:21], -1
                                        ; implicit-def: $vgpr15
; %bb.49:                               ;   in Loop: Header=BB95_46 Depth=2
	s_andn2_saveexec_b64 s[30:31], s[30:31]
	s_cbranch_execz .LBB95_53
; %bb.50:                               ;   in Loop: Header=BB95_46 Depth=2
	v_pk_mov_b32 v[16:17], s[18:19], s[18:19] op_sel:[0,1]
	ds_cmpst_rtn_b64 v[16:17], v15, v[16:17], v[12:13]
	s_mov_b64 s[34:35], -1
	s_waitcnt lgkmcnt(0)
	v_cmp_eq_u64_e32 vcc, s[18:19], v[16:17]
	s_and_saveexec_b64 s[36:37], vcc
	s_cbranch_execz .LBB95_52
; %bb.51:                               ;   in Loop: Header=BB95_46 Depth=2
	v_lshl_add_u32 v15, v14, 6, v7
	ds_add_f32 v15, v11
	s_xor_b64 s[34:35], exec, -1
.LBB95_52:                              ;   in Loop: Header=BB95_46 Depth=2
	s_or_b64 exec, exec, s[36:37]
	s_andn2_b64 s[20:21], s[20:21], exec
	s_and_b64 s[34:35], s[34:35], exec
	s_or_b64 s[20:21], s[20:21], s[34:35]
.LBB95_53:                              ;   in Loop: Header=BB95_46 Depth=2
	s_or_b64 exec, exec, s[30:31]
	s_and_b64 s[20:21], s[20:21], exec
.LBB95_54:                              ;   in Loop: Header=BB95_46 Depth=2
	s_andn2_saveexec_b64 s[14:15], s[14:15]
	s_cbranch_execz .LBB95_45
; %bb.55:                               ;   in Loop: Header=BB95_46 Depth=2
	v_lshl_add_u32 v15, v14, 6, v7
	ds_add_f32 v15, v11
	s_andn2_b64 s[20:21], s[20:21], exec
	s_branch .LBB95_45
.LBB95_56:
	s_or_b64 exec, exec, s[10:11]
.LBB95_57:
	v_mov_b32_e32 v1, s29
	v_add_co_u32_e32 v0, vcc, s28, v8
	v_addc_co_u32_e32 v1, vcc, v1, v9, vcc
	s_waitcnt lgkmcnt(0)
	s_barrier
	global_load_dwordx2 v[0:1], v[0:1], off
	s_cmp_eq_u32 s59, 0
	v_mad_u64_u32 v[2:3], s[0:1], v6, s24, 0
	v_mov_b32_e32 v5, 0
	v_lshlrev_b32_e32 v11, 6, v33
	v_lshlrev_b32_e32 v13, 3, v35
	s_movk_i32 s2, 0x800
	s_cselect_b64 s[0:1], -1, 0
	s_add_i32 s4, s58, s33
	v_mov_b32_e32 v10, v3
	v_cmp_gt_i64_e32 vcc, s[24:25], v[4:5]
	v_mov_b32_e32 v7, v5
	v_or3_b32 v5, v11, v13, s2
	s_add_i32 s7, s4, s33
	v_mad_u64_u32 v[10:11], s[4:5], v6, s25, v[10:11]
	v_mov_b32_e32 v3, v10
	v_lshlrev_b32_e32 v12, 2, v4
	v_cndmask_b32_e64 v14, v4, v6, s[0:1]
	v_cmp_gt_u64_e64 s[2:3], s[24:25], v[6:7]
	v_cndmask_b32_e64 v4, v6, v4, s[0:1]
	v_lshlrev_b64 v[2:3], 2, v[2:3]
	v_mov_b32_e32 v9, s27
	s_and_b64 s[0:1], vcc, s[2:3]
	v_lshlrev_b32_e32 v4, 2, v4
	v_add_co_u32_e32 v2, vcc, s26, v2
	v_lshl_or_b32 v4, v35, 6, v4
	v_addc_co_u32_e32 v3, vcc, v9, v3, vcc
	v_lshl_or_b32 v7, v14, 4, v4
	v_add_co_u32_e32 v4, vcc, v2, v12
	v_addc_co_u32_e32 v6, vcc, 0, v3, vcc
	s_mov_b32 s6, 0
	v_or_b32_e32 v8, -4, v35
	v_lshl_or_b32 v7, v33, 9, v7
	s_mov_b64 s[2:3], 0
	s_waitcnt vmcnt(0)
	v_subrev_co_u32_e32 v9, vcc, s22, v0
	v_subbrev_co_u32_e32 v10, vcc, 0, v1, vcc
	s_branch .LBB95_59
.LBB95_58:                              ;   in Loop: Header=BB95_59 Depth=1
	s_or_b64 exec, exec, s[4:5]
	v_add_co_u32_e32 v8, vcc, 4, v8
	s_xor_b64 s[4:5], vcc, -1
	s_and_b64 s[4:5], exec, s[4:5]
	v_add_u32_e32 v7, 0x100, v7
	s_or_b64 s[2:3], s[4:5], s[2:3]
	v_add_u32_e32 v5, 32, v5
	s_andn2_b64 exec, exec, s[2:3]
	s_cbranch_execz .LBB95_62
.LBB95_59:                              ; =>This Inner Loop Header: Depth=1
	ds_read_b64 v[0:1], v5
	s_waitcnt lgkmcnt(0)
	v_cmp_gt_i64_e32 vcc, s[18:19], v[0:1]
	s_and_saveexec_b64 s[4:5], vcc
	s_cbranch_execz .LBB95_58
; %bb.60:                               ;   in Loop: Header=BB95_59 Depth=1
	ds_read_b128 v[12:15], v32
	ds_read_b128 v[16:19], v32 offset:16
	ds_read_b128 v[20:23], v32 offset:32
	;; [unrolled: 1-line block ×3, first 2 shown]
	s_waitcnt lgkmcnt(3)
	v_cmp_gt_i64_e32 vcc, v[0:1], v[12:13]
	v_cndmask_b32_e64 v2, 0, 1, vcc
	v_add_co_u32_e32 v2, vcc, v9, v2
	v_addc_co_u32_e32 v3, vcc, 0, v10, vcc
	v_cmp_gt_i64_e32 vcc, v[0:1], v[14:15]
	v_cndmask_b32_e64 v11, 0, 1, vcc
	v_add_co_u32_e32 v2, vcc, v2, v11
	v_addc_co_u32_e32 v3, vcc, 0, v3, vcc
	s_waitcnt lgkmcnt(2)
	v_cmp_gt_i64_e32 vcc, v[0:1], v[16:17]
	v_cndmask_b32_e64 v11, 0, 1, vcc
	v_add_co_u32_e32 v2, vcc, v2, v11
	v_addc_co_u32_e32 v3, vcc, 0, v3, vcc
	v_cmp_gt_i64_e32 vcc, v[0:1], v[18:19]
	v_cndmask_b32_e64 v11, 0, 1, vcc
	v_add_co_u32_e32 v2, vcc, v2, v11
	v_addc_co_u32_e32 v3, vcc, 0, v3, vcc
	s_waitcnt lgkmcnt(1)
	v_cmp_gt_i64_e32 vcc, v[0:1], v[20:21]
	v_cndmask_b32_e64 v11, 0, 1, vcc
	v_add_co_u32_e32 v2, vcc, v2, v11
	v_addc_co_u32_e32 v3, vcc, 0, v3, vcc
	v_cmp_gt_i64_e32 vcc, v[0:1], v[22:23]
	v_cndmask_b32_e64 v11, 0, 1, vcc
	v_add_co_u32_e32 v2, vcc, v2, v11
	v_addc_co_u32_e32 v3, vcc, 0, v3, vcc
	s_waitcnt lgkmcnt(0)
	v_cmp_gt_i64_e32 vcc, v[0:1], v[24:25]
	v_cndmask_b32_e64 v11, 0, 1, vcc
	v_add_co_u32_e32 v2, vcc, v2, v11
	v_addc_co_u32_e32 v3, vcc, 0, v3, vcc
	v_cmp_gt_i64_e32 vcc, v[0:1], v[26:27]
	v_cndmask_b32_e64 v11, 0, 1, vcc
	v_add_co_u32_e32 v2, vcc, v2, v11
	v_addc_co_u32_e32 v3, vcc, 0, v3, vcc
	v_mov_b32_e32 v11, s6
	v_add_co_u32_e32 v0, vcc, s22, v0
	v_addc_co_u32_e32 v1, vcc, v1, v11, vcc
	v_lshlrev_b64 v[12:13], 3, v[2:3]
	v_mov_b32_e32 v11, s9
	v_add_co_u32_e32 v12, vcc, s8, v12
	v_addc_co_u32_e32 v13, vcc, v11, v13, vcc
	global_store_dwordx2 v[12:13], v[0:1], off
	s_and_b64 exec, exec, s[0:1]
	s_cbranch_execz .LBB95_58
; %bb.61:                               ;   in Loop: Header=BB95_59 Depth=1
	v_mul_lo_u32 v11, s7, v2
	v_mul_lo_u32 v3, s16, v3
	v_mad_u64_u32 v[0:1], s[10:11], s16, v2, 0
	ds_read_b32 v2, v7
	v_add3_u32 v1, v1, v3, v11
	v_lshlrev_b64 v[0:1], 2, v[0:1]
	v_add_co_u32_e32 v0, vcc, v4, v0
	v_addc_co_u32_e32 v1, vcc, v6, v1, vcc
	s_waitcnt lgkmcnt(0)
	global_store_dword v[0:1], v2, off
	s_branch .LBB95_58
.LBB95_62:
	s_endpgm
	.section	.rodata,"a",@progbits
	.p2align	6, 0x0
	.amdhsa_kernel _ZN9rocsparseL23bsrgemm_fill_wf_per_rowILj256ELj64ELj8ELj137ELj4EllfEEv20rocsparse_direction_T5_S2_S2_PKS2_S4_NS_24const_host_device_scalarIT6_EEPKT4_S4_PKS6_SA_S4_SC_S7_SA_S4_SC_SA_PS2_PS6_21rocsparse_index_base_SF_SF_SF_bbb
		.amdhsa_group_segment_fixed_size 2304
		.amdhsa_private_segment_fixed_size 0
		.amdhsa_kernarg_size 180
		.amdhsa_user_sgpr_count 6
		.amdhsa_user_sgpr_private_segment_buffer 1
		.amdhsa_user_sgpr_dispatch_ptr 0
		.amdhsa_user_sgpr_queue_ptr 0
		.amdhsa_user_sgpr_kernarg_segment_ptr 1
		.amdhsa_user_sgpr_dispatch_id 0
		.amdhsa_user_sgpr_flat_scratch_init 0
		.amdhsa_user_sgpr_kernarg_preload_length 0
		.amdhsa_user_sgpr_kernarg_preload_offset 0
		.amdhsa_user_sgpr_private_segment_size 0
		.amdhsa_uses_dynamic_stack 0
		.amdhsa_system_sgpr_private_segment_wavefront_offset 0
		.amdhsa_system_sgpr_workgroup_id_x 1
		.amdhsa_system_sgpr_workgroup_id_y 0
		.amdhsa_system_sgpr_workgroup_id_z 0
		.amdhsa_system_sgpr_workgroup_info 0
		.amdhsa_system_vgpr_workitem_id 0
		.amdhsa_next_free_vgpr 44
		.amdhsa_next_free_sgpr 63
		.amdhsa_accum_offset 44
		.amdhsa_reserve_vcc 1
		.amdhsa_reserve_flat_scratch 0
		.amdhsa_float_round_mode_32 0
		.amdhsa_float_round_mode_16_64 0
		.amdhsa_float_denorm_mode_32 3
		.amdhsa_float_denorm_mode_16_64 3
		.amdhsa_dx10_clamp 1
		.amdhsa_ieee_mode 1
		.amdhsa_fp16_overflow 0
		.amdhsa_tg_split 0
		.amdhsa_exception_fp_ieee_invalid_op 0
		.amdhsa_exception_fp_denorm_src 0
		.amdhsa_exception_fp_ieee_div_zero 0
		.amdhsa_exception_fp_ieee_overflow 0
		.amdhsa_exception_fp_ieee_underflow 0
		.amdhsa_exception_fp_ieee_inexact 0
		.amdhsa_exception_int_div_zero 0
	.end_amdhsa_kernel
	.section	.text._ZN9rocsparseL23bsrgemm_fill_wf_per_rowILj256ELj64ELj8ELj137ELj4EllfEEv20rocsparse_direction_T5_S2_S2_PKS2_S4_NS_24const_host_device_scalarIT6_EEPKT4_S4_PKS6_SA_S4_SC_S7_SA_S4_SC_SA_PS2_PS6_21rocsparse_index_base_SF_SF_SF_bbb,"axG",@progbits,_ZN9rocsparseL23bsrgemm_fill_wf_per_rowILj256ELj64ELj8ELj137ELj4EllfEEv20rocsparse_direction_T5_S2_S2_PKS2_S4_NS_24const_host_device_scalarIT6_EEPKT4_S4_PKS6_SA_S4_SC_S7_SA_S4_SC_SA_PS2_PS6_21rocsparse_index_base_SF_SF_SF_bbb,comdat
.Lfunc_end95:
	.size	_ZN9rocsparseL23bsrgemm_fill_wf_per_rowILj256ELj64ELj8ELj137ELj4EllfEEv20rocsparse_direction_T5_S2_S2_PKS2_S4_NS_24const_host_device_scalarIT6_EEPKT4_S4_PKS6_SA_S4_SC_S7_SA_S4_SC_SA_PS2_PS6_21rocsparse_index_base_SF_SF_SF_bbb, .Lfunc_end95-_ZN9rocsparseL23bsrgemm_fill_wf_per_rowILj256ELj64ELj8ELj137ELj4EllfEEv20rocsparse_direction_T5_S2_S2_PKS2_S4_NS_24const_host_device_scalarIT6_EEPKT4_S4_PKS6_SA_S4_SC_S7_SA_S4_SC_SA_PS2_PS6_21rocsparse_index_base_SF_SF_SF_bbb
                                        ; -- End function
	.section	.AMDGPU.csdata,"",@progbits
; Kernel info:
; codeLenInByte = 2900
; NumSgprs: 67
; NumVgprs: 44
; NumAgprs: 0
; TotalNumVgprs: 44
; ScratchSize: 0
; MemoryBound: 0
; FloatMode: 240
; IeeeMode: 1
; LDSByteSize: 2304 bytes/workgroup (compile time only)
; SGPRBlocks: 8
; VGPRBlocks: 5
; NumSGPRsForWavesPerEU: 67
; NumVGPRsForWavesPerEU: 44
; AccumOffset: 44
; Occupancy: 8
; WaveLimiterHint : 1
; COMPUTE_PGM_RSRC2:SCRATCH_EN: 0
; COMPUTE_PGM_RSRC2:USER_SGPR: 6
; COMPUTE_PGM_RSRC2:TRAP_HANDLER: 0
; COMPUTE_PGM_RSRC2:TGID_X_EN: 1
; COMPUTE_PGM_RSRC2:TGID_Y_EN: 0
; COMPUTE_PGM_RSRC2:TGID_Z_EN: 0
; COMPUTE_PGM_RSRC2:TIDIG_COMP_CNT: 0
; COMPUTE_PGM_RSRC3_GFX90A:ACCUM_OFFSET: 10
; COMPUTE_PGM_RSRC3_GFX90A:TG_SPLIT: 0
	.section	.text._ZN9rocsparseL23bsrgemm_fill_wf_per_rowILj256ELj64ELj16ELj137ELj4EllfEEv20rocsparse_direction_T5_S2_S2_PKS2_S4_NS_24const_host_device_scalarIT6_EEPKT4_S4_PKS6_SA_S4_SC_S7_SA_S4_SC_SA_PS2_PS6_21rocsparse_index_base_SF_SF_SF_bbb,"axG",@progbits,_ZN9rocsparseL23bsrgemm_fill_wf_per_rowILj256ELj64ELj16ELj137ELj4EllfEEv20rocsparse_direction_T5_S2_S2_PKS2_S4_NS_24const_host_device_scalarIT6_EEPKT4_S4_PKS6_SA_S4_SC_S7_SA_S4_SC_SA_PS2_PS6_21rocsparse_index_base_SF_SF_SF_bbb,comdat
	.globl	_ZN9rocsparseL23bsrgemm_fill_wf_per_rowILj256ELj64ELj16ELj137ELj4EllfEEv20rocsparse_direction_T5_S2_S2_PKS2_S4_NS_24const_host_device_scalarIT6_EEPKT4_S4_PKS6_SA_S4_SC_S7_SA_S4_SC_SA_PS2_PS6_21rocsparse_index_base_SF_SF_SF_bbb ; -- Begin function _ZN9rocsparseL23bsrgemm_fill_wf_per_rowILj256ELj64ELj16ELj137ELj4EllfEEv20rocsparse_direction_T5_S2_S2_PKS2_S4_NS_24const_host_device_scalarIT6_EEPKT4_S4_PKS6_SA_S4_SC_S7_SA_S4_SC_SA_PS2_PS6_21rocsparse_index_base_SF_SF_SF_bbb
	.p2align	8
	.type	_ZN9rocsparseL23bsrgemm_fill_wf_per_rowILj256ELj64ELj16ELj137ELj4EllfEEv20rocsparse_direction_T5_S2_S2_PKS2_S4_NS_24const_host_device_scalarIT6_EEPKT4_S4_PKS6_SA_S4_SC_S7_SA_S4_SC_SA_PS2_PS6_21rocsparse_index_base_SF_SF_SF_bbb,@function
_ZN9rocsparseL23bsrgemm_fill_wf_per_rowILj256ELj64ELj16ELj137ELj4EllfEEv20rocsparse_direction_T5_S2_S2_PKS2_S4_NS_24const_host_device_scalarIT6_EEPKT4_S4_PKS6_SA_S4_SC_S7_SA_S4_SC_SA_PS2_PS6_21rocsparse_index_base_SF_SF_SF_bbb: ; @_ZN9rocsparseL23bsrgemm_fill_wf_per_rowILj256ELj64ELj16ELj137ELj4EllfEEv20rocsparse_direction_T5_S2_S2_PKS2_S4_NS_24const_host_device_scalarIT6_EEPKT4_S4_PKS6_SA_S4_SC_S7_SA_S4_SC_SA_PS2_PS6_21rocsparse_index_base_SF_SF_SF_bbb
; %bb.0:
	s_load_dword s7, s[4:5], 0xb0
	s_load_dwordx2 s[0:1], s[4:5], 0x30
	s_load_dwordx2 s[8:9], s[4:5], 0x68
	s_waitcnt lgkmcnt(0)
	s_bitcmp1_b32 s7, 0
	s_cselect_b64 s[2:3], -1, 0
	s_bitcmp1_b32 s7, 16
	s_cselect_b64 s[10:11], -1, 0
	s_xor_b64 s[12:13], s[2:3], -1
	s_or_b64 s[12:13], s[12:13], s[10:11]
	s_and_b64 vcc, exec, s[12:13]
	s_cbranch_vccnz .LBB96_2
; %bb.1:
	s_load_dword s0, s[0:1], 0x0
	s_waitcnt lgkmcnt(0)
	v_mov_b32_e32 v37, s0
	s_branch .LBB96_3
.LBB96_2:
	v_mov_b32_e32 v1, s0
	v_cndmask_b32_e64 v37, 0, v1, s[2:3]
.LBB96_3:
	s_bitcmp1_b32 s7, 8
	s_cselect_b64 s[0:1], -1, 0
	s_xor_b64 s[12:13], s[0:1], -1
	s_or_b64 s[10:11], s[12:13], s[10:11]
	s_and_b64 vcc, exec, s[10:11]
	s_cbranch_vccnz .LBB96_5
; %bb.4:
	s_load_dword s7, s[8:9], 0x0
	s_waitcnt lgkmcnt(0)
	v_mov_b32_e32 v34, s7
	s_branch .LBB96_6
.LBB96_5:
	v_mov_b32_e32 v1, s8
	v_cndmask_b32_e64 v34, 0, v1, s[0:1]
.LBB96_6:
	s_load_dwordx4 s[16:19], s[4:5], 0x8
	s_load_dwordx2 s[24:25], s[4:5], 0x18
	v_and_b32_e32 v1, 63, v0
	v_lshrrev_b32_e32 v33, 6, v0
	v_mov_b32_e32 v2, 0x1000
	v_lshl_or_b32 v32, v33, 7, v2
	v_cmp_gt_u32_e32 vcc, 16, v1
	s_and_saveexec_b64 s[8:9], vcc
	s_cbranch_execz .LBB96_8
; %bb.7:
	v_lshl_add_u32 v4, v1, 3, v32
	s_waitcnt lgkmcnt(0)
	v_pk_mov_b32 v[2:3], s[18:19], s[18:19] op_sel:[0,1]
	ds_write_b64 v4, v[2:3]
.LBB96_8:
	s_or_b64 exec, exec, s[8:9]
	v_lshl_or_b32 v2, s6, 2, v33
	v_mov_b32_e32 v3, 0
	v_lshlrev_b32_e32 v36, 10, v33
	v_lshl_or_b32 v4, v1, 2, v36
	s_waitcnt lgkmcnt(0)
	v_cmp_gt_i64_e32 vcc, s[16:17], v[2:3]
	ds_write2st64_b32 v4, v3, v3 offset1:1
	ds_write2st64_b32 v4, v3, v3 offset0:2 offset1:3
	s_waitcnt lgkmcnt(0)
	s_barrier
	s_and_saveexec_b64 s[6:7], vcc
	s_cbranch_execz .LBB96_62
; %bb.9:
	s_load_dwordx2 s[6:7], s[4:5], 0x28
	s_load_dwordx4 s[20:23], s[4:5], 0xa0
	s_waitcnt lgkmcnt(0)
	s_cmp_eq_u64 s[6:7], 0
	s_cbranch_scc1 .LBB96_11
; %bb.10:
	s_load_dwordx2 s[8:9], s[4:5], 0x20
	v_lshlrev_b64 v[2:3], 3, v[2:3]
	s_waitcnt lgkmcnt(0)
	s_load_dwordx2 s[8:9], s[8:9], 0x0
	s_waitcnt lgkmcnt(0)
	s_lshl_b64 s[8:9], s[8:9], 3
	s_add_u32 s6, s6, s8
	s_addc_u32 s7, s7, s9
	v_mov_b32_e32 v4, s7
	v_add_co_u32_e32 v2, vcc, s6, v2
	v_addc_co_u32_e32 v3, vcc, v4, v3, vcc
	global_load_dwordx2 v[2:3], v[2:3], off
.LBB96_11:
	s_load_dwordx2 s[26:27], s[4:5], 0x98
	s_load_dwordx2 s[28:29], s[4:5], 0x88
	s_load_dword s59, s[4:5], 0x0
	v_lshrrev_b32_e32 v35, 4, v1
	v_and_b32_e32 v4, 3, v0
	v_bfe_u32 v6, v0, 2, 2
	s_andn2_b64 vcc, exec, s[2:3]
	s_waitcnt vmcnt(0)
	v_lshlrev_b64 v[8:9], 3, v[2:3]
	s_mul_i32 s33, s24, s25
	s_mul_hi_u32 s58, s24, s24
	s_mul_i32 s16, s24, s24
	s_cbranch_vccnz .LBB96_39
; %bb.12:
	s_load_dwordx2 s[2:3], s[4:5], 0x38
	s_mov_b32 s40, 0
	s_waitcnt lgkmcnt(0)
	v_mov_b32_e32 v1, s3
	v_add_co_u32_e32 v0, vcc, s2, v8
	v_addc_co_u32_e32 v1, vcc, v1, v9, vcc
	global_load_dwordx4 v[0:3], v[0:1], off
	v_subrev_co_u32_e32 v5, vcc, s20, v35
	v_subb_co_u32_e64 v7, s[2:3], 0, 0, vcc
	s_waitcnt vmcnt(0)
	v_subrev_co_u32_e32 v10, vcc, s20, v2
	v_subbrev_co_u32_e32 v11, vcc, 0, v3, vcc
	v_add_co_u32_e32 v12, vcc, v0, v5
	v_addc_co_u32_e32 v13, vcc, v1, v7, vcc
	v_cmp_lt_i64_e32 vcc, v[12:13], v[10:11]
	s_and_saveexec_b64 s[6:7], vcc
	s_cbranch_execz .LBB96_38
; %bb.13:
	s_cmp_lg_u32 s59, 0
	s_mov_b32 s60, s20
	s_mov_b32 s61, s21
	v_mov_b32_e32 v5, 0
	s_cselect_b64 s[20:21], -1, 0
	s_add_i32 s17, s58, s33
	v_lshlrev_b32_e32 v14, 2, v4
	v_mov_b32_e32 v7, v5
	v_lshlrev_b32_e32 v0, 4, v6
	s_add_i32 s17, s17, s33
	s_load_dwordx2 s[30:31], s[4:5], 0x60
	s_load_dwordx8 s[8:15], s[4:5], 0x40
	v_cmp_gt_u64_e64 s[2:3], s[24:25], v[6:7]
	v_add3_u32 v7, v36, v14, v0
	v_mul_lo_u32 v2, s17, v12
	v_mul_lo_u32 v3, s16, v13
	v_mad_u64_u32 v[0:1], s[38:39], s16, v12, 0
	v_add3_u32 v1, v1, v3, v2
	v_cmp_gt_i64_e32 vcc, s[24:25], v[4:5]
	v_lshlrev_b64 v[0:1], 2, v[0:1]
	v_lshlrev_b32_e32 v2, 2, v6
	s_and_b64 s[2:3], vcc, s[2:3]
	v_add_co_u32_e32 v0, vcc, v0, v2
	v_addc_co_u32_e32 v1, vcc, 0, v1, vcc
	s_waitcnt lgkmcnt(0)
	v_mov_b32_e32 v3, s11
	v_add_co_u32_e32 v16, vcc, s10, v0
	v_mov_b32_e32 v15, v5
	v_addc_co_u32_e32 v17, vcc, v3, v1, vcc
	v_mul_lo_u32 v3, s25, v12
	v_mul_lo_u32 v5, s24, v13
	v_mad_u64_u32 v[0:1], s[42:43], s24, v12, 0
	v_add3_u32 v1, v1, v5, v3
	v_lshlrev_b64 v[0:1], 2, v[0:1]
	v_add_co_u32_e32 v2, vcc, v0, v2
	v_addc_co_u32_e32 v0, vcc, 0, v1, vcc
	v_mul_lo_u32 v3, s24, v0
	v_pk_mov_b32 v[0:1], s[10:11], s[10:11] op_sel:[0,1]
	v_mul_lo_u32 v5, s25, v2
	v_mad_u64_u32 v[18:19], s[10:11], s24, v2, v[0:1]
	v_mov_b32_e32 v0, s31
	v_add_co_u32_e32 v20, vcc, s30, v14
	s_mov_b32 s62, s40
	s_lshl_b64 s[34:35], s[24:25], 2
	s_lshl_b64 s[36:37], s[16:17], 2
	;; [unrolled: 1-line block ×3, first 2 shown]
	v_add3_u32 v19, v5, v19, v3
	v_addc_co_u32_e32 v21, vcc, 0, v0, vcc
	s_mov_b64 s[10:11], 0
	v_mov_b32_e32 v5, s9
	v_mov_b32_e32 v38, s40
	v_mov_b32_e32 v39, s13
	s_branch .LBB96_15
.LBB96_14:                              ;   in Loop: Header=BB96_15 Depth=1
	s_or_b64 exec, exec, s[40:41]
	v_add_co_u32_e32 v12, vcc, 4, v12
	v_addc_co_u32_e32 v13, vcc, 0, v13, vcc
	v_mov_b32_e32 v0, s39
	v_add_co_u32_e32 v16, vcc, s38, v16
	v_addc_co_u32_e32 v17, vcc, v17, v0, vcc
	v_cmp_ge_i64_e32 vcc, v[12:13], v[10:11]
	s_or_b64 s[10:11], vcc, s[10:11]
	v_add_co_u32_e32 v18, vcc, s38, v18
	v_addc_co_u32_e32 v19, vcc, v19, v0, vcc
	s_andn2_b64 exec, exec, s[10:11]
	s_cbranch_execz .LBB96_38
.LBB96_15:                              ; =>This Loop Header: Depth=1
                                        ;     Child Loop BB96_18 Depth 2
                                        ;       Child Loop BB96_25 Depth 3
                                        ;       Child Loop BB96_21 Depth 3
	;; [unrolled: 1-line block ×3, first 2 shown]
	v_lshlrev_b64 v[0:1], 3, v[12:13]
	v_add_co_u32_e32 v0, vcc, s8, v0
	v_addc_co_u32_e32 v1, vcc, v5, v1, vcc
	global_load_dwordx2 v[0:1], v[0:1], off
	s_waitcnt vmcnt(0)
	v_subrev_co_u32_e32 v0, vcc, s60, v0
	v_subb_co_u32_e32 v1, vcc, v1, v38, vcc
	v_lshlrev_b64 v[0:1], 3, v[0:1]
	v_add_co_u32_e32 v0, vcc, s12, v0
	v_addc_co_u32_e32 v1, vcc, v39, v1, vcc
	global_load_dwordx4 v[0:3], v[0:1], off
	s_waitcnt vmcnt(0)
	v_cmp_lt_i64_e32 vcc, v[0:1], v[2:3]
	s_and_saveexec_b64 s[40:41], vcc
	s_cbranch_execz .LBB96_14
; %bb.16:                               ;   in Loop: Header=BB96_15 Depth=1
	v_mov_b32_e32 v22, s62
	v_subrev_co_u32_e32 v2, vcc, s61, v2
	v_subb_co_u32_e32 v3, vcc, v3, v22, vcc
	v_subrev_co_u32_e32 v0, vcc, s61, v0
	v_subb_co_u32_e32 v1, vcc, v1, v22, vcc
	v_mul_lo_u32 v24, s34, v1
	v_mul_lo_u32 v25, s35, v0
	v_mad_u64_u32 v[22:23], s[42:43], s34, v0, v[14:15]
	v_add3_u32 v23, v25, v23, v24
	v_pk_mov_b32 v[24:25], s[30:31], s[30:31] op_sel:[0,1]
	v_mul_lo_u32 v26, s24, v23
	v_mul_lo_u32 v27, s25, v22
	v_mad_u64_u32 v[22:23], s[42:43], s24, v22, v[24:25]
	v_add3_u32 v23, v27, v23, v26
	v_mul_lo_u32 v26, s36, v1
	v_mul_lo_u32 v27, s37, v0
	v_mad_u64_u32 v[24:25], s[42:43], s36, v0, v[20:21]
	v_add3_u32 v25, v27, v25, v26
	s_mov_b64 s[42:43], 0
	s_branch .LBB96_18
.LBB96_17:                              ;   in Loop: Header=BB96_18 Depth=2
	s_or_b64 exec, exec, s[44:45]
	v_add_co_u32_e32 v0, vcc, 1, v0
	v_addc_co_u32_e32 v1, vcc, 0, v1, vcc
	v_mov_b32_e32 v26, s37
	v_add_co_u32_e32 v22, vcc, s36, v22
	v_addc_co_u32_e32 v23, vcc, v23, v26, vcc
	v_cmp_ge_i64_e32 vcc, v[0:1], v[2:3]
	s_or_b64 s[42:43], vcc, s[42:43]
	v_add_co_u32_e32 v24, vcc, s36, v24
	v_addc_co_u32_e32 v25, vcc, v25, v26, vcc
	s_andn2_b64 exec, exec, s[42:43]
	s_cbranch_execz .LBB96_14
.LBB96_18:                              ;   Parent Loop BB96_15 Depth=1
                                        ; =>  This Loop Header: Depth=2
                                        ;       Child Loop BB96_25 Depth 3
                                        ;       Child Loop BB96_21 Depth 3
	;; [unrolled: 1-line block ×3, first 2 shown]
	s_and_saveexec_b64 s[44:45], s[2:3]
	s_cbranch_execz .LBB96_17
; %bb.19:                               ;   in Loop: Header=BB96_18 Depth=2
	v_lshlrev_b64 v[26:27], 3, v[0:1]
	v_mov_b32_e32 v28, s15
	v_add_co_u32_e32 v26, vcc, s14, v26
	v_addc_co_u32_e32 v27, vcc, v28, v27, vcc
	global_load_dwordx2 v[26:27], v[26:27], off
	s_andn2_b64 vcc, exec, s[20:21]
	s_cbranch_vccnz .LBB96_23
; %bb.20:                               ;   in Loop: Header=BB96_18 Depth=2
	v_mov_b32_e32 v40, 0
	v_pk_mov_b32 v[28:29], v[16:17], v[16:17] op_sel:[0,1]
	s_mov_b64 s[46:47], s[24:25]
	v_pk_mov_b32 v[30:31], v[22:23], v[22:23] op_sel:[0,1]
.LBB96_21:                              ;   Parent Loop BB96_15 Depth=1
                                        ;     Parent Loop BB96_18 Depth=2
                                        ; =>    This Inner Loop Header: Depth=3
	global_load_dword v41, v[28:29], off
	global_load_dword v42, v[30:31], off
	v_add_co_u32_e32 v30, vcc, 4, v30
	v_addc_co_u32_e32 v31, vcc, 0, v31, vcc
	s_add_u32 s46, s46, -1
	v_mov_b32_e32 v43, s35
	v_add_co_u32_e32 v28, vcc, s34, v28
	s_addc_u32 s47, s47, -1
	v_addc_co_u32_e32 v29, vcc, v29, v43, vcc
	s_cmp_lg_u64 s[46:47], 0
	s_waitcnt vmcnt(0)
	v_fmac_f32_e32 v40, v41, v42
	s_cbranch_scc1 .LBB96_21
; %bb.22:                               ;   in Loop: Header=BB96_18 Depth=2
	s_branch .LBB96_26
.LBB96_23:                              ;   in Loop: Header=BB96_18 Depth=2
                                        ; implicit-def: $vgpr40
	s_cbranch_execz .LBB96_26
; %bb.24:                               ;   in Loop: Header=BB96_18 Depth=2
	v_mov_b32_e32 v40, 0
	v_pk_mov_b32 v[28:29], v[24:25], v[24:25] op_sel:[0,1]
	s_mov_b64 s[46:47], s[24:25]
	v_pk_mov_b32 v[30:31], v[18:19], v[18:19] op_sel:[0,1]
.LBB96_25:                              ;   Parent Loop BB96_15 Depth=1
                                        ;     Parent Loop BB96_18 Depth=2
                                        ; =>    This Inner Loop Header: Depth=3
	global_load_dword v41, v[30:31], off
	global_load_dword v42, v[28:29], off
	v_add_co_u32_e32 v30, vcc, 4, v30
	v_addc_co_u32_e32 v31, vcc, 0, v31, vcc
	s_add_u32 s46, s46, -1
	v_mov_b32_e32 v43, s35
	v_add_co_u32_e32 v28, vcc, s34, v28
	s_addc_u32 s47, s47, -1
	v_addc_co_u32_e32 v29, vcc, v29, v43, vcc
	s_cmp_eq_u64 s[46:47], 0
	s_waitcnt vmcnt(0)
	v_fmac_f32_e32 v40, v41, v42
	s_cbranch_scc0 .LBB96_25
.LBB96_26:                              ;   in Loop: Header=BB96_18 Depth=2
	v_mov_b32_e32 v28, s62
	s_waitcnt vmcnt(0)
	v_subrev_co_u32_e32 v26, vcc, s61, v26
	v_subb_co_u32_e32 v27, vcc, v27, v28, vcc
	v_lshl_add_u32 v28, v26, 3, v26
	v_mul_f32_e32 v29, v37, v40
	v_and_b32_e32 v28, 15, v28
	s_mov_b64 s[46:47], 0
	s_branch .LBB96_28
.LBB96_27:                              ;   in Loop: Header=BB96_28 Depth=3
	s_or_b64 exec, exec, s[48:49]
	s_xor_b64 s[48:49], s[50:51], -1
	s_and_b64 s[48:49], exec, s[48:49]
	s_or_b64 s[46:47], s[48:49], s[46:47]
	s_andn2_b64 exec, exec, s[46:47]
	s_cbranch_execz .LBB96_17
.LBB96_28:                              ;   Parent Loop BB96_15 Depth=1
                                        ;     Parent Loop BB96_18 Depth=2
                                        ; =>    This Inner Loop Header: Depth=3
	v_lshl_add_u32 v40, v28, 3, v32
	ds_read_b64 v[30:31], v40
                                        ; implicit-def: $sgpr50_sgpr51
	s_waitcnt lgkmcnt(0)
	v_cmp_ne_u64_e32 vcc, v[30:31], v[26:27]
	s_and_saveexec_b64 s[48:49], vcc
	s_xor_b64 s[48:49], exec, s[48:49]
	s_cbranch_execz .LBB96_36
; %bb.29:                               ;   in Loop: Header=BB96_28 Depth=3
	v_cmp_ne_u64_e32 vcc, s[18:19], v[30:31]
                                        ; implicit-def: $sgpr50_sgpr51
	s_and_saveexec_b64 s[52:53], vcc
	s_xor_b64 s[52:53], exec, s[52:53]
; %bb.30:                               ;   in Loop: Header=BB96_28 Depth=3
	v_add_u32_e32 v28, 1, v28
	v_and_b32_e32 v28, 15, v28
	s_mov_b64 s[50:51], -1
                                        ; implicit-def: $vgpr40
; %bb.31:                               ;   in Loop: Header=BB96_28 Depth=3
	s_andn2_saveexec_b64 s[52:53], s[52:53]
	s_cbranch_execz .LBB96_35
; %bb.32:                               ;   in Loop: Header=BB96_28 Depth=3
	v_pk_mov_b32 v[30:31], s[18:19], s[18:19] op_sel:[0,1]
	ds_cmpst_rtn_b64 v[30:31], v40, v[30:31], v[26:27]
	s_mov_b64 s[54:55], -1
	s_waitcnt lgkmcnt(0)
	v_cmp_eq_u64_e32 vcc, s[18:19], v[30:31]
	s_and_saveexec_b64 s[56:57], vcc
	s_cbranch_execz .LBB96_34
; %bb.33:                               ;   in Loop: Header=BB96_28 Depth=3
	v_lshl_add_u32 v30, v28, 6, v7
	ds_add_f32 v30, v29
	s_xor_b64 s[54:55], exec, -1
.LBB96_34:                              ;   in Loop: Header=BB96_28 Depth=3
	s_or_b64 exec, exec, s[56:57]
	s_andn2_b64 s[50:51], s[50:51], exec
	s_and_b64 s[54:55], s[54:55], exec
	s_or_b64 s[50:51], s[50:51], s[54:55]
.LBB96_35:                              ;   in Loop: Header=BB96_28 Depth=3
	s_or_b64 exec, exec, s[52:53]
	s_and_b64 s[50:51], s[50:51], exec
.LBB96_36:                              ;   in Loop: Header=BB96_28 Depth=3
	s_andn2_saveexec_b64 s[48:49], s[48:49]
	s_cbranch_execz .LBB96_27
; %bb.37:                               ;   in Loop: Header=BB96_28 Depth=3
	v_lshl_add_u32 v30, v28, 6, v7
	ds_add_f32 v30, v29
	s_andn2_b64 s[50:51], s[50:51], exec
	s_branch .LBB96_27
.LBB96_38:
	s_or_b64 exec, exec, s[6:7]
.LBB96_39:
	s_load_dwordx2 s[8:9], s[4:5], 0x90
	s_andn2_b64 vcc, exec, s[0:1]
	s_waitcnt lgkmcnt(0)
	s_barrier
	s_cbranch_vccnz .LBB96_57
; %bb.40:
	s_load_dwordx2 s[0:1], s[4:5], 0x70
	s_mov_b32 s17, 0
	s_waitcnt lgkmcnt(0)
	v_mov_b32_e32 v1, s1
	v_add_co_u32_e32 v0, vcc, s0, v8
	v_addc_co_u32_e32 v1, vcc, v1, v9, vcc
	global_load_dwordx4 v[10:13], v[0:1], off
	v_subrev_co_u32_e32 v2, vcc, s23, v35
	v_subb_co_u32_e64 v3, s[0:1], 0, 0, vcc
	s_waitcnt vmcnt(0)
	v_subrev_co_u32_e32 v0, vcc, s23, v12
	v_subbrev_co_u32_e32 v1, vcc, 0, v13, vcc
	v_add_co_u32_e32 v2, vcc, v10, v2
	v_addc_co_u32_e32 v3, vcc, v11, v3, vcc
	v_cmp_lt_i64_e32 vcc, v[2:3], v[0:1]
	s_and_saveexec_b64 s[10:11], vcc
	s_cbranch_execz .LBB96_56
; %bb.41:
	s_load_dwordx4 s[4:7], s[4:5], 0x78
	v_mad_u64_u32 v[10:11], s[2:3], v4, s24, 0
	v_mov_b32_e32 v12, v11
	v_mad_u64_u32 v[12:13], s[2:3], v4, s25, v[12:13]
	v_mov_b32_e32 v11, v12
	v_mov_b32_e32 v5, 0
	v_lshlrev_b64 v[10:11], 2, v[10:11]
	v_cmp_gt_i64_e32 vcc, s[24:25], v[4:5]
	v_mov_b32_e32 v7, v5
	s_waitcnt lgkmcnt(0)
	v_mov_b32_e32 v5, s7
	v_add_co_u32_e64 v12, s[2:3], s6, v10
	v_addc_co_u32_e64 v13, s[2:3], v5, v11, s[2:3]
	v_lshlrev_b64 v[10:11], 2, v[6:7]
	v_add_co_u32_e64 v15, s[2:3], v12, v10
	v_addc_co_u32_e64 v16, s[2:3], v13, v11, s[2:3]
	v_mad_u64_u32 v[10:11], s[2:3], v6, s24, 0
	v_mov_b32_e32 v12, v11
	v_mad_u64_u32 v[12:13], s[2:3], v6, s25, v[12:13]
	v_mov_b32_e32 v11, v12
	v_lshlrev_b64 v[10:11], 2, v[10:11]
	v_cmp_gt_u64_e64 s[0:1], s[24:25], v[6:7]
	v_add_co_u32_e64 v7, s[2:3], s6, v10
	v_lshlrev_b32_e32 v14, 2, v4
	v_addc_co_u32_e64 v5, s[2:3], v5, v11, s[2:3]
	v_add_co_u32_e64 v10, s[2:3], v7, v14
	s_cmp_eq_u32 s59, 0
	v_addc_co_u32_e64 v5, s[2:3], 0, v5, s[2:3]
	s_cselect_b64 s[2:3], -1, 0
	s_add_i32 s6, s58, s33
	v_lshlrev_b32_e32 v7, 4, v6
	s_mov_b32 s38, s23
	s_add_i32 s23, s6, s33
	v_add3_u32 v7, v36, v14, v7
	s_and_b64 s[0:1], vcc, s[0:1]
	v_cndmask_b32_e64 v5, v16, v5, s[2:3]
	v_cndmask_b32_e64 v10, v15, v10, s[2:3]
	s_mov_b64 s[2:3], 0
	s_branch .LBB96_43
.LBB96_42:                              ;   in Loop: Header=BB96_43 Depth=1
	s_or_b64 exec, exec, s[6:7]
	v_add_co_u32_e32 v2, vcc, 4, v2
	v_addc_co_u32_e32 v3, vcc, 0, v3, vcc
	v_cmp_ge_i64_e32 vcc, v[2:3], v[0:1]
	s_or_b64 s[2:3], vcc, s[2:3]
	s_andn2_b64 exec, exec, s[2:3]
	s_cbranch_execz .LBB96_56
.LBB96_43:                              ; =>This Loop Header: Depth=1
                                        ;     Child Loop BB96_46 Depth 2
	s_and_saveexec_b64 s[6:7], s[0:1]
	s_cbranch_execz .LBB96_42
; %bb.44:                               ;   in Loop: Header=BB96_43 Depth=1
	v_lshlrev_b64 v[12:13], 3, v[2:3]
	v_mov_b32_e32 v11, s5
	v_add_co_u32_e32 v12, vcc, s4, v12
	v_addc_co_u32_e32 v13, vcc, v11, v13, vcc
	v_mul_lo_u32 v11, s23, v2
	v_mul_lo_u32 v16, s16, v3
	v_mad_u64_u32 v[14:15], s[12:13], s16, v2, 0
	v_add3_u32 v15, v15, v16, v11
	v_lshlrev_b64 v[14:15], 2, v[14:15]
	global_load_dwordx2 v[12:13], v[12:13], off
	v_add_co_u32_e32 v14, vcc, v10, v14
	v_addc_co_u32_e32 v15, vcc, v5, v15, vcc
	global_load_dword v11, v[14:15], off
	v_mov_b32_e32 v14, s17
	s_mov_b64 s[12:13], 0
	s_waitcnt vmcnt(1)
	v_subrev_co_u32_e32 v12, vcc, s38, v12
	v_subb_co_u32_e32 v13, vcc, v13, v14, vcc
	v_lshl_add_u32 v14, v12, 3, v12
	s_waitcnt vmcnt(0)
	v_mul_f32_e32 v11, v34, v11
	v_and_b32_e32 v14, 15, v14
	s_branch .LBB96_46
.LBB96_45:                              ;   in Loop: Header=BB96_46 Depth=2
	s_or_b64 exec, exec, s[14:15]
	s_xor_b64 s[14:15], s[20:21], -1
	s_and_b64 s[14:15], exec, s[14:15]
	s_or_b64 s[12:13], s[14:15], s[12:13]
	s_andn2_b64 exec, exec, s[12:13]
	s_cbranch_execz .LBB96_42
.LBB96_46:                              ;   Parent Loop BB96_43 Depth=1
                                        ; =>  This Inner Loop Header: Depth=2
	v_lshl_add_u32 v15, v14, 3, v32
	ds_read_b64 v[16:17], v15
                                        ; implicit-def: $sgpr20_sgpr21
	s_waitcnt lgkmcnt(0)
	v_cmp_ne_u64_e32 vcc, v[16:17], v[12:13]
	s_and_saveexec_b64 s[14:15], vcc
	s_xor_b64 s[14:15], exec, s[14:15]
	s_cbranch_execz .LBB96_54
; %bb.47:                               ;   in Loop: Header=BB96_46 Depth=2
	v_cmp_ne_u64_e32 vcc, s[18:19], v[16:17]
                                        ; implicit-def: $sgpr20_sgpr21
	s_and_saveexec_b64 s[30:31], vcc
	s_xor_b64 s[30:31], exec, s[30:31]
; %bb.48:                               ;   in Loop: Header=BB96_46 Depth=2
	v_add_u32_e32 v14, 1, v14
	v_and_b32_e32 v14, 15, v14
	s_mov_b64 s[20:21], -1
                                        ; implicit-def: $vgpr15
; %bb.49:                               ;   in Loop: Header=BB96_46 Depth=2
	s_andn2_saveexec_b64 s[30:31], s[30:31]
	s_cbranch_execz .LBB96_53
; %bb.50:                               ;   in Loop: Header=BB96_46 Depth=2
	v_pk_mov_b32 v[16:17], s[18:19], s[18:19] op_sel:[0,1]
	ds_cmpst_rtn_b64 v[16:17], v15, v[16:17], v[12:13]
	s_mov_b64 s[34:35], -1
	s_waitcnt lgkmcnt(0)
	v_cmp_eq_u64_e32 vcc, s[18:19], v[16:17]
	s_and_saveexec_b64 s[36:37], vcc
	s_cbranch_execz .LBB96_52
; %bb.51:                               ;   in Loop: Header=BB96_46 Depth=2
	v_lshl_add_u32 v15, v14, 6, v7
	ds_add_f32 v15, v11
	s_xor_b64 s[34:35], exec, -1
.LBB96_52:                              ;   in Loop: Header=BB96_46 Depth=2
	s_or_b64 exec, exec, s[36:37]
	s_andn2_b64 s[20:21], s[20:21], exec
	s_and_b64 s[34:35], s[34:35], exec
	s_or_b64 s[20:21], s[20:21], s[34:35]
.LBB96_53:                              ;   in Loop: Header=BB96_46 Depth=2
	s_or_b64 exec, exec, s[30:31]
	s_and_b64 s[20:21], s[20:21], exec
.LBB96_54:                              ;   in Loop: Header=BB96_46 Depth=2
	s_andn2_saveexec_b64 s[14:15], s[14:15]
	s_cbranch_execz .LBB96_45
; %bb.55:                               ;   in Loop: Header=BB96_46 Depth=2
	v_lshl_add_u32 v15, v14, 6, v7
	ds_add_f32 v15, v11
	s_andn2_b64 s[20:21], s[20:21], exec
	s_branch .LBB96_45
.LBB96_56:
	s_or_b64 exec, exec, s[10:11]
.LBB96_57:
	v_mov_b32_e32 v1, s29
	v_add_co_u32_e32 v0, vcc, s28, v8
	v_addc_co_u32_e32 v1, vcc, v1, v9, vcc
	s_waitcnt lgkmcnt(0)
	s_barrier
	global_load_dwordx2 v[0:1], v[0:1], off
	s_cmp_eq_u32 s59, 0
	v_mad_u64_u32 v[2:3], s[0:1], v6, s24, 0
	v_mov_b32_e32 v5, 0
	v_lshlrev_b32_e32 v11, 7, v33
	v_lshlrev_b32_e32 v13, 3, v35
	s_movk_i32 s2, 0x1000
	s_cselect_b64 s[0:1], -1, 0
	s_add_i32 s4, s58, s33
	v_mov_b32_e32 v10, v3
	v_cmp_gt_i64_e32 vcc, s[24:25], v[4:5]
	v_mov_b32_e32 v7, v5
	v_or3_b32 v5, v11, v13, s2
	s_add_i32 s7, s4, s33
	v_mad_u64_u32 v[10:11], s[4:5], v6, s25, v[10:11]
	v_mov_b32_e32 v3, v10
	v_lshlrev_b32_e32 v12, 2, v4
	v_cndmask_b32_e64 v14, v4, v6, s[0:1]
	v_cmp_gt_u64_e64 s[2:3], s[24:25], v[6:7]
	v_cndmask_b32_e64 v4, v6, v4, s[0:1]
	v_lshlrev_b64 v[2:3], 2, v[2:3]
	v_mov_b32_e32 v9, s27
	s_and_b64 s[0:1], vcc, s[2:3]
	v_lshlrev_b32_e32 v4, 2, v4
	v_add_co_u32_e32 v2, vcc, s26, v2
	v_lshl_or_b32 v4, v35, 6, v4
	v_addc_co_u32_e32 v3, vcc, v9, v3, vcc
	v_lshl_or_b32 v7, v14, 4, v4
	v_add_co_u32_e32 v4, vcc, v2, v12
	v_addc_co_u32_e32 v6, vcc, 0, v3, vcc
	s_mov_b32 s6, 0
	v_or_b32_e32 v8, -4, v35
	v_lshl_or_b32 v7, v33, 10, v7
	s_mov_b64 s[2:3], 0
	s_waitcnt vmcnt(0)
	v_subrev_co_u32_e32 v9, vcc, s22, v0
	v_subbrev_co_u32_e32 v10, vcc, 0, v1, vcc
	s_branch .LBB96_59
.LBB96_58:                              ;   in Loop: Header=BB96_59 Depth=1
	s_or_b64 exec, exec, s[4:5]
	v_add_u32_e32 v8, 4, v8
	v_cmp_lt_u32_e32 vcc, 11, v8
	v_add_u32_e32 v7, 0x100, v7
	s_or_b64 s[2:3], vcc, s[2:3]
	v_add_u32_e32 v5, 32, v5
	s_andn2_b64 exec, exec, s[2:3]
	s_cbranch_execz .LBB96_62
.LBB96_59:                              ; =>This Inner Loop Header: Depth=1
	ds_read_b64 v[0:1], v5
	s_waitcnt lgkmcnt(0)
	v_cmp_gt_i64_e32 vcc, s[18:19], v[0:1]
	s_and_saveexec_b64 s[4:5], vcc
	s_cbranch_execz .LBB96_58
; %bb.60:                               ;   in Loop: Header=BB96_59 Depth=1
	ds_read_b128 v[12:15], v32
	ds_read_b128 v[16:19], v32 offset:16
	ds_read_b128 v[20:23], v32 offset:32
	;; [unrolled: 1-line block ×3, first 2 shown]
	s_waitcnt lgkmcnt(3)
	v_cmp_gt_i64_e32 vcc, v[0:1], v[12:13]
	v_cndmask_b32_e64 v2, 0, 1, vcc
	v_add_co_u32_e32 v2, vcc, v9, v2
	v_addc_co_u32_e32 v3, vcc, 0, v10, vcc
	v_cmp_gt_i64_e32 vcc, v[0:1], v[14:15]
	v_cndmask_b32_e64 v11, 0, 1, vcc
	v_add_co_u32_e32 v2, vcc, v2, v11
	v_addc_co_u32_e32 v3, vcc, 0, v3, vcc
	s_waitcnt lgkmcnt(2)
	v_cmp_gt_i64_e32 vcc, v[0:1], v[16:17]
	v_cndmask_b32_e64 v11, 0, 1, vcc
	v_add_co_u32_e32 v2, vcc, v2, v11
	v_addc_co_u32_e32 v3, vcc, 0, v3, vcc
	v_cmp_gt_i64_e32 vcc, v[0:1], v[18:19]
	v_cndmask_b32_e64 v11, 0, 1, vcc
	v_add_co_u32_e32 v2, vcc, v2, v11
	v_addc_co_u32_e32 v3, vcc, 0, v3, vcc
	;; [unrolled: 9-line block ×3, first 2 shown]
	s_waitcnt lgkmcnt(0)
	v_cmp_gt_i64_e32 vcc, v[0:1], v[24:25]
	v_cndmask_b32_e64 v11, 0, 1, vcc
	v_add_co_u32_e32 v2, vcc, v2, v11
	v_addc_co_u32_e32 v3, vcc, 0, v3, vcc
	ds_read_b128 v[12:15], v32 offset:64
	ds_read_b128 v[16:19], v32 offset:80
	v_cmp_gt_i64_e32 vcc, v[0:1], v[26:27]
	v_cndmask_b32_e64 v11, 0, 1, vcc
	v_add_co_u32_e32 v2, vcc, v2, v11
	v_addc_co_u32_e32 v3, vcc, 0, v3, vcc
	s_waitcnt lgkmcnt(1)
	v_cmp_gt_i64_e32 vcc, v[0:1], v[12:13]
	v_cndmask_b32_e64 v11, 0, 1, vcc
	v_add_co_u32_e32 v2, vcc, v2, v11
	v_addc_co_u32_e32 v3, vcc, 0, v3, vcc
	v_cmp_gt_i64_e32 vcc, v[0:1], v[14:15]
	v_cndmask_b32_e64 v11, 0, 1, vcc
	v_add_co_u32_e32 v2, vcc, v2, v11
	v_addc_co_u32_e32 v3, vcc, 0, v3, vcc
	s_waitcnt lgkmcnt(0)
	v_cmp_gt_i64_e32 vcc, v[0:1], v[16:17]
	v_cndmask_b32_e64 v11, 0, 1, vcc
	v_add_co_u32_e32 v2, vcc, v2, v11
	v_addc_co_u32_e32 v3, vcc, 0, v3, vcc
	ds_read_b128 v[12:15], v32 offset:96
	v_cmp_gt_i64_e32 vcc, v[0:1], v[18:19]
	ds_read_b128 v[16:19], v32 offset:112
	v_cndmask_b32_e64 v11, 0, 1, vcc
	v_add_co_u32_e32 v2, vcc, v2, v11
	v_addc_co_u32_e32 v3, vcc, 0, v3, vcc
	s_waitcnt lgkmcnt(1)
	v_cmp_gt_i64_e32 vcc, v[0:1], v[12:13]
	v_cndmask_b32_e64 v11, 0, 1, vcc
	v_add_co_u32_e32 v2, vcc, v2, v11
	v_addc_co_u32_e32 v3, vcc, 0, v3, vcc
	v_cmp_gt_i64_e32 vcc, v[0:1], v[14:15]
	v_cndmask_b32_e64 v11, 0, 1, vcc
	v_add_co_u32_e32 v2, vcc, v2, v11
	v_addc_co_u32_e32 v3, vcc, 0, v3, vcc
	s_waitcnt lgkmcnt(0)
	v_cmp_gt_i64_e32 vcc, v[0:1], v[16:17]
	v_cndmask_b32_e64 v11, 0, 1, vcc
	v_add_co_u32_e32 v2, vcc, v2, v11
	v_addc_co_u32_e32 v3, vcc, 0, v3, vcc
	v_cmp_gt_i64_e32 vcc, v[0:1], v[18:19]
	v_cndmask_b32_e64 v11, 0, 1, vcc
	v_add_co_u32_e32 v2, vcc, v2, v11
	v_addc_co_u32_e32 v3, vcc, 0, v3, vcc
	v_mov_b32_e32 v11, s6
	v_add_co_u32_e32 v0, vcc, s22, v0
	v_addc_co_u32_e32 v1, vcc, v1, v11, vcc
	v_lshlrev_b64 v[12:13], 3, v[2:3]
	v_mov_b32_e32 v11, s9
	v_add_co_u32_e32 v12, vcc, s8, v12
	v_addc_co_u32_e32 v13, vcc, v11, v13, vcc
	global_store_dwordx2 v[12:13], v[0:1], off
	s_and_b64 exec, exec, s[0:1]
	s_cbranch_execz .LBB96_58
; %bb.61:                               ;   in Loop: Header=BB96_59 Depth=1
	v_mul_lo_u32 v11, s7, v2
	v_mul_lo_u32 v3, s16, v3
	v_mad_u64_u32 v[0:1], s[10:11], s16, v2, 0
	ds_read_b32 v2, v7
	v_add3_u32 v1, v1, v3, v11
	v_lshlrev_b64 v[0:1], 2, v[0:1]
	v_add_co_u32_e32 v0, vcc, v4, v0
	v_addc_co_u32_e32 v1, vcc, v6, v1, vcc
	s_waitcnt lgkmcnt(0)
	global_store_dword v[0:1], v2, off
	s_branch .LBB96_58
.LBB96_62:
	s_endpgm
	.section	.rodata,"a",@progbits
	.p2align	6, 0x0
	.amdhsa_kernel _ZN9rocsparseL23bsrgemm_fill_wf_per_rowILj256ELj64ELj16ELj137ELj4EllfEEv20rocsparse_direction_T5_S2_S2_PKS2_S4_NS_24const_host_device_scalarIT6_EEPKT4_S4_PKS6_SA_S4_SC_S7_SA_S4_SC_SA_PS2_PS6_21rocsparse_index_base_SF_SF_SF_bbb
		.amdhsa_group_segment_fixed_size 4608
		.amdhsa_private_segment_fixed_size 0
		.amdhsa_kernarg_size 180
		.amdhsa_user_sgpr_count 6
		.amdhsa_user_sgpr_private_segment_buffer 1
		.amdhsa_user_sgpr_dispatch_ptr 0
		.amdhsa_user_sgpr_queue_ptr 0
		.amdhsa_user_sgpr_kernarg_segment_ptr 1
		.amdhsa_user_sgpr_dispatch_id 0
		.amdhsa_user_sgpr_flat_scratch_init 0
		.amdhsa_user_sgpr_kernarg_preload_length 0
		.amdhsa_user_sgpr_kernarg_preload_offset 0
		.amdhsa_user_sgpr_private_segment_size 0
		.amdhsa_uses_dynamic_stack 0
		.amdhsa_system_sgpr_private_segment_wavefront_offset 0
		.amdhsa_system_sgpr_workgroup_id_x 1
		.amdhsa_system_sgpr_workgroup_id_y 0
		.amdhsa_system_sgpr_workgroup_id_z 0
		.amdhsa_system_sgpr_workgroup_info 0
		.amdhsa_system_vgpr_workitem_id 0
		.amdhsa_next_free_vgpr 44
		.amdhsa_next_free_sgpr 63
		.amdhsa_accum_offset 44
		.amdhsa_reserve_vcc 1
		.amdhsa_reserve_flat_scratch 0
		.amdhsa_float_round_mode_32 0
		.amdhsa_float_round_mode_16_64 0
		.amdhsa_float_denorm_mode_32 3
		.amdhsa_float_denorm_mode_16_64 3
		.amdhsa_dx10_clamp 1
		.amdhsa_ieee_mode 1
		.amdhsa_fp16_overflow 0
		.amdhsa_tg_split 0
		.amdhsa_exception_fp_ieee_invalid_op 0
		.amdhsa_exception_fp_denorm_src 0
		.amdhsa_exception_fp_ieee_div_zero 0
		.amdhsa_exception_fp_ieee_overflow 0
		.amdhsa_exception_fp_ieee_underflow 0
		.amdhsa_exception_fp_ieee_inexact 0
		.amdhsa_exception_int_div_zero 0
	.end_amdhsa_kernel
	.section	.text._ZN9rocsparseL23bsrgemm_fill_wf_per_rowILj256ELj64ELj16ELj137ELj4EllfEEv20rocsparse_direction_T5_S2_S2_PKS2_S4_NS_24const_host_device_scalarIT6_EEPKT4_S4_PKS6_SA_S4_SC_S7_SA_S4_SC_SA_PS2_PS6_21rocsparse_index_base_SF_SF_SF_bbb,"axG",@progbits,_ZN9rocsparseL23bsrgemm_fill_wf_per_rowILj256ELj64ELj16ELj137ELj4EllfEEv20rocsparse_direction_T5_S2_S2_PKS2_S4_NS_24const_host_device_scalarIT6_EEPKT4_S4_PKS6_SA_S4_SC_S7_SA_S4_SC_SA_PS2_PS6_21rocsparse_index_base_SF_SF_SF_bbb,comdat
.Lfunc_end96:
	.size	_ZN9rocsparseL23bsrgemm_fill_wf_per_rowILj256ELj64ELj16ELj137ELj4EllfEEv20rocsparse_direction_T5_S2_S2_PKS2_S4_NS_24const_host_device_scalarIT6_EEPKT4_S4_PKS6_SA_S4_SC_S7_SA_S4_SC_SA_PS2_PS6_21rocsparse_index_base_SF_SF_SF_bbb, .Lfunc_end96-_ZN9rocsparseL23bsrgemm_fill_wf_per_rowILj256ELj64ELj16ELj137ELj4EllfEEv20rocsparse_direction_T5_S2_S2_PKS2_S4_NS_24const_host_device_scalarIT6_EEPKT4_S4_PKS6_SA_S4_SC_S7_SA_S4_SC_SA_PS2_PS6_21rocsparse_index_base_SF_SF_SF_bbb
                                        ; -- End function
	.section	.AMDGPU.csdata,"",@progbits
; Kernel info:
; codeLenInByte = 3128
; NumSgprs: 67
; NumVgprs: 44
; NumAgprs: 0
; TotalNumVgprs: 44
; ScratchSize: 0
; MemoryBound: 0
; FloatMode: 240
; IeeeMode: 1
; LDSByteSize: 4608 bytes/workgroup (compile time only)
; SGPRBlocks: 8
; VGPRBlocks: 5
; NumSGPRsForWavesPerEU: 67
; NumVGPRsForWavesPerEU: 44
; AccumOffset: 44
; Occupancy: 8
; WaveLimiterHint : 1
; COMPUTE_PGM_RSRC2:SCRATCH_EN: 0
; COMPUTE_PGM_RSRC2:USER_SGPR: 6
; COMPUTE_PGM_RSRC2:TRAP_HANDLER: 0
; COMPUTE_PGM_RSRC2:TGID_X_EN: 1
; COMPUTE_PGM_RSRC2:TGID_Y_EN: 0
; COMPUTE_PGM_RSRC2:TGID_Z_EN: 0
; COMPUTE_PGM_RSRC2:TIDIG_COMP_CNT: 0
; COMPUTE_PGM_RSRC3_GFX90A:ACCUM_OFFSET: 10
; COMPUTE_PGM_RSRC3_GFX90A:TG_SPLIT: 0
	.section	.text._ZN9rocsparseL38bsrgemm_block_per_row_atomic_multipassILj256ELj32ELj4EllfEEv20rocsparse_direction_T3_S2_PKS2_S4_NS_24const_host_device_scalarIT4_EEPKT2_S4_PKS6_SA_S4_SC_S7_SA_S4_SC_SA_PS2_PS6_PS8_21rocsparse_index_base_SG_SG_SG_bbb,"axG",@progbits,_ZN9rocsparseL38bsrgemm_block_per_row_atomic_multipassILj256ELj32ELj4EllfEEv20rocsparse_direction_T3_S2_PKS2_S4_NS_24const_host_device_scalarIT4_EEPKT2_S4_PKS6_SA_S4_SC_S7_SA_S4_SC_SA_PS2_PS6_PS8_21rocsparse_index_base_SG_SG_SG_bbb,comdat
	.globl	_ZN9rocsparseL38bsrgemm_block_per_row_atomic_multipassILj256ELj32ELj4EllfEEv20rocsparse_direction_T3_S2_PKS2_S4_NS_24const_host_device_scalarIT4_EEPKT2_S4_PKS6_SA_S4_SC_S7_SA_S4_SC_SA_PS2_PS6_PS8_21rocsparse_index_base_SG_SG_SG_bbb ; -- Begin function _ZN9rocsparseL38bsrgemm_block_per_row_atomic_multipassILj256ELj32ELj4EllfEEv20rocsparse_direction_T3_S2_PKS2_S4_NS_24const_host_device_scalarIT4_EEPKT2_S4_PKS6_SA_S4_SC_S7_SA_S4_SC_SA_PS2_PS6_PS8_21rocsparse_index_base_SG_SG_SG_bbb
	.p2align	8
	.type	_ZN9rocsparseL38bsrgemm_block_per_row_atomic_multipassILj256ELj32ELj4EllfEEv20rocsparse_direction_T3_S2_PKS2_S4_NS_24const_host_device_scalarIT4_EEPKT2_S4_PKS6_SA_S4_SC_S7_SA_S4_SC_SA_PS2_PS6_PS8_21rocsparse_index_base_SG_SG_SG_bbb,@function
_ZN9rocsparseL38bsrgemm_block_per_row_atomic_multipassILj256ELj32ELj4EllfEEv20rocsparse_direction_T3_S2_PKS2_S4_NS_24const_host_device_scalarIT4_EEPKT2_S4_PKS6_SA_S4_SC_S7_SA_S4_SC_SA_PS2_PS6_PS8_21rocsparse_index_base_SG_SG_SG_bbb: ; @_ZN9rocsparseL38bsrgemm_block_per_row_atomic_multipassILj256ELj32ELj4EllfEEv20rocsparse_direction_T3_S2_PKS2_S4_NS_24const_host_device_scalarIT4_EEPKT2_S4_PKS6_SA_S4_SC_S7_SA_S4_SC_SA_PS2_PS6_PS8_21rocsparse_index_base_SG_SG_SG_bbb
; %bb.0:
	s_load_dword s7, s[4:5], 0xb0
	s_load_dwordx4 s[44:47], s[4:5], 0xa0
	s_load_dwordx2 s[0:1], s[4:5], 0x28
	s_load_dwordx2 s[8:9], s[4:5], 0x60
	s_waitcnt lgkmcnt(0)
	s_bitcmp1_b32 s7, 0
	s_cselect_b64 s[12:13], -1, 0
	s_bitcmp1_b32 s7, 16
	s_cselect_b64 s[10:11], -1, 0
	s_xor_b64 s[2:3], s[12:13], -1
	s_or_b64 s[2:3], s[2:3], s[10:11]
	s_and_b64 vcc, exec, s[2:3]
	s_cbranch_vccnz .LBB97_2
; %bb.1:
	s_load_dword s0, s[0:1], 0x0
	s_waitcnt lgkmcnt(0)
	v_mov_b32_e32 v32, s0
	s_branch .LBB97_3
.LBB97_2:
	v_mov_b32_e32 v1, s0
	v_cndmask_b32_e64 v32, 0, v1, s[12:13]
.LBB97_3:
	s_load_dwordx2 s[2:3], s[4:5], 0x20
	s_bitcmp1_b32 s7, 8
	s_cselect_b64 s[0:1], -1, 0
	s_xor_b64 s[14:15], s[0:1], -1
	s_or_b64 s[10:11], s[14:15], s[10:11]
	s_mov_b32 s7, 0
	s_and_b64 vcc, exec, s[10:11]
	s_cbranch_vccnz .LBB97_5
; %bb.4:
	s_load_dword s8, s[8:9], 0x0
	s_waitcnt lgkmcnt(0)
	v_mov_b32_e32 v33, s8
	s_load_dwordx2 s[8:9], s[4:5], 0x30
	s_cmp_eq_u64 s[2:3], 0
	s_mov_b64 s[34:35], 0
	s_cbranch_scc0 .LBB97_6
	s_branch .LBB97_7
.LBB97_5:
	v_mov_b32_e32 v1, s8
	v_cndmask_b32_e64 v33, 0, v1, s[0:1]
	s_load_dwordx2 s[8:9], s[4:5], 0x30
	s_waitcnt lgkmcnt(0)
	s_cmp_eq_u64 s[2:3], 0
	s_mov_b64 s[34:35], 0
	s_cbranch_scc1 .LBB97_7
.LBB97_6:
	s_load_dwordx2 s[10:11], s[4:5], 0x18
	s_waitcnt lgkmcnt(0)
	s_load_dwordx2 s[10:11], s[10:11], 0x0
	s_waitcnt lgkmcnt(0)
	s_lshl_b64 s[10:11], s[10:11], 3
	s_add_u32 s10, s2, s10
	s_addc_u32 s11, s3, s11
	s_lshl_b64 s[2:3], s[6:7], 3
	s_add_u32 s2, s10, s2
	s_addc_u32 s3, s11, s3
	s_load_dwordx2 s[6:7], s[2:3], 0x0
.LBB97_7:
	v_cndmask_b32_e64 v1, 0, 1, s[12:13]
	v_cmp_ne_u32_e64 s[2:3], 1, v1
	s_andn2_b64 vcc, exec, s[12:13]
	s_cbranch_vccz .LBB97_10
; %bb.8:
	s_and_b64 vcc, exec, s[2:3]
	s_mov_b64 s[56:57], 0
	s_cbranch_vccz .LBB97_11
.LBB97_9:
	s_load_dwordx4 s[48:51], s[4:5], 0x8
	s_waitcnt lgkmcnt(0)
	v_cmp_lt_i64_e64 s[2:3], s[48:49], 1
	s_and_b64 vcc, exec, s[2:3]
	s_cbranch_vccz .LBB97_12
	s_branch .LBB97_97
.LBB97_10:
	s_waitcnt lgkmcnt(0)
	s_lshl_b64 s[10:11], s[6:7], 3
	s_add_u32 s10, s8, s10
	s_addc_u32 s11, s9, s11
	s_load_dwordx2 s[10:11], s[10:11], 0x0
	s_waitcnt lgkmcnt(0)
	s_sub_u32 s34, s10, s44
	s_subb_u32 s35, s11, 0
	s_and_b64 vcc, exec, s[2:3]
	s_mov_b64 s[56:57], 0
	s_cbranch_vccnz .LBB97_9
.LBB97_11:
	s_waitcnt lgkmcnt(0)
	s_lshl_b64 s[2:3], s[6:7], 3
	s_add_u32 s2, s8, s2
	s_addc_u32 s3, s9, s3
	s_load_dwordx2 s[2:3], s[2:3], 0x8
	s_waitcnt lgkmcnt(0)
	s_sub_u32 s56, s2, s44
	s_subb_u32 s57, s3, 0
	s_load_dwordx4 s[48:51], s[4:5], 0x8
	s_waitcnt lgkmcnt(0)
	v_cmp_lt_i64_e64 s[2:3], s[48:49], 1
	s_and_b64 vcc, exec, s[2:3]
	s_cbranch_vccnz .LBB97_97
.LBB97_12:
	s_load_dwordx2 s[58:59], s[4:5], 0x98
	s_load_dwordx4 s[52:55], s[4:5], 0x88
	s_load_dwordx8 s[24:31], s[4:5], 0x68
	s_load_dwordx2 s[60:61], s[4:5], 0x58
	s_load_dwordx8 s[36:43], s[4:5], 0x38
	s_lshl_b64 s[10:11], s[6:7], 3
	s_mul_i32 s8, s50, s51
	s_waitcnt lgkmcnt(0)
	s_add_u32 s2, s30, s10
	s_addc_u32 s3, s31, s11
	s_load_dwordx2 s[2:3], s[2:3], 0x0
	s_mul_hi_u32 s9, s50, s50
	v_bfe_u32 v8, v0, 2, 2
	v_pk_mov_b32 v[6:7], s[56:57], s[56:57] op_sel:[0,1]
	v_cmp_lt_i64_e32 vcc, s[34:35], v[6:7]
	s_waitcnt lgkmcnt(0)
	s_sub_u32 s22, s2, s46
	s_subb_u32 s23, s3, 0
	s_add_i32 s9, s9, s8
	s_add_i32 s63, s9, s8
	v_mad_u64_u32 v[6:7], s[8:9], v8, s50, 0
	v_mov_b32_e32 v10, v7
	v_mad_u64_u32 v[10:11], s[8:9], v8, s51, v[10:11]
	v_mov_b32_e32 v7, v10
	v_lshlrev_b64 v[10:11], 2, v[6:7]
	v_and_b32_e32 v4, 3, v0
	v_mov_b32_e32 v6, s39
	v_add_co_u32_e64 v12, s[8:9], s38, v10
	v_addc_co_u32_e64 v13, s[8:9], v6, v11, s[8:9]
	v_lshlrev_b32_e32 v6, 2, v4
	v_mov_b32_e32 v3, 0
	v_add_co_u32_e64 v36, s[8:9], v12, v6
	v_mov_b32_e32 v5, v3
	v_mov_b32_e32 v9, v3
	v_addc_co_u32_e64 v37, s[8:9], 0, v13, s[8:9]
	v_cmp_gt_i64_e64 s[16:17], s[50:51], v[4:5]
	v_cmp_gt_i64_e64 s[8:9], s[50:51], v[8:9]
	s_and_b64 s[38:39], s[16:17], s[8:9]
	v_mad_u64_u32 v[12:13], s[8:9], v4, s50, 0
	v_mov_b32_e32 v14, v13
	v_mad_u64_u32 v[14:15], s[8:9], v4, s51, v[14:15]
	v_mov_b32_e32 v13, v14
	v_lshlrev_b64 v[12:13], 2, v[12:13]
	v_mov_b32_e32 v5, s29
	v_add_co_u32_e64 v14, s[8:9], s28, v12
	s_load_dword s18, s[4:5], 0x0
	v_cmp_gt_u64_e64 s[14:15], s[50:51], v[8:9]
	v_addc_co_u32_e64 v15, s[8:9], v5, v13, s[8:9]
	v_lshlrev_b64 v[8:9], 2, v[8:9]
	v_add_co_u32_e64 v14, s[8:9], v14, v8
	v_addc_co_u32_e64 v15, s[8:9], v15, v9, s[8:9]
	v_add_co_u32_e64 v16, s[8:9], s28, v10
	v_addc_co_u32_e64 v5, s[8:9], v5, v11, s[8:9]
	s_waitcnt lgkmcnt(0)
	s_cmp_eq_u32 s18, 0
	v_add_co_u32_e64 v16, s[8:9], v16, v6
	v_lshrrev_b32_e32 v2, 4, v0
	v_addc_co_u32_e64 v5, s[8:9], 0, v5, s[8:9]
	s_cselect_b64 s[20:21], -1, 0
	s_cmp_lg_u32 s18, 0
	s_movk_i32 s4, 0x200
	s_cselect_b64 s[64:65], -1, 0
	s_add_u32 s66, s24, s10
	v_subrev_co_u32_e64 v39, s[8:9], s47, v2
	v_and_b32_e32 v17, 31, v0
	v_and_b32_e32 v1, 15, v0
	v_cmp_gt_u32_e64 s[2:3], 32, v0
	v_cmp_gt_u32_e64 s[4:5], s4, v0
	v_cmp_eq_u32_e64 s[6:7], 0, v0
	v_lshlrev_b32_e32 v34, 2, v0
	v_and_b32_e32 v38, 12, v0
	s_addc_u32 s67, s25, s11
	v_subb_co_u32_e64 v40, s[8:9], 0, 0, s[8:9]
	v_add_co_u32_e64 v0, s[10:11], -1, v17
	v_mov_b32_e32 v19, 0xc00
	v_cmp_eq_u32_e64 s[8:9], 15, v1
	v_lshl_add_u32 v42, v0, 2, v19
	v_mov_b32_e32 v0, s55
	v_add_co_u32_e64 v1, s[18:19], s54, v12
	v_addc_co_u32_e64 v12, s[18:19], v0, v13, s[18:19]
	v_add_co_u32_e64 v8, s[18:19], v1, v8
	v_addc_co_u32_e64 v9, s[18:19], v12, v9, s[18:19]
	;; [unrolled: 2-line block ×4, first 2 shown]
	s_and_b64 s[54:55], s[12:13], vcc
	s_and_b64 s[68:69], s[16:17], s[14:15]
	s_mov_b32 s89, s47
	s_add_u32 s47, s40, 8
	v_cndmask_b32_e64 v1, v15, v5, s[20:21]
	v_cndmask_b32_e64 v5, v9, v11, s[20:21]
	;; [unrolled: 1-line block ×3, first 2 shown]
	v_mov_b32_e32 v9, s61
	v_add_co_u32_e32 v10, vcc, s60, v6
	s_movk_i32 s30, 0x800
	s_addc_u32 s91, s41, 0
	v_addc_co_u32_e32 v11, vcc, 0, v9, vcc
	v_lshlrev_b32_e32 v9, 6, v2
	s_mov_b32 s33, 0
	s_mul_i32 s62, s50, s50
	v_lshlrev_b32_e32 v18, 2, v17
	s_add_u32 s92, s52, -8
	v_cndmask_b32_e64 v0, v14, v16, s[20:21]
	v_add_co_u32_e32 v47, vcc, 16, v39
	v_or3_b32 v50, v9, v38, s30
	v_and_b32_e32 v9, 0x3f0, v34
	v_mov_b32_e32 v14, 32
	v_or_b32_e32 v35, 0x800, v34
	v_mov_b32_e32 v7, v3
	s_mov_b32 s88, s33
	s_mov_b32 s90, s33
	v_or_b32_e32 v41, 0xc00, v18
	v_or_b32_e32 v43, 0xc00, v34
	v_cmp_ne_u32_e64 s[12:13], 0, v17
	v_cmp_lt_u32_e64 s[14:15], 1, v17
	v_add_u32_e32 v44, 0xbf8, v18
	s_addc_u32 s93, s53, -1
	v_cmp_lt_u32_e64 s[16:17], 3, v17
	v_add_u32_e32 v45, 0xbf0, v18
	v_cmp_lt_u32_e64 s[18:19], 7, v17
	v_add_u32_e32 v46, 0xbe0, v18
	v_addc_co_u32_e32 v48, vcc, 0, v40, vcc
	v_cmp_lt_u32_e64 s[20:21], 15, v17
	v_add_u32_e32 v49, 0xbc0, v18
	v_pk_mov_b32 v[12:13], s[22:23], s[22:23] op_sel:[0,1]
	s_lshl_b64 s[52:53], s[50:51], 2
	v_or_b32_e32 v51, 0x800, v9
	v_lshl_or_b32 v52, v2, 2, v19
	v_mov_b32_e32 v15, 0
	v_mov_b32_e32 v53, 1
	s_lshl_b64 s[70:71], s[62:63], 2
	s_lshl_b64 s[72:73], s[62:63], 6
	s_mov_b64 s[74:75], 0
	s_branch .LBB97_14
.LBB97_13:                              ;   in Loop: Header=BB97_14 Depth=1
	s_or_b64 exec, exec, s[22:23]
	s_barrier
	ds_read_b64 v[18:19], v3 offset:3200
	v_ashrrev_i32_e32 v9, 31, v17
	v_add_co_u32_e32 v12, vcc, v12, v17
	v_addc_co_u32_e32 v13, vcc, v13, v9, vcc
	s_waitcnt lgkmcnt(0)
	v_add_co_u32_e32 v14, vcc, 32, v18
	v_addc_co_u32_e32 v15, vcc, 0, v19, vcc
	v_cmp_le_i64_e32 vcc, s[48:49], v[18:19]
	v_readfirstlane_b32 s74, v18
	v_readfirstlane_b32 s75, v19
	s_barrier
	s_cbranch_vccnz .LBB97_97
.LBB97_14:                              ; =>This Loop Header: Depth=1
                                        ;     Child Loop BB97_19 Depth 2
                                        ;     Child Loop BB97_28 Depth 2
                                        ;       Child Loop BB97_43 Depth 3
                                        ;         Child Loop BB97_55 Depth 4
                                        ;         Child Loop BB97_51 Depth 4
                                        ;     Child Loop BB97_65 Depth 2
                                        ;     Child Loop BB97_74 Depth 2
                                        ;     Child Loop BB97_94 Depth 2
	s_and_saveexec_b64 s[22:23], s[2:3]
	s_cbranch_execz .LBB97_16
; %bb.15:                               ;   in Loop: Header=BB97_14 Depth=1
	ds_write_b32 v43, v3
.LBB97_16:                              ;   in Loop: Header=BB97_14 Depth=1
	s_or_b64 exec, exec, s[22:23]
	s_and_saveexec_b64 s[22:23], s[4:5]
	s_cbranch_execz .LBB97_23
; %bb.17:                               ;   in Loop: Header=BB97_14 Depth=1
	s_mov_b32 s76, 0
	s_mov_b64 s[24:25], 0
	v_mov_b32_e32 v9, v34
	s_branch .LBB97_19
.LBB97_18:                              ;   in Loop: Header=BB97_19 Depth=2
	s_or_b64 exec, exec, s[30:31]
	s_add_i32 s76, s76, 2
	v_cmp_eq_u32_e64 s[28:29], 2, s76
	s_or_b64 s[24:25], s[28:29], s[24:25]
	v_add_u32_e32 v9, 0x800, v9
	s_andn2_b64 exec, exec, s[24:25]
	s_cbranch_execz .LBB97_23
.LBB97_19:                              ;   Parent Loop BB97_14 Depth=1
                                        ; =>  This Inner Loop Header: Depth=2
	s_or_b32 s28, s76, 1
	v_cmp_le_u32_e64 s[28:29], s28, 1
	v_cmp_le_u32_e64 s[78:79], s76, 1
	s_and_saveexec_b64 s[30:31], s[78:79]
	s_cbranch_execz .LBB97_21
; %bb.20:                               ;   in Loop: Header=BB97_19 Depth=2
	ds_write_b32 v9, v3
.LBB97_21:                              ;   in Loop: Header=BB97_19 Depth=2
	s_or_b64 exec, exec, s[30:31]
	s_and_saveexec_b64 s[30:31], s[28:29]
	s_cbranch_execz .LBB97_18
; %bb.22:                               ;   in Loop: Header=BB97_19 Depth=2
	ds_write_b32 v9, v3 offset:1024
	s_branch .LBB97_18
.LBB97_23:                              ;   in Loop: Header=BB97_14 Depth=1
	s_or_b64 exec, exec, s[22:23]
	s_and_saveexec_b64 s[22:23], s[6:7]
	s_cbranch_execz .LBB97_25
; %bb.24:                               ;   in Loop: Header=BB97_14 Depth=1
	v_pk_mov_b32 v[16:17], s[48:49], s[48:49] op_sel:[0,1]
	ds_write_b64 v3, v[16:17] offset:3200
.LBB97_25:                              ;   in Loop: Header=BB97_14 Depth=1
	s_or_b64 exec, exec, s[22:23]
	s_andn2_b64 vcc, exec, s[54:55]
	v_pk_mov_b32 v[16:17], s[48:49], s[48:49] op_sel:[0,1]
	s_waitcnt lgkmcnt(0)
	s_barrier
	s_cbranch_vccnz .LBB97_60
; %bb.26:                               ;   in Loop: Header=BB97_14 Depth=1
	s_cmp_lg_u64 s[74:75], 0
	s_cselect_b64 s[28:29], -1, 0
	v_pk_mov_b32 v[16:17], s[48:49], s[48:49] op_sel:[0,1]
	s_mov_b64 s[30:31], s[34:35]
	s_branch .LBB97_28
.LBB97_27:                              ;   in Loop: Header=BB97_28 Depth=2
	s_or_b64 exec, exec, s[24:25]
	s_add_u32 s30, s30, 16
	s_addc_u32 s31, s31, 0
	v_pk_mov_b32 v[18:19], s[56:57], s[56:57] op_sel:[0,1]
	v_cmp_lt_i64_e32 vcc, s[30:31], v[18:19]
	s_cbranch_vccz .LBB97_60
.LBB97_28:                              ;   Parent Loop BB97_14 Depth=1
                                        ; =>  This Loop Header: Depth=2
                                        ;       Child Loop BB97_43 Depth 3
                                        ;         Child Loop BB97_55 Depth 4
                                        ;         Child Loop BB97_51 Depth 4
	v_mov_b32_e32 v9, s31
	v_add_co_u32_e32 v18, vcc, s30, v2
	v_addc_co_u32_e32 v19, vcc, 0, v9, vcc
	v_cmp_gt_i64_e64 s[22:23], s[56:57], v[18:19]
	s_barrier
	s_and_saveexec_b64 s[24:25], s[22:23]
	s_cbranch_execz .LBB97_32
; %bb.29:                               ;   in Loop: Header=BB97_28 Depth=2
	v_mov_b32_e32 v9, 0
	s_and_saveexec_b64 s[76:77], s[68:69]
	s_cbranch_execz .LBB97_31
; %bb.30:                               ;   in Loop: Header=BB97_28 Depth=2
	v_mul_lo_u32 v9, v19, s62
	v_mul_lo_u32 v22, v18, s63
	v_mad_u64_u32 v[20:21], s[78:79], v18, s62, 0
	v_add3_u32 v21, v21, v22, v9
	v_lshlrev_b64 v[20:21], 2, v[20:21]
	v_add_co_u32_e32 v20, vcc, v36, v20
	v_addc_co_u32_e32 v21, vcc, v37, v21, vcc
	global_load_dword v9, v[20:21], off
.LBB97_31:                              ;   in Loop: Header=BB97_28 Depth=2
	s_or_b64 exec, exec, s[76:77]
	s_waitcnt vmcnt(0)
	ds_write_b32 v35, v9
.LBB97_32:                              ;   in Loop: Header=BB97_28 Depth=2
	s_or_b64 exec, exec, s[24:25]
	v_pk_mov_b32 v[20:21], 0, 0
	v_lshlrev_b64 v[18:19], 3, v[18:19]
	s_waitcnt lgkmcnt(0)
	s_barrier
	s_and_saveexec_b64 s[76:77], s[22:23]
	s_cbranch_execz .LBB97_58
; %bb.33:                               ;   in Loop: Header=BB97_28 Depth=2
	v_mov_b32_e32 v9, s37
	v_add_co_u32_e32 v20, vcc, s36, v18
	v_addc_co_u32_e32 v21, vcc, v9, v19, vcc
	global_load_dwordx2 v[22:23], v[20:21], off
	s_and_b64 vcc, exec, s[28:29]
	s_cbranch_vccz .LBB97_35
; %bb.34:                               ;   in Loop: Header=BB97_28 Depth=2
	v_mov_b32_e32 v9, s59
	v_add_co_u32_e32 v20, vcc, s58, v18
	v_addc_co_u32_e32 v21, vcc, v9, v19, vcc
	global_load_dwordx2 v[20:21], v[20:21], off
	s_mov_b64 s[24:25], 0
	s_branch .LBB97_36
.LBB97_35:                              ;   in Loop: Header=BB97_28 Depth=2
	s_mov_b64 s[24:25], -1
                                        ; implicit-def: $vgpr20_vgpr21
.LBB97_36:                              ;   in Loop: Header=BB97_28 Depth=2
	v_mov_b32_e32 v9, s88
	s_waitcnt vmcnt(0)
	v_subrev_co_u32_e32 v22, vcc, s44, v22
	v_subb_co_u32_e32 v23, vcc, v23, v9, vcc
	s_andn2_b64 vcc, exec, s[24:25]
	v_lshlrev_b64 v[22:23], 3, v[22:23]
	s_cbranch_vccnz .LBB97_38
; %bb.37:                               ;   in Loop: Header=BB97_28 Depth=2
	v_mov_b32_e32 v9, s41
	v_add_co_u32_e32 v20, vcc, s40, v22
	v_addc_co_u32_e32 v21, vcc, v9, v23, vcc
	global_load_dwordx2 v[20:21], v[20:21], off
	v_mov_b32_e32 v9, s33
	s_waitcnt vmcnt(0)
	v_subrev_co_u32_e32 v20, vcc, s45, v20
	v_subb_co_u32_e32 v21, vcc, v21, v9, vcc
.LBB97_38:                              ;   in Loop: Header=BB97_28 Depth=2
	v_mov_b32_e32 v9, s91
	v_add_co_u32_e32 v22, vcc, s47, v22
	v_addc_co_u32_e32 v23, vcc, v9, v23, vcc
	global_load_dwordx2 v[22:23], v[22:23], off
	v_mov_b32_e32 v9, s33
	s_waitcnt vmcnt(0)
	v_subrev_co_u32_e32 v22, vcc, s45, v22
	v_subb_co_u32_e32 v23, vcc, v23, v9, vcc
	v_cmp_lt_i64_e32 vcc, v[20:21], v[22:23]
	s_and_saveexec_b64 s[78:79], vcc
	s_cbranch_execz .LBB97_57
; %bb.39:                               ;   in Loop: Header=BB97_28 Depth=2
	v_mad_u64_u32 v[24:25], s[24:25], s52, v20, v[6:7]
	v_mul_lo_u32 v9, s52, v21
	v_mul_lo_u32 v26, s53, v20
	v_add3_u32 v9, v26, v25, v9
	v_pk_mov_b32 v[26:27], s[60:61], s[60:61] op_sel:[0,1]
	v_mul_lo_u32 v28, s51, v24
	v_mul_lo_u32 v9, s50, v9
	v_mad_u64_u32 v[24:25], s[24:25], s50, v24, v[26:27]
	v_add3_u32 v25, v28, v25, v9
	v_mad_u64_u32 v[26:27], s[24:25], s70, v20, v[10:11]
	v_mul_lo_u32 v9, s70, v21
	v_mul_lo_u32 v28, s71, v20
	v_add3_u32 v27, v28, v27, v9
	s_mov_b64 s[80:81], 0
	v_pk_mov_b32 v[28:29], v[20:21], v[20:21] op_sel:[0,1]
	s_branch .LBB97_43
.LBB97_40:                              ;   in Loop: Header=BB97_43 Depth=3
	v_lshlrev_b32_e32 v9, 4, v9
	v_or3_b32 v9, v9, v38, v4
	v_lshlrev_b32_e32 v9, 2, v9
	v_mul_f32_e32 v30, v32, v54
	ds_add_f32 v9, v30
.LBB97_41:                              ;   in Loop: Header=BB97_43 Depth=3
	s_or_b64 exec, exec, s[84:85]
	s_or_b64 s[24:25], s[24:25], exec
.LBB97_42:                              ;   in Loop: Header=BB97_43 Depth=3
	s_or_b64 exec, exec, s[82:83]
	v_add_co_u32_e32 v20, vcc, 1, v20
	v_addc_co_u32_e32 v21, vcc, 0, v21, vcc
	v_cmp_ge_i64_e32 vcc, v[20:21], v[22:23]
	s_xor_b64 s[24:25], s[24:25], -1
	s_or_b64 s[24:25], s[24:25], vcc
	v_mov_b32_e32 v9, s71
	v_add_co_u32_e32 v24, vcc, s70, v24
	v_addc_co_u32_e32 v25, vcc, v25, v9, vcc
	s_and_b64 s[24:25], exec, s[24:25]
	v_add_co_u32_e32 v26, vcc, s70, v26
	s_or_b64 s[80:81], s[24:25], s[80:81]
	v_addc_co_u32_e32 v27, vcc, v27, v9, vcc
	s_andn2_b64 exec, exec, s[80:81]
	s_cbranch_execz .LBB97_56
.LBB97_43:                              ;   Parent Loop BB97_14 Depth=1
                                        ;     Parent Loop BB97_28 Depth=2
                                        ; =>    This Loop Header: Depth=3
                                        ;         Child Loop BB97_55 Depth 4
                                        ;         Child Loop BB97_51 Depth 4
	v_lshlrev_b64 v[30:31], 3, v[20:21]
	v_mov_b32_e32 v9, s43
	v_add_co_u32_e32 v30, vcc, s42, v30
	v_addc_co_u32_e32 v31, vcc, v9, v31, vcc
	global_load_dwordx2 v[30:31], v[30:31], off
	v_mov_b32_e32 v9, s33
	s_waitcnt vmcnt(0)
	v_subrev_co_u32_e32 v30, vcc, s45, v30
	v_subb_co_u32_e32 v31, vcc, v31, v9, vcc
	v_cmp_gt_i64_e64 s[24:25], s[74:75], v[30:31]
	v_cmp_ge_i64_e32 vcc, v[30:31], v[14:15]
	s_or_b64 s[82:83], s[24:25], vcc
                                        ; implicit-def: $sgpr24_sgpr25
	s_and_saveexec_b64 s[84:85], s[82:83]
	s_xor_b64 s[82:83], exec, s[84:85]
	s_cbranch_execz .LBB97_47
; %bb.44:                               ;   in Loop: Header=BB97_43 Depth=3
	s_mov_b64 s[24:25], -1
	s_and_saveexec_b64 s[84:85], vcc
; %bb.45:                               ;   in Loop: Header=BB97_43 Depth=3
	v_cmp_lt_i64_e32 vcc, v[30:31], v[16:17]
	v_cndmask_b32_e32 v17, v17, v31, vcc
	v_cndmask_b32_e32 v16, v16, v30, vcc
	s_xor_b64 s[24:25], exec, -1
	v_pk_mov_b32 v[28:29], v[20:21], v[20:21] op_sel:[0,1]
; %bb.46:                               ;   in Loop: Header=BB97_43 Depth=3
	s_or_b64 exec, exec, s[84:85]
	s_and_b64 s[24:25], s[24:25], exec
                                        ; implicit-def: $vgpr30_vgpr31
.LBB97_47:                              ;   in Loop: Header=BB97_43 Depth=3
	s_andn2_saveexec_b64 s[82:83], s[82:83]
	s_cbranch_execz .LBB97_42
; %bb.48:                               ;   in Loop: Header=BB97_43 Depth=3
	v_subrev_u32_e32 v9, s74, v30
	v_lshlrev_b32_e32 v30, 2, v9
	ds_write_b32 v30, v53 offset:3072
	s_and_saveexec_b64 s[84:85], s[38:39]
	s_cbranch_execz .LBB97_41
; %bb.49:                               ;   in Loop: Header=BB97_43 Depth=3
	s_andn2_b64 vcc, exec, s[64:65]
	s_cbranch_vccnz .LBB97_53
; %bb.50:                               ;   in Loop: Header=BB97_43 Depth=3
	v_mov_b32_e32 v54, 0
	v_mov_b32_e32 v55, v50
	s_mov_b64 s[86:87], s[50:51]
	v_pk_mov_b32 v[30:31], v[24:25], v[24:25] op_sel:[0,1]
.LBB97_51:                              ;   Parent Loop BB97_14 Depth=1
                                        ;     Parent Loop BB97_28 Depth=2
                                        ;       Parent Loop BB97_43 Depth=3
                                        ; =>      This Inner Loop Header: Depth=4
	global_load_dword v56, v[30:31], off
	ds_read_b32 v57, v55
	s_add_u32 s86, s86, -1
	v_add_co_u32_e32 v30, vcc, 4, v30
	s_addc_u32 s87, s87, -1
	v_addc_co_u32_e32 v31, vcc, 0, v31, vcc
	v_add_u32_e32 v55, 16, v55
	s_cmp_lg_u64 s[86:87], 0
	s_waitcnt vmcnt(0) lgkmcnt(0)
	v_fmac_f32_e32 v54, v57, v56
	s_cbranch_scc1 .LBB97_51
; %bb.52:                               ;   in Loop: Header=BB97_43 Depth=3
	s_branch .LBB97_40
.LBB97_53:                              ;   in Loop: Header=BB97_43 Depth=3
                                        ; implicit-def: $vgpr54
	s_cbranch_execz .LBB97_40
; %bb.54:                               ;   in Loop: Header=BB97_43 Depth=3
	v_mov_b32_e32 v54, 0
	v_mov_b32_e32 v55, v51
	v_pk_mov_b32 v[30:31], v[26:27], v[26:27] op_sel:[0,1]
	s_mov_b64 s[86:87], s[50:51]
.LBB97_55:                              ;   Parent Loop BB97_14 Depth=1
                                        ;     Parent Loop BB97_28 Depth=2
                                        ;       Parent Loop BB97_43 Depth=3
                                        ; =>      This Inner Loop Header: Depth=4
	global_load_dword v56, v[30:31], off
	ds_read_b32 v57, v55
	s_add_u32 s86, s86, -1
	v_mov_b32_e32 v58, s53
	v_add_co_u32_e32 v30, vcc, s52, v30
	s_addc_u32 s87, s87, -1
	v_add_u32_e32 v55, 4, v55
	v_addc_co_u32_e32 v31, vcc, v31, v58, vcc
	s_cmp_eq_u64 s[86:87], 0
	s_waitcnt vmcnt(0) lgkmcnt(0)
	v_fmac_f32_e32 v54, v57, v56
	s_cbranch_scc0 .LBB97_55
	s_branch .LBB97_40
.LBB97_56:                              ;   in Loop: Header=BB97_28 Depth=2
	s_or_b64 exec, exec, s[80:81]
	v_pk_mov_b32 v[20:21], v[28:29], v[28:29] op_sel:[0,1]
.LBB97_57:                              ;   in Loop: Header=BB97_28 Depth=2
	s_or_b64 exec, exec, s[78:79]
.LBB97_58:                              ;   in Loop: Header=BB97_28 Depth=2
	s_or_b64 exec, exec, s[76:77]
	s_waitcnt lgkmcnt(0)
	s_barrier
	s_and_saveexec_b64 s[24:25], s[22:23]
	s_cbranch_execz .LBB97_27
; %bb.59:                               ;   in Loop: Header=BB97_28 Depth=2
	v_mov_b32_e32 v9, s59
	v_add_co_u32_e32 v18, vcc, s58, v18
	v_addc_co_u32_e32 v19, vcc, v9, v19, vcc
	global_store_dwordx2 v[18:19], v[20:21], off
	s_branch .LBB97_27
.LBB97_60:                              ;   in Loop: Header=BB97_14 Depth=1
	s_andn2_b64 vcc, exec, s[0:1]
	s_cbranch_vccnz .LBB97_72
; %bb.61:                               ;   in Loop: Header=BB97_14 Depth=1
	s_load_dwordx4 s[28:31], s[66:67], 0x0
	s_waitcnt lgkmcnt(0)
	s_sub_u32 s24, s30, s89
	v_mov_b32_e32 v9, s29
	v_add_co_u32_e32 v22, vcc, s28, v39
	s_subb_u32 s25, s31, 0
	v_addc_co_u32_e32 v23, vcc, v9, v40, vcc
	v_cmp_gt_i64_e32 vcc, s[24:25], v[22:23]
	s_and_saveexec_b64 s[30:31], vcc
	s_cbranch_execz .LBB97_71
; %bb.62:                               ;   in Loop: Header=BB97_14 Depth=1
	v_lshlrev_b64 v[18:19], 3, v[22:23]
	v_mov_b32_e32 v9, s27
	v_add_co_u32_e32 v18, vcc, s26, v18
	v_addc_co_u32_e32 v19, vcc, v9, v19, vcc
	v_mad_u64_u32 v[20:21], s[22:23], s70, v22, v[0:1]
	v_mul_lo_u32 v9, s70, v23
	v_mul_lo_u32 v22, s71, v22
	v_add3_u32 v21, v22, v21, v9
	v_mov_b32_e32 v9, s29
	v_add_co_u32_e32 v22, vcc, s28, v47
	v_addc_co_u32_e32 v23, vcc, v48, v9, vcc
	s_mov_b64 s[28:29], 0
	s_branch .LBB97_65
.LBB97_63:                              ;   in Loop: Header=BB97_65 Depth=2
	s_or_b64 exec, exec, s[78:79]
	s_or_b64 s[22:23], s[22:23], exec
.LBB97_64:                              ;   in Loop: Header=BB97_65 Depth=2
	s_or_b64 exec, exec, s[76:77]
	v_cmp_le_i64_e32 vcc, s[24:25], v[22:23]
	s_xor_b64 s[22:23], s[22:23], -1
	s_or_b64 s[22:23], s[22:23], vcc
	v_add_co_u32_e32 v18, vcc, 0x80, v18
	v_addc_co_u32_e32 v19, vcc, 0, v19, vcc
	v_mov_b32_e32 v9, s73
	v_add_co_u32_e32 v20, vcc, s72, v20
	v_addc_co_u32_e32 v21, vcc, v21, v9, vcc
	s_and_b64 s[22:23], exec, s[22:23]
	v_add_co_u32_e32 v22, vcc, 16, v22
	s_or_b64 s[28:29], s[22:23], s[28:29]
	v_addc_co_u32_e32 v23, vcc, 0, v23, vcc
	s_andn2_b64 exec, exec, s[28:29]
	s_cbranch_execz .LBB97_70
.LBB97_65:                              ;   Parent Loop BB97_14 Depth=1
                                        ; =>  This Inner Loop Header: Depth=2
	global_load_dwordx2 v[24:25], v[18:19], off
	v_mov_b32_e32 v9, s90
	s_waitcnt vmcnt(0)
	v_subrev_co_u32_e32 v24, vcc, s89, v24
	v_subb_co_u32_e32 v25, vcc, v25, v9, vcc
	v_cmp_lt_i64_e32 vcc, v[24:25], v[14:15]
	v_cmp_gt_i64_e64 s[22:23], s[74:75], v[24:25]
	s_xor_b64 s[76:77], vcc, -1
	s_or_b64 s[76:77], s[22:23], s[76:77]
                                        ; implicit-def: $sgpr22_sgpr23
	s_and_saveexec_b64 s[78:79], s[76:77]
	s_xor_b64 s[76:77], exec, s[78:79]
; %bb.66:                               ;   in Loop: Header=BB97_65 Depth=2
	v_cmp_lt_i64_e64 s[22:23], v[24:25], v[16:17]
	v_cndmask_b32_e64 v9, v16, v24, s[22:23]
	v_cndmask_b32_e64 v24, v17, v25, s[22:23]
	v_cndmask_b32_e32 v17, v24, v17, vcc
	v_cndmask_b32_e32 v16, v9, v16, vcc
	s_and_b64 s[22:23], vcc, exec
                                        ; implicit-def: $vgpr24
; %bb.67:                               ;   in Loop: Header=BB97_65 Depth=2
	s_andn2_saveexec_b64 s[76:77], s[76:77]
	s_cbranch_execz .LBB97_64
; %bb.68:                               ;   in Loop: Header=BB97_65 Depth=2
	v_subrev_u32_e32 v9, s74, v24
	v_lshlrev_b32_e32 v24, 2, v9
	ds_write_b32 v24, v53 offset:3072
	s_and_saveexec_b64 s[78:79], s[68:69]
	s_cbranch_execz .LBB97_63
; %bb.69:                               ;   in Loop: Header=BB97_65 Depth=2
	global_load_dword v24, v[20:21], off
	v_lshlrev_b32_e32 v9, 4, v9
	v_or3_b32 v9, v9, v38, v4
	v_lshlrev_b32_e32 v9, 2, v9
	s_waitcnt vmcnt(0)
	v_mul_f32_e32 v24, v33, v24
	ds_add_f32 v9, v24
	s_branch .LBB97_63
.LBB97_70:                              ;   in Loop: Header=BB97_14 Depth=1
	s_or_b64 exec, exec, s[28:29]
.LBB97_71:                              ;   in Loop: Header=BB97_14 Depth=1
	s_or_b64 exec, exec, s[30:31]
.LBB97_72:                              ;   in Loop: Header=BB97_14 Depth=1
	s_and_saveexec_b64 s[22:23], s[8:9]
	s_cbranch_execz .LBB97_77
; %bb.73:                               ;   in Loop: Header=BB97_14 Depth=1
	s_mov_b64 s[28:29], exec
	s_mov_b64 s[24:25], -1
.LBB97_74:                              ;   Parent Loop BB97_14 Depth=1
                                        ; =>  This Inner Loop Header: Depth=2
	s_ff1_i32_b64 s76, s[28:29]
	v_readlane_b32 s77, v17, s76
	v_readlane_b32 s78, v16, s76
	v_mov_b32_e32 v14, s78
	v_mov_b32_e32 v15, s77
	v_cmp_lt_u64_e32 vcc, s[24:25], v[14:15]
	s_and_b64 s[30:31], vcc, exec
	s_cselect_b32 s25, s25, s77
	s_cselect_b32 s24, s24, s78
	s_lshl_b64 s[30:31], 1, s76
	s_andn2_b64 s[28:29], s[28:29], s[30:31]
	s_cmp_lg_u64 s[28:29], 0
	s_cbranch_scc1 .LBB97_74
; %bb.75:                               ;   in Loop: Header=BB97_14 Depth=1
	v_mbcnt_lo_u32_b32 v9, exec_lo, 0
	v_mbcnt_hi_u32_b32 v9, exec_hi, v9
	v_cmp_eq_u32_e32 vcc, 0, v9
	s_and_saveexec_b64 s[28:29], vcc
	s_xor_b64 s[28:29], exec, s[28:29]
	s_cbranch_execz .LBB97_77
; %bb.76:                               ;   in Loop: Header=BB97_14 Depth=1
	v_pk_mov_b32 v[14:15], s[24:25], s[24:25] op_sel:[0,1]
	ds_min_u64 v3, v[14:15] offset:3200
.LBB97_77:                              ;   in Loop: Header=BB97_14 Depth=1
	s_or_b64 exec, exec, s[22:23]
	s_waitcnt lgkmcnt(0)
	s_barrier
	ds_read_b32 v9, v41
	s_waitcnt lgkmcnt(0)
	s_barrier
	s_and_saveexec_b64 s[22:23], s[12:13]
	s_cbranch_execz .LBB97_79
; %bb.78:                               ;   in Loop: Header=BB97_14 Depth=1
	ds_read_b32 v14, v42
	s_waitcnt lgkmcnt(0)
	v_add_u32_e32 v9, v14, v9
.LBB97_79:                              ;   in Loop: Header=BB97_14 Depth=1
	s_or_b64 exec, exec, s[22:23]
	s_barrier
	ds_write_b32 v41, v9
	s_waitcnt lgkmcnt(0)
	s_barrier
	s_and_saveexec_b64 s[22:23], s[14:15]
	s_cbranch_execz .LBB97_81
; %bb.80:                               ;   in Loop: Header=BB97_14 Depth=1
	ds_read_b32 v14, v44
	s_waitcnt lgkmcnt(0)
	v_add_u32_e32 v9, v14, v9
.LBB97_81:                              ;   in Loop: Header=BB97_14 Depth=1
	s_or_b64 exec, exec, s[22:23]
	s_barrier
	ds_write_b32 v41, v9
	;; [unrolled: 12-line block ×5, first 2 shown]
	s_waitcnt lgkmcnt(0)
	s_barrier
	ds_read_b32 v17, v3 offset:3196
	v_mov_b32_e32 v14, 0
	s_and_saveexec_b64 s[22:23], s[10:11]
	s_cbranch_execz .LBB97_89
; %bb.88:                               ;   in Loop: Header=BB97_14 Depth=1
	ds_read_b32 v14, v42
.LBB97_89:                              ;   in Loop: Header=BB97_14 Depth=1
	s_or_b64 exec, exec, s[22:23]
	s_waitcnt lgkmcnt(0)
	v_cmp_eq_u32_e32 vcc, v9, v14
	s_and_b64 s[24:25], s[10:11], vcc
	s_barrier
	s_and_saveexec_b64 s[22:23], s[24:25]
	s_cbranch_execz .LBB97_91
; %bb.90:                               ;   in Loop: Header=BB97_14 Depth=1
	ds_write_b32 v41, v3
.LBB97_91:                              ;   in Loop: Header=BB97_14 Depth=1
	s_or_b64 exec, exec, s[22:23]
	s_waitcnt lgkmcnt(0)
	s_barrier
	s_and_saveexec_b64 s[22:23], s[4:5]
	s_cbranch_execz .LBB97_13
; %bb.92:                               ;   in Loop: Header=BB97_14 Depth=1
	v_add_co_u32_e32 v18, vcc, -1, v12
	s_add_u32 s30, s46, s74
	v_addc_co_u32_e32 v19, vcc, -1, v13, vcc
	s_addc_u32 s31, 0, s75
	s_mov_b64 s[24:25], 0
	v_mov_b32_e32 v20, v52
	v_mov_b32_e32 v21, v34
	v_pk_mov_b32 v[14:15], v[2:3], v[2:3] op_sel:[0,1]
	s_branch .LBB97_94
.LBB97_93:                              ;   in Loop: Header=BB97_94 Depth=2
	s_or_b64 exec, exec, s[28:29]
	v_add_co_u32_e32 v14, vcc, 16, v14
	v_addc_co_u32_e32 v15, vcc, 0, v15, vcc
	v_add_u32_e32 v9, -16, v14
	v_cmp_lt_u32_e32 vcc, 15, v9
	v_add_u32_e32 v21, 0x400, v21
	s_or_b64 s[24:25], vcc, s[24:25]
	v_add_u32_e32 v20, 64, v20
	s_andn2_b64 exec, exec, s[24:25]
	s_cbranch_execz .LBB97_13
.LBB97_94:                              ;   Parent Loop BB97_14 Depth=1
                                        ; =>  This Inner Loop Header: Depth=2
	ds_read_b32 v16, v20
	s_waitcnt lgkmcnt(0)
	v_cmp_ne_u32_e32 vcc, 0, v16
	s_and_saveexec_b64 s[28:29], vcc
	s_cbranch_execz .LBB97_93
; %bb.95:                               ;   in Loop: Header=BB97_94 Depth=2
	v_mov_b32_e32 v23, s31
	v_add_co_u32_e32 v22, vcc, s30, v14
	v_addc_co_u32_e32 v23, vcc, v23, v15, vcc
	v_ashrrev_i32_e32 v9, 31, v16
	v_add_co_u32_e32 v24, vcc, v12, v16
	v_addc_co_u32_e32 v25, vcc, v13, v9, vcc
	v_lshlrev_b64 v[24:25], 3, v[24:25]
	v_mov_b32_e32 v26, s93
	v_add_co_u32_e32 v24, vcc, s92, v24
	v_addc_co_u32_e32 v25, vcc, v26, v25, vcc
	global_store_dwordx2 v[24:25], v[22:23], off
	s_and_b64 exec, exec, s[68:69]
	s_cbranch_execz .LBB97_93
; %bb.96:                               ;   in Loop: Header=BB97_94 Depth=2
	v_add_co_u32_e32 v16, vcc, v18, v16
	v_addc_co_u32_e32 v9, vcc, v19, v9, vcc
	ds_read_b32 v24, v21
	v_mul_lo_u32 v9, v9, s62
	v_mul_lo_u32 v25, v16, s63
	v_mad_u64_u32 v[22:23], s[74:75], v16, s62, 0
	v_add3_u32 v23, v23, v25, v9
	v_lshlrev_b64 v[22:23], 2, v[22:23]
	v_add_co_u32_e32 v22, vcc, v8, v22
	v_addc_co_u32_e32 v23, vcc, v5, v23, vcc
	s_waitcnt lgkmcnt(0)
	global_store_dword v[22:23], v24, off
	s_branch .LBB97_93
.LBB97_97:
	s_endpgm
	.section	.rodata,"a",@progbits
	.p2align	6, 0x0
	.amdhsa_kernel _ZN9rocsparseL38bsrgemm_block_per_row_atomic_multipassILj256ELj32ELj4EllfEEv20rocsparse_direction_T3_S2_PKS2_S4_NS_24const_host_device_scalarIT4_EEPKT2_S4_PKS6_SA_S4_SC_S7_SA_S4_SC_SA_PS2_PS6_PS8_21rocsparse_index_base_SG_SG_SG_bbb
		.amdhsa_group_segment_fixed_size 3208
		.amdhsa_private_segment_fixed_size 0
		.amdhsa_kernarg_size 180
		.amdhsa_user_sgpr_count 6
		.amdhsa_user_sgpr_private_segment_buffer 1
		.amdhsa_user_sgpr_dispatch_ptr 0
		.amdhsa_user_sgpr_queue_ptr 0
		.amdhsa_user_sgpr_kernarg_segment_ptr 1
		.amdhsa_user_sgpr_dispatch_id 0
		.amdhsa_user_sgpr_flat_scratch_init 0
		.amdhsa_user_sgpr_kernarg_preload_length 0
		.amdhsa_user_sgpr_kernarg_preload_offset 0
		.amdhsa_user_sgpr_private_segment_size 0
		.amdhsa_uses_dynamic_stack 0
		.amdhsa_system_sgpr_private_segment_wavefront_offset 0
		.amdhsa_system_sgpr_workgroup_id_x 1
		.amdhsa_system_sgpr_workgroup_id_y 0
		.amdhsa_system_sgpr_workgroup_id_z 0
		.amdhsa_system_sgpr_workgroup_info 0
		.amdhsa_system_vgpr_workitem_id 0
		.amdhsa_next_free_vgpr 59
		.amdhsa_next_free_sgpr 94
		.amdhsa_accum_offset 60
		.amdhsa_reserve_vcc 1
		.amdhsa_reserve_flat_scratch 0
		.amdhsa_float_round_mode_32 0
		.amdhsa_float_round_mode_16_64 0
		.amdhsa_float_denorm_mode_32 3
		.amdhsa_float_denorm_mode_16_64 3
		.amdhsa_dx10_clamp 1
		.amdhsa_ieee_mode 1
		.amdhsa_fp16_overflow 0
		.amdhsa_tg_split 0
		.amdhsa_exception_fp_ieee_invalid_op 0
		.amdhsa_exception_fp_denorm_src 0
		.amdhsa_exception_fp_ieee_div_zero 0
		.amdhsa_exception_fp_ieee_overflow 0
		.amdhsa_exception_fp_ieee_underflow 0
		.amdhsa_exception_fp_ieee_inexact 0
		.amdhsa_exception_int_div_zero 0
	.end_amdhsa_kernel
	.section	.text._ZN9rocsparseL38bsrgemm_block_per_row_atomic_multipassILj256ELj32ELj4EllfEEv20rocsparse_direction_T3_S2_PKS2_S4_NS_24const_host_device_scalarIT4_EEPKT2_S4_PKS6_SA_S4_SC_S7_SA_S4_SC_SA_PS2_PS6_PS8_21rocsparse_index_base_SG_SG_SG_bbb,"axG",@progbits,_ZN9rocsparseL38bsrgemm_block_per_row_atomic_multipassILj256ELj32ELj4EllfEEv20rocsparse_direction_T3_S2_PKS2_S4_NS_24const_host_device_scalarIT4_EEPKT2_S4_PKS6_SA_S4_SC_S7_SA_S4_SC_SA_PS2_PS6_PS8_21rocsparse_index_base_SG_SG_SG_bbb,comdat
.Lfunc_end97:
	.size	_ZN9rocsparseL38bsrgemm_block_per_row_atomic_multipassILj256ELj32ELj4EllfEEv20rocsparse_direction_T3_S2_PKS2_S4_NS_24const_host_device_scalarIT4_EEPKT2_S4_PKS6_SA_S4_SC_S7_SA_S4_SC_SA_PS2_PS6_PS8_21rocsparse_index_base_SG_SG_SG_bbb, .Lfunc_end97-_ZN9rocsparseL38bsrgemm_block_per_row_atomic_multipassILj256ELj32ELj4EllfEEv20rocsparse_direction_T3_S2_PKS2_S4_NS_24const_host_device_scalarIT4_EEPKT2_S4_PKS6_SA_S4_SC_S7_SA_S4_SC_SA_PS2_PS6_PS8_21rocsparse_index_base_SG_SG_SG_bbb
                                        ; -- End function
	.section	.AMDGPU.csdata,"",@progbits
; Kernel info:
; codeLenInByte = 3584
; NumSgprs: 98
; NumVgprs: 59
; NumAgprs: 0
; TotalNumVgprs: 59
; ScratchSize: 0
; MemoryBound: 0
; FloatMode: 240
; IeeeMode: 1
; LDSByteSize: 3208 bytes/workgroup (compile time only)
; SGPRBlocks: 12
; VGPRBlocks: 7
; NumSGPRsForWavesPerEU: 98
; NumVGPRsForWavesPerEU: 59
; AccumOffset: 60
; Occupancy: 8
; WaveLimiterHint : 1
; COMPUTE_PGM_RSRC2:SCRATCH_EN: 0
; COMPUTE_PGM_RSRC2:USER_SGPR: 6
; COMPUTE_PGM_RSRC2:TRAP_HANDLER: 0
; COMPUTE_PGM_RSRC2:TGID_X_EN: 1
; COMPUTE_PGM_RSRC2:TGID_Y_EN: 0
; COMPUTE_PGM_RSRC2:TGID_Z_EN: 0
; COMPUTE_PGM_RSRC2:TIDIG_COMP_CNT: 0
; COMPUTE_PGM_RSRC3_GFX90A:ACCUM_OFFSET: 14
; COMPUTE_PGM_RSRC3_GFX90A:TG_SPLIT: 0
	.section	.text._ZN9rocsparseL38bsrgemm_block_per_row_atomic_multipassILj256ELj64ELj4EllfEEv20rocsparse_direction_T3_S2_PKS2_S4_NS_24const_host_device_scalarIT4_EEPKT2_S4_PKS6_SA_S4_SC_S7_SA_S4_SC_SA_PS2_PS6_PS8_21rocsparse_index_base_SG_SG_SG_bbb,"axG",@progbits,_ZN9rocsparseL38bsrgemm_block_per_row_atomic_multipassILj256ELj64ELj4EllfEEv20rocsparse_direction_T3_S2_PKS2_S4_NS_24const_host_device_scalarIT4_EEPKT2_S4_PKS6_SA_S4_SC_S7_SA_S4_SC_SA_PS2_PS6_PS8_21rocsparse_index_base_SG_SG_SG_bbb,comdat
	.globl	_ZN9rocsparseL38bsrgemm_block_per_row_atomic_multipassILj256ELj64ELj4EllfEEv20rocsparse_direction_T3_S2_PKS2_S4_NS_24const_host_device_scalarIT4_EEPKT2_S4_PKS6_SA_S4_SC_S7_SA_S4_SC_SA_PS2_PS6_PS8_21rocsparse_index_base_SG_SG_SG_bbb ; -- Begin function _ZN9rocsparseL38bsrgemm_block_per_row_atomic_multipassILj256ELj64ELj4EllfEEv20rocsparse_direction_T3_S2_PKS2_S4_NS_24const_host_device_scalarIT4_EEPKT2_S4_PKS6_SA_S4_SC_S7_SA_S4_SC_SA_PS2_PS6_PS8_21rocsparse_index_base_SG_SG_SG_bbb
	.p2align	8
	.type	_ZN9rocsparseL38bsrgemm_block_per_row_atomic_multipassILj256ELj64ELj4EllfEEv20rocsparse_direction_T3_S2_PKS2_S4_NS_24const_host_device_scalarIT4_EEPKT2_S4_PKS6_SA_S4_SC_S7_SA_S4_SC_SA_PS2_PS6_PS8_21rocsparse_index_base_SG_SG_SG_bbb,@function
_ZN9rocsparseL38bsrgemm_block_per_row_atomic_multipassILj256ELj64ELj4EllfEEv20rocsparse_direction_T3_S2_PKS2_S4_NS_24const_host_device_scalarIT4_EEPKT2_S4_PKS6_SA_S4_SC_S7_SA_S4_SC_SA_PS2_PS6_PS8_21rocsparse_index_base_SG_SG_SG_bbb: ; @_ZN9rocsparseL38bsrgemm_block_per_row_atomic_multipassILj256ELj64ELj4EllfEEv20rocsparse_direction_T3_S2_PKS2_S4_NS_24const_host_device_scalarIT4_EEPKT2_S4_PKS6_SA_S4_SC_S7_SA_S4_SC_SA_PS2_PS6_PS8_21rocsparse_index_base_SG_SG_SG_bbb
; %bb.0:
	s_load_dword s7, s[4:5], 0xb0
	s_load_dwordx4 s[44:47], s[4:5], 0xa0
	s_load_dwordx2 s[0:1], s[4:5], 0x28
	s_load_dwordx2 s[8:9], s[4:5], 0x60
	s_waitcnt lgkmcnt(0)
	s_bitcmp1_b32 s7, 0
	s_cselect_b64 s[10:11], -1, 0
	s_bitcmp1_b32 s7, 16
	s_cselect_b64 s[12:13], -1, 0
	s_xor_b64 s[2:3], s[10:11], -1
	s_or_b64 s[2:3], s[2:3], s[12:13]
	s_and_b64 vcc, exec, s[2:3]
	s_cbranch_vccnz .LBB98_2
; %bb.1:
	s_load_dword s0, s[0:1], 0x0
	s_waitcnt lgkmcnt(0)
	v_mov_b32_e32 v32, s0
	s_branch .LBB98_3
.LBB98_2:
	v_mov_b32_e32 v1, s0
	v_cndmask_b32_e64 v32, 0, v1, s[10:11]
.LBB98_3:
	s_load_dwordx2 s[2:3], s[4:5], 0x20
	s_bitcmp1_b32 s7, 8
	s_cselect_b64 s[0:1], -1, 0
	s_xor_b64 s[14:15], s[0:1], -1
	s_or_b64 s[12:13], s[14:15], s[12:13]
	s_mov_b32 s7, 0
	s_and_b64 vcc, exec, s[12:13]
	s_cbranch_vccnz .LBB98_5
; %bb.4:
	s_load_dword s8, s[8:9], 0x0
	s_waitcnt lgkmcnt(0)
	v_mov_b32_e32 v33, s8
	s_load_dwordx2 s[8:9], s[4:5], 0x30
	s_cmp_eq_u64 s[2:3], 0
	s_mov_b64 s[34:35], 0
	s_cbranch_scc0 .LBB98_6
	s_branch .LBB98_7
.LBB98_5:
	v_mov_b32_e32 v1, s8
	v_cndmask_b32_e64 v33, 0, v1, s[0:1]
	s_load_dwordx2 s[8:9], s[4:5], 0x30
	s_waitcnt lgkmcnt(0)
	s_cmp_eq_u64 s[2:3], 0
	s_mov_b64 s[34:35], 0
	s_cbranch_scc1 .LBB98_7
.LBB98_6:
	s_load_dwordx2 s[12:13], s[4:5], 0x18
	s_waitcnt lgkmcnt(0)
	s_load_dwordx2 s[12:13], s[12:13], 0x0
	s_waitcnt lgkmcnt(0)
	s_lshl_b64 s[12:13], s[12:13], 3
	s_add_u32 s12, s2, s12
	s_addc_u32 s13, s3, s13
	s_lshl_b64 s[2:3], s[6:7], 3
	s_add_u32 s2, s12, s2
	s_addc_u32 s3, s13, s3
	s_load_dwordx2 s[6:7], s[2:3], 0x0
.LBB98_7:
	v_cndmask_b32_e64 v1, 0, 1, s[10:11]
	v_cmp_ne_u32_e64 s[2:3], 1, v1
	s_andn2_b64 vcc, exec, s[10:11]
	s_cbranch_vccz .LBB98_10
; %bb.8:
	s_and_b64 vcc, exec, s[2:3]
	s_mov_b64 s[52:53], 0
	s_cbranch_vccz .LBB98_11
.LBB98_9:
	s_load_dwordx4 s[48:51], s[4:5], 0x8
	s_waitcnt lgkmcnt(0)
	v_cmp_lt_i64_e64 s[2:3], s[48:49], 1
	s_and_b64 vcc, exec, s[2:3]
	s_cbranch_vccz .LBB98_12
	s_branch .LBB98_97
.LBB98_10:
	s_waitcnt lgkmcnt(0)
	s_lshl_b64 s[12:13], s[6:7], 3
	s_add_u32 s12, s8, s12
	s_addc_u32 s13, s9, s13
	s_load_dwordx2 s[12:13], s[12:13], 0x0
	s_waitcnt lgkmcnt(0)
	s_sub_u32 s34, s12, s44
	s_subb_u32 s35, s13, 0
	s_and_b64 vcc, exec, s[2:3]
	s_mov_b64 s[52:53], 0
	s_cbranch_vccnz .LBB98_9
.LBB98_11:
	s_waitcnt lgkmcnt(0)
	s_lshl_b64 s[2:3], s[6:7], 3
	s_add_u32 s2, s8, s2
	s_addc_u32 s3, s9, s3
	s_load_dwordx2 s[2:3], s[2:3], 0x8
	s_waitcnt lgkmcnt(0)
	s_sub_u32 s52, s2, s44
	s_subb_u32 s53, s3, 0
	s_load_dwordx4 s[48:51], s[4:5], 0x8
	s_waitcnt lgkmcnt(0)
	v_cmp_lt_i64_e64 s[2:3], s[48:49], 1
	s_and_b64 vcc, exec, s[2:3]
	s_cbranch_vccnz .LBB98_97
.LBB98_12:
	s_load_dwordx2 s[54:55], s[4:5], 0x98
	s_load_dwordx4 s[16:19], s[4:5], 0x88
	s_load_dwordx8 s[24:31], s[4:5], 0x68
	s_load_dwordx2 s[56:57], s[4:5], 0x58
	s_load_dwordx8 s[36:43], s[4:5], 0x38
	s_lshl_b64 s[8:9], s[6:7], 3
	s_mul_i32 s6, s50, s51
	s_waitcnt lgkmcnt(0)
	s_add_u32 s2, s30, s8
	s_addc_u32 s3, s31, s9
	s_load_dwordx2 s[2:3], s[2:3], 0x0
	s_mul_hi_u32 s7, s50, s50
	v_bfe_u32 v8, v0, 2, 2
	v_pk_mov_b32 v[6:7], s[52:53], s[52:53] op_sel:[0,1]
	v_cmp_lt_i64_e32 vcc, s[34:35], v[6:7]
	s_waitcnt lgkmcnt(0)
	s_sub_u32 s22, s2, s46
	s_subb_u32 s23, s3, 0
	s_add_i32 s7, s7, s6
	s_add_i32 s59, s7, s6
	v_mad_u64_u32 v[6:7], s[6:7], v8, s50, 0
	v_mov_b32_e32 v10, v7
	v_mad_u64_u32 v[10:11], s[6:7], v8, s51, v[10:11]
	v_mov_b32_e32 v7, v10
	v_lshlrev_b64 v[10:11], 2, v[6:7]
	v_and_b32_e32 v4, 3, v0
	v_mov_b32_e32 v6, s39
	v_add_co_u32_e64 v12, s[6:7], s38, v10
	v_addc_co_u32_e64 v13, s[6:7], v6, v11, s[6:7]
	v_lshlrev_b32_e32 v6, 2, v4
	v_mov_b32_e32 v3, 0
	v_add_co_u32_e64 v36, s[6:7], v12, v6
	v_mov_b32_e32 v5, v3
	v_mov_b32_e32 v9, v3
	v_addc_co_u32_e64 v37, s[6:7], 0, v13, s[6:7]
	v_cmp_gt_i64_e64 s[14:15], s[50:51], v[4:5]
	v_cmp_gt_i64_e64 s[6:7], s[50:51], v[8:9]
	s_and_b64 s[38:39], s[14:15], s[6:7]
	v_mad_u64_u32 v[12:13], s[6:7], v4, s50, 0
	v_mov_b32_e32 v14, v13
	v_mad_u64_u32 v[14:15], s[6:7], v4, s51, v[14:15]
	v_mov_b32_e32 v13, v14
	v_lshlrev_b64 v[12:13], 2, v[12:13]
	v_mov_b32_e32 v5, s19
	v_add_co_u32_e64 v14, s[6:7], s18, v12
	v_cmp_gt_u64_e64 s[12:13], s[50:51], v[8:9]
	v_lshlrev_b64 v[8:9], 2, v[8:9]
	v_addc_co_u32_e64 v15, s[6:7], v5, v13, s[6:7]
	v_add_co_u32_e64 v14, s[6:7], v14, v8
	v_addc_co_u32_e64 v15, s[6:7], v15, v9, s[6:7]
	v_add_co_u32_e64 v16, s[6:7], s18, v10
	;; [unrolled: 2-line block ×3, first 2 shown]
	v_lshrrev_b32_e32 v2, 4, v0
	v_addc_co_u32_e64 v5, s[6:7], 0, v5, s[6:7]
	v_subrev_co_u32_e64 v39, s[6:7], s47, v2
	s_load_dword s30, s[4:5], 0x0
	v_subb_co_u32_e64 v40, s[6:7], 0, 0, s[6:7]
	v_mov_b32_e32 v17, s29
	v_add_co_u32_e64 v12, s[6:7], s28, v12
	v_addc_co_u32_e64 v13, s[6:7], v17, v13, s[6:7]
	v_add_co_u32_e64 v8, s[6:7], v12, v8
	v_addc_co_u32_e64 v9, s[6:7], v13, v9, s[6:7]
	s_waitcnt lgkmcnt(0)
	s_cmp_eq_u32 s30, 0
	v_add_co_u32_e64 v10, s[6:7], s28, v10
	s_cselect_b64 s[20:21], -1, 0
	s_cmp_lg_u32 s30, 0
	v_addc_co_u32_e64 v11, s[6:7], v17, v11, s[6:7]
	s_cselect_b64 s[60:61], -1, 0
	s_add_u32 s62, s24, s8
	v_add_co_u32_e64 v10, s[6:7], v10, v6
	v_and_b32_e32 v1, 15, v0
	s_addc_u32 s63, s25, s9
	v_addc_co_u32_e64 v11, s[6:7], 0, v11, s[6:7]
	s_and_b64 s[64:65], s[10:11], vcc
	s_and_b64 s[66:67], s[14:15], s[12:13]
	s_mov_b32 s89, s47
	v_cmp_eq_u32_e64 s[6:7], 15, v1
	v_and_b32_e32 v12, 63, v0
	s_add_u32 s47, s40, 8
	v_cndmask_b32_e64 v1, v15, v5, s[20:21]
	v_cndmask_b32_e64 v8, v8, v10, s[20:21]
	v_mov_b32_e32 v5, s57
	v_add_co_u32_e32 v10, vcc, s56, v6
	v_cmp_gt_u32_e64 s[2:3], 64, v0
	v_cmp_eq_u32_e64 s[4:5], 0, v0
	v_lshlrev_b32_e32 v34, 2, v0
	s_movk_i32 s31, 0x1000
	v_and_b32_e32 v38, 12, v0
	v_add_co_u32_e64 v0, s[8:9], -1, v12
	v_mov_b32_e32 v17, 0x1400
	s_addc_u32 s91, s41, 0
	v_cndmask_b32_e64 v9, v9, v11, s[20:21]
	v_addc_co_u32_e32 v11, vcc, 0, v5, vcc
	v_lshlrev_b32_e32 v5, 6, v2
	s_mov_b32 s33, 0
	s_mul_i32 s58, s50, s50
	v_lshlrev_b32_e32 v13, 2, v12
	v_lshl_add_u32 v42, v0, 2, v17
	s_add_u32 s92, s16, -8
	v_cndmask_b32_e64 v0, v14, v16, s[20:21]
	v_add_co_u32_e32 v48, vcc, 16, v39
	v_or3_b32 v51, v5, v38, s31
	v_and_b32_e32 v5, 0x3f0, v34
	v_mov_b32_e32 v14, 64
	v_or_b32_e32 v35, 0x1000, v34
	v_mov_b32_e32 v7, v3
	s_mov_b32 s88, s33
	s_mov_b32 s90, s33
	v_or_b32_e32 v41, 0x1400, v13
	v_or_b32_e32 v43, 0x1400, v34
	v_cmp_ne_u32_e64 s[10:11], 0, v12
	v_cmp_lt_u32_e64 s[12:13], 1, v12
	v_add_u32_e32 v44, 0x13f8, v13
	v_cmp_lt_u32_e64 s[14:15], 3, v12
	v_add_u32_e32 v45, 0x13f0, v13
	s_addc_u32 s93, s17, -1
	v_cmp_lt_u32_e64 s[16:17], 7, v12
	v_add_u32_e32 v46, 0x13e0, v13
	v_cmp_lt_u32_e64 s[18:19], 15, v12
	v_add_u32_e32 v47, 0x13c0, v13
	v_addc_co_u32_e32 v49, vcc, 0, v40, vcc
	v_cmp_lt_u32_e64 s[20:21], 31, v12
	v_add_u32_e32 v50, 0x1380, v13
	v_pk_mov_b32 v[12:13], s[22:23], s[22:23] op_sel:[0,1]
	s_lshl_b64 s[68:69], s[50:51], 2
	v_or_b32_e32 v52, 0x1000, v5
	v_lshl_or_b32 v53, v2, 2, v17
	v_mov_b32_e32 v15, 0
	v_mov_b32_e32 v54, 1
	s_lshl_b64 s[70:71], s[58:59], 2
	s_lshl_b64 s[72:73], s[58:59], 6
	s_mov_b64 s[74:75], 0
	s_branch .LBB98_14
.LBB98_13:                              ;   in Loop: Header=BB98_14 Depth=1
	s_or_b64 exec, exec, s[22:23]
	s_barrier
	ds_read_b64 v[18:19], v3 offset:5376
	v_ashrrev_i32_e32 v5, 31, v17
	v_add_co_u32_e32 v12, vcc, v12, v17
	v_addc_co_u32_e32 v13, vcc, v13, v5, vcc
	s_waitcnt lgkmcnt(0)
	v_add_co_u32_e32 v14, vcc, 64, v18
	v_addc_co_u32_e32 v15, vcc, 0, v19, vcc
	v_cmp_le_i64_e32 vcc, s[48:49], v[18:19]
	v_readfirstlane_b32 s74, v18
	v_readfirstlane_b32 s75, v19
	s_barrier
	s_cbranch_vccnz .LBB98_97
.LBB98_14:                              ; =>This Loop Header: Depth=1
                                        ;     Child Loop BB98_18 Depth 2
                                        ;     Child Loop BB98_27 Depth 2
                                        ;       Child Loop BB98_42 Depth 3
                                        ;         Child Loop BB98_54 Depth 4
                                        ;         Child Loop BB98_50 Depth 4
                                        ;     Child Loop BB98_64 Depth 2
                                        ;     Child Loop BB98_73 Depth 2
	;; [unrolled: 1-line block ×3, first 2 shown]
	s_and_saveexec_b64 s[22:23], s[2:3]
	s_cbranch_execz .LBB98_16
; %bb.15:                               ;   in Loop: Header=BB98_14 Depth=1
	ds_write_b32 v43, v3
.LBB98_16:                              ;   in Loop: Header=BB98_14 Depth=1
	s_or_b64 exec, exec, s[22:23]
	s_mov_b32 s30, 0
	s_mov_b64 s[22:23], 0
	v_mov_b32_e32 v5, v34
	s_branch .LBB98_18
.LBB98_17:                              ;   in Loop: Header=BB98_18 Depth=2
	s_or_b64 exec, exec, s[28:29]
	s_add_i32 s30, s30, 2
	v_cmp_eq_u32_e64 s[24:25], 4, s30
	s_or_b64 s[22:23], s[24:25], s[22:23]
	v_add_u32_e32 v5, 0x800, v5
	s_andn2_b64 exec, exec, s[22:23]
	s_cbranch_execz .LBB98_22
.LBB98_18:                              ;   Parent Loop BB98_14 Depth=1
                                        ; =>  This Inner Loop Header: Depth=2
	s_or_b32 s24, s30, 1
	v_cmp_le_u32_e64 s[24:25], s24, 3
	v_cmp_le_u32_e64 s[76:77], s30, 3
	s_and_saveexec_b64 s[28:29], s[76:77]
	s_cbranch_execz .LBB98_20
; %bb.19:                               ;   in Loop: Header=BB98_18 Depth=2
	ds_write_b32 v5, v3
.LBB98_20:                              ;   in Loop: Header=BB98_18 Depth=2
	s_or_b64 exec, exec, s[28:29]
	s_and_saveexec_b64 s[28:29], s[24:25]
	s_cbranch_execz .LBB98_17
; %bb.21:                               ;   in Loop: Header=BB98_18 Depth=2
	ds_write_b32 v5, v3 offset:1024
	s_branch .LBB98_17
.LBB98_22:                              ;   in Loop: Header=BB98_14 Depth=1
	s_or_b64 exec, exec, s[22:23]
	s_and_saveexec_b64 s[22:23], s[4:5]
	s_cbranch_execz .LBB98_24
; %bb.23:                               ;   in Loop: Header=BB98_14 Depth=1
	v_pk_mov_b32 v[16:17], s[48:49], s[48:49] op_sel:[0,1]
	ds_write_b64 v3, v[16:17] offset:5376
.LBB98_24:                              ;   in Loop: Header=BB98_14 Depth=1
	s_or_b64 exec, exec, s[22:23]
	s_andn2_b64 vcc, exec, s[64:65]
	v_pk_mov_b32 v[16:17], s[48:49], s[48:49] op_sel:[0,1]
	s_waitcnt lgkmcnt(0)
	s_barrier
	s_cbranch_vccnz .LBB98_59
; %bb.25:                               ;   in Loop: Header=BB98_14 Depth=1
	s_cmp_lg_u64 s[74:75], 0
	s_cselect_b64 s[28:29], -1, 0
	v_pk_mov_b32 v[16:17], s[48:49], s[48:49] op_sel:[0,1]
	s_mov_b64 s[30:31], s[34:35]
	s_branch .LBB98_27
.LBB98_26:                              ;   in Loop: Header=BB98_27 Depth=2
	s_or_b64 exec, exec, s[24:25]
	s_add_u32 s30, s30, 16
	s_addc_u32 s31, s31, 0
	v_pk_mov_b32 v[18:19], s[52:53], s[52:53] op_sel:[0,1]
	v_cmp_lt_i64_e32 vcc, s[30:31], v[18:19]
	s_cbranch_vccz .LBB98_59
.LBB98_27:                              ;   Parent Loop BB98_14 Depth=1
                                        ; =>  This Loop Header: Depth=2
                                        ;       Child Loop BB98_42 Depth 3
                                        ;         Child Loop BB98_54 Depth 4
                                        ;         Child Loop BB98_50 Depth 4
	v_mov_b32_e32 v5, s31
	v_add_co_u32_e32 v18, vcc, s30, v2
	v_addc_co_u32_e32 v19, vcc, 0, v5, vcc
	v_cmp_gt_i64_e64 s[22:23], s[52:53], v[18:19]
	s_barrier
	s_and_saveexec_b64 s[24:25], s[22:23]
	s_cbranch_execz .LBB98_31
; %bb.28:                               ;   in Loop: Header=BB98_27 Depth=2
	v_mov_b32_e32 v5, 0
	s_and_saveexec_b64 s[76:77], s[66:67]
	s_cbranch_execz .LBB98_30
; %bb.29:                               ;   in Loop: Header=BB98_27 Depth=2
	v_mul_lo_u32 v5, v19, s58
	v_mul_lo_u32 v22, v18, s59
	v_mad_u64_u32 v[20:21], s[78:79], v18, s58, 0
	v_add3_u32 v21, v21, v22, v5
	v_lshlrev_b64 v[20:21], 2, v[20:21]
	v_add_co_u32_e32 v20, vcc, v36, v20
	v_addc_co_u32_e32 v21, vcc, v37, v21, vcc
	global_load_dword v5, v[20:21], off
.LBB98_30:                              ;   in Loop: Header=BB98_27 Depth=2
	s_or_b64 exec, exec, s[76:77]
	s_waitcnt vmcnt(0)
	ds_write_b32 v35, v5
.LBB98_31:                              ;   in Loop: Header=BB98_27 Depth=2
	s_or_b64 exec, exec, s[24:25]
	v_pk_mov_b32 v[20:21], 0, 0
	v_lshlrev_b64 v[18:19], 3, v[18:19]
	s_waitcnt lgkmcnt(0)
	s_barrier
	s_and_saveexec_b64 s[76:77], s[22:23]
	s_cbranch_execz .LBB98_57
; %bb.32:                               ;   in Loop: Header=BB98_27 Depth=2
	v_mov_b32_e32 v5, s37
	v_add_co_u32_e32 v20, vcc, s36, v18
	v_addc_co_u32_e32 v21, vcc, v5, v19, vcc
	global_load_dwordx2 v[22:23], v[20:21], off
	s_and_b64 vcc, exec, s[28:29]
	s_cbranch_vccz .LBB98_34
; %bb.33:                               ;   in Loop: Header=BB98_27 Depth=2
	v_mov_b32_e32 v5, s55
	v_add_co_u32_e32 v20, vcc, s54, v18
	v_addc_co_u32_e32 v21, vcc, v5, v19, vcc
	global_load_dwordx2 v[20:21], v[20:21], off
	s_mov_b64 s[24:25], 0
	s_branch .LBB98_35
.LBB98_34:                              ;   in Loop: Header=BB98_27 Depth=2
	s_mov_b64 s[24:25], -1
                                        ; implicit-def: $vgpr20_vgpr21
.LBB98_35:                              ;   in Loop: Header=BB98_27 Depth=2
	v_mov_b32_e32 v5, s88
	s_waitcnt vmcnt(0)
	v_subrev_co_u32_e32 v22, vcc, s44, v22
	v_subb_co_u32_e32 v23, vcc, v23, v5, vcc
	s_andn2_b64 vcc, exec, s[24:25]
	v_lshlrev_b64 v[22:23], 3, v[22:23]
	s_cbranch_vccnz .LBB98_37
; %bb.36:                               ;   in Loop: Header=BB98_27 Depth=2
	v_mov_b32_e32 v5, s41
	v_add_co_u32_e32 v20, vcc, s40, v22
	v_addc_co_u32_e32 v21, vcc, v5, v23, vcc
	global_load_dwordx2 v[20:21], v[20:21], off
	v_mov_b32_e32 v5, s33
	s_waitcnt vmcnt(0)
	v_subrev_co_u32_e32 v20, vcc, s45, v20
	v_subb_co_u32_e32 v21, vcc, v21, v5, vcc
.LBB98_37:                              ;   in Loop: Header=BB98_27 Depth=2
	v_mov_b32_e32 v5, s91
	v_add_co_u32_e32 v22, vcc, s47, v22
	v_addc_co_u32_e32 v23, vcc, v5, v23, vcc
	global_load_dwordx2 v[22:23], v[22:23], off
	v_mov_b32_e32 v5, s33
	s_waitcnt vmcnt(0)
	v_subrev_co_u32_e32 v22, vcc, s45, v22
	v_subb_co_u32_e32 v23, vcc, v23, v5, vcc
	v_cmp_lt_i64_e32 vcc, v[20:21], v[22:23]
	s_and_saveexec_b64 s[78:79], vcc
	s_cbranch_execz .LBB98_56
; %bb.38:                               ;   in Loop: Header=BB98_27 Depth=2
	v_mad_u64_u32 v[24:25], s[24:25], s68, v20, v[6:7]
	v_mul_lo_u32 v5, s68, v21
	v_mul_lo_u32 v26, s69, v20
	v_add3_u32 v5, v26, v25, v5
	v_pk_mov_b32 v[26:27], s[56:57], s[56:57] op_sel:[0,1]
	v_mul_lo_u32 v28, s51, v24
	v_mul_lo_u32 v5, s50, v5
	v_mad_u64_u32 v[24:25], s[24:25], s50, v24, v[26:27]
	v_add3_u32 v25, v28, v25, v5
	v_mad_u64_u32 v[26:27], s[24:25], s70, v20, v[10:11]
	v_mul_lo_u32 v5, s70, v21
	v_mul_lo_u32 v28, s71, v20
	v_add3_u32 v27, v28, v27, v5
	s_mov_b64 s[80:81], 0
	v_pk_mov_b32 v[28:29], v[20:21], v[20:21] op_sel:[0,1]
	s_branch .LBB98_42
.LBB98_39:                              ;   in Loop: Header=BB98_42 Depth=3
	v_lshlrev_b32_e32 v5, 4, v5
	v_or3_b32 v5, v5, v38, v4
	v_lshlrev_b32_e32 v5, 2, v5
	v_mul_f32_e32 v30, v32, v55
	ds_add_f32 v5, v30
.LBB98_40:                              ;   in Loop: Header=BB98_42 Depth=3
	s_or_b64 exec, exec, s[84:85]
	s_or_b64 s[24:25], s[24:25], exec
.LBB98_41:                              ;   in Loop: Header=BB98_42 Depth=3
	s_or_b64 exec, exec, s[82:83]
	v_add_co_u32_e32 v20, vcc, 1, v20
	v_addc_co_u32_e32 v21, vcc, 0, v21, vcc
	v_cmp_ge_i64_e32 vcc, v[20:21], v[22:23]
	s_xor_b64 s[24:25], s[24:25], -1
	s_or_b64 s[24:25], s[24:25], vcc
	v_mov_b32_e32 v5, s71
	v_add_co_u32_e32 v24, vcc, s70, v24
	v_addc_co_u32_e32 v25, vcc, v25, v5, vcc
	s_and_b64 s[24:25], exec, s[24:25]
	v_add_co_u32_e32 v26, vcc, s70, v26
	s_or_b64 s[80:81], s[24:25], s[80:81]
	v_addc_co_u32_e32 v27, vcc, v27, v5, vcc
	s_andn2_b64 exec, exec, s[80:81]
	s_cbranch_execz .LBB98_55
.LBB98_42:                              ;   Parent Loop BB98_14 Depth=1
                                        ;     Parent Loop BB98_27 Depth=2
                                        ; =>    This Loop Header: Depth=3
                                        ;         Child Loop BB98_54 Depth 4
                                        ;         Child Loop BB98_50 Depth 4
	v_lshlrev_b64 v[30:31], 3, v[20:21]
	v_mov_b32_e32 v5, s43
	v_add_co_u32_e32 v30, vcc, s42, v30
	v_addc_co_u32_e32 v31, vcc, v5, v31, vcc
	global_load_dwordx2 v[30:31], v[30:31], off
	v_mov_b32_e32 v5, s33
	s_waitcnt vmcnt(0)
	v_subrev_co_u32_e32 v30, vcc, s45, v30
	v_subb_co_u32_e32 v31, vcc, v31, v5, vcc
	v_cmp_gt_i64_e64 s[24:25], s[74:75], v[30:31]
	v_cmp_ge_i64_e32 vcc, v[30:31], v[14:15]
	s_or_b64 s[82:83], s[24:25], vcc
                                        ; implicit-def: $sgpr24_sgpr25
	s_and_saveexec_b64 s[84:85], s[82:83]
	s_xor_b64 s[82:83], exec, s[84:85]
	s_cbranch_execz .LBB98_46
; %bb.43:                               ;   in Loop: Header=BB98_42 Depth=3
	s_mov_b64 s[24:25], -1
	s_and_saveexec_b64 s[84:85], vcc
; %bb.44:                               ;   in Loop: Header=BB98_42 Depth=3
	v_cmp_lt_i64_e32 vcc, v[30:31], v[16:17]
	v_cndmask_b32_e32 v17, v17, v31, vcc
	v_cndmask_b32_e32 v16, v16, v30, vcc
	s_xor_b64 s[24:25], exec, -1
	v_pk_mov_b32 v[28:29], v[20:21], v[20:21] op_sel:[0,1]
; %bb.45:                               ;   in Loop: Header=BB98_42 Depth=3
	s_or_b64 exec, exec, s[84:85]
	s_and_b64 s[24:25], s[24:25], exec
                                        ; implicit-def: $vgpr30_vgpr31
.LBB98_46:                              ;   in Loop: Header=BB98_42 Depth=3
	s_andn2_saveexec_b64 s[82:83], s[82:83]
	s_cbranch_execz .LBB98_41
; %bb.47:                               ;   in Loop: Header=BB98_42 Depth=3
	v_subrev_u32_e32 v5, s74, v30
	v_lshlrev_b32_e32 v30, 2, v5
	ds_write_b32 v30, v54 offset:5120
	s_and_saveexec_b64 s[84:85], s[38:39]
	s_cbranch_execz .LBB98_40
; %bb.48:                               ;   in Loop: Header=BB98_42 Depth=3
	s_andn2_b64 vcc, exec, s[60:61]
	s_cbranch_vccnz .LBB98_52
; %bb.49:                               ;   in Loop: Header=BB98_42 Depth=3
	v_mov_b32_e32 v55, 0
	v_mov_b32_e32 v56, v51
	s_mov_b64 s[86:87], s[50:51]
	v_pk_mov_b32 v[30:31], v[24:25], v[24:25] op_sel:[0,1]
.LBB98_50:                              ;   Parent Loop BB98_14 Depth=1
                                        ;     Parent Loop BB98_27 Depth=2
                                        ;       Parent Loop BB98_42 Depth=3
                                        ; =>      This Inner Loop Header: Depth=4
	global_load_dword v57, v[30:31], off
	ds_read_b32 v58, v56
	s_add_u32 s86, s86, -1
	v_add_co_u32_e32 v30, vcc, 4, v30
	s_addc_u32 s87, s87, -1
	v_addc_co_u32_e32 v31, vcc, 0, v31, vcc
	v_add_u32_e32 v56, 16, v56
	s_cmp_lg_u64 s[86:87], 0
	s_waitcnt vmcnt(0) lgkmcnt(0)
	v_fmac_f32_e32 v55, v58, v57
	s_cbranch_scc1 .LBB98_50
; %bb.51:                               ;   in Loop: Header=BB98_42 Depth=3
	s_branch .LBB98_39
.LBB98_52:                              ;   in Loop: Header=BB98_42 Depth=3
                                        ; implicit-def: $vgpr55
	s_cbranch_execz .LBB98_39
; %bb.53:                               ;   in Loop: Header=BB98_42 Depth=3
	v_mov_b32_e32 v55, 0
	v_mov_b32_e32 v56, v52
	v_pk_mov_b32 v[30:31], v[26:27], v[26:27] op_sel:[0,1]
	s_mov_b64 s[86:87], s[50:51]
.LBB98_54:                              ;   Parent Loop BB98_14 Depth=1
                                        ;     Parent Loop BB98_27 Depth=2
                                        ;       Parent Loop BB98_42 Depth=3
                                        ; =>      This Inner Loop Header: Depth=4
	global_load_dword v57, v[30:31], off
	ds_read_b32 v58, v56
	s_add_u32 s86, s86, -1
	v_mov_b32_e32 v59, s69
	v_add_co_u32_e32 v30, vcc, s68, v30
	s_addc_u32 s87, s87, -1
	v_add_u32_e32 v56, 4, v56
	v_addc_co_u32_e32 v31, vcc, v31, v59, vcc
	s_cmp_eq_u64 s[86:87], 0
	s_waitcnt vmcnt(0) lgkmcnt(0)
	v_fmac_f32_e32 v55, v58, v57
	s_cbranch_scc0 .LBB98_54
	s_branch .LBB98_39
.LBB98_55:                              ;   in Loop: Header=BB98_27 Depth=2
	s_or_b64 exec, exec, s[80:81]
	v_pk_mov_b32 v[20:21], v[28:29], v[28:29] op_sel:[0,1]
.LBB98_56:                              ;   in Loop: Header=BB98_27 Depth=2
	s_or_b64 exec, exec, s[78:79]
.LBB98_57:                              ;   in Loop: Header=BB98_27 Depth=2
	s_or_b64 exec, exec, s[76:77]
	s_waitcnt lgkmcnt(0)
	s_barrier
	s_and_saveexec_b64 s[24:25], s[22:23]
	s_cbranch_execz .LBB98_26
; %bb.58:                               ;   in Loop: Header=BB98_27 Depth=2
	v_mov_b32_e32 v5, s55
	v_add_co_u32_e32 v18, vcc, s54, v18
	v_addc_co_u32_e32 v19, vcc, v5, v19, vcc
	global_store_dwordx2 v[18:19], v[20:21], off
	s_branch .LBB98_26
.LBB98_59:                              ;   in Loop: Header=BB98_14 Depth=1
	s_andn2_b64 vcc, exec, s[0:1]
	s_cbranch_vccnz .LBB98_71
; %bb.60:                               ;   in Loop: Header=BB98_14 Depth=1
	s_load_dwordx4 s[28:31], s[62:63], 0x0
	s_waitcnt lgkmcnt(0)
	s_sub_u32 s24, s30, s89
	v_mov_b32_e32 v5, s29
	v_add_co_u32_e32 v22, vcc, s28, v39
	s_subb_u32 s25, s31, 0
	v_addc_co_u32_e32 v23, vcc, v5, v40, vcc
	v_cmp_gt_i64_e32 vcc, s[24:25], v[22:23]
	s_and_saveexec_b64 s[30:31], vcc
	s_cbranch_execz .LBB98_70
; %bb.61:                               ;   in Loop: Header=BB98_14 Depth=1
	v_lshlrev_b64 v[18:19], 3, v[22:23]
	v_mov_b32_e32 v5, s27
	v_add_co_u32_e32 v18, vcc, s26, v18
	v_addc_co_u32_e32 v19, vcc, v5, v19, vcc
	v_mad_u64_u32 v[20:21], s[22:23], s70, v22, v[8:9]
	v_mul_lo_u32 v5, s70, v23
	v_mul_lo_u32 v22, s71, v22
	v_add3_u32 v21, v22, v21, v5
	v_mov_b32_e32 v5, s29
	v_add_co_u32_e32 v22, vcc, s28, v48
	v_addc_co_u32_e32 v23, vcc, v49, v5, vcc
	s_mov_b64 s[28:29], 0
	s_branch .LBB98_64
.LBB98_62:                              ;   in Loop: Header=BB98_64 Depth=2
	s_or_b64 exec, exec, s[78:79]
	s_or_b64 s[22:23], s[22:23], exec
.LBB98_63:                              ;   in Loop: Header=BB98_64 Depth=2
	s_or_b64 exec, exec, s[76:77]
	v_cmp_le_i64_e32 vcc, s[24:25], v[22:23]
	s_xor_b64 s[22:23], s[22:23], -1
	s_or_b64 s[22:23], s[22:23], vcc
	v_add_co_u32_e32 v18, vcc, 0x80, v18
	v_addc_co_u32_e32 v19, vcc, 0, v19, vcc
	v_mov_b32_e32 v5, s73
	v_add_co_u32_e32 v20, vcc, s72, v20
	v_addc_co_u32_e32 v21, vcc, v21, v5, vcc
	s_and_b64 s[22:23], exec, s[22:23]
	v_add_co_u32_e32 v22, vcc, 16, v22
	s_or_b64 s[28:29], s[22:23], s[28:29]
	v_addc_co_u32_e32 v23, vcc, 0, v23, vcc
	s_andn2_b64 exec, exec, s[28:29]
	s_cbranch_execz .LBB98_69
.LBB98_64:                              ;   Parent Loop BB98_14 Depth=1
                                        ; =>  This Inner Loop Header: Depth=2
	global_load_dwordx2 v[24:25], v[18:19], off
	v_mov_b32_e32 v5, s90
	s_waitcnt vmcnt(0)
	v_subrev_co_u32_e32 v24, vcc, s89, v24
	v_subb_co_u32_e32 v25, vcc, v25, v5, vcc
	v_cmp_lt_i64_e32 vcc, v[24:25], v[14:15]
	v_cmp_gt_i64_e64 s[22:23], s[74:75], v[24:25]
	s_xor_b64 s[76:77], vcc, -1
	s_or_b64 s[76:77], s[22:23], s[76:77]
                                        ; implicit-def: $sgpr22_sgpr23
	s_and_saveexec_b64 s[78:79], s[76:77]
	s_xor_b64 s[76:77], exec, s[78:79]
; %bb.65:                               ;   in Loop: Header=BB98_64 Depth=2
	v_cmp_lt_i64_e64 s[22:23], v[24:25], v[16:17]
	v_cndmask_b32_e64 v5, v16, v24, s[22:23]
	v_cndmask_b32_e64 v24, v17, v25, s[22:23]
	v_cndmask_b32_e32 v17, v24, v17, vcc
	v_cndmask_b32_e32 v16, v5, v16, vcc
	s_and_b64 s[22:23], vcc, exec
                                        ; implicit-def: $vgpr24
; %bb.66:                               ;   in Loop: Header=BB98_64 Depth=2
	s_andn2_saveexec_b64 s[76:77], s[76:77]
	s_cbranch_execz .LBB98_63
; %bb.67:                               ;   in Loop: Header=BB98_64 Depth=2
	v_subrev_u32_e32 v5, s74, v24
	v_lshlrev_b32_e32 v24, 2, v5
	ds_write_b32 v24, v54 offset:5120
	s_and_saveexec_b64 s[78:79], s[66:67]
	s_cbranch_execz .LBB98_62
; %bb.68:                               ;   in Loop: Header=BB98_64 Depth=2
	global_load_dword v24, v[20:21], off
	v_lshlrev_b32_e32 v5, 4, v5
	v_or3_b32 v5, v5, v38, v4
	v_lshlrev_b32_e32 v5, 2, v5
	s_waitcnt vmcnt(0)
	v_mul_f32_e32 v24, v33, v24
	ds_add_f32 v5, v24
	s_branch .LBB98_62
.LBB98_69:                              ;   in Loop: Header=BB98_14 Depth=1
	s_or_b64 exec, exec, s[28:29]
.LBB98_70:                              ;   in Loop: Header=BB98_14 Depth=1
	s_or_b64 exec, exec, s[30:31]
.LBB98_71:                              ;   in Loop: Header=BB98_14 Depth=1
	s_and_saveexec_b64 s[22:23], s[6:7]
	s_cbranch_execz .LBB98_76
; %bb.72:                               ;   in Loop: Header=BB98_14 Depth=1
	s_mov_b64 s[28:29], exec
	s_mov_b64 s[24:25], -1
.LBB98_73:                              ;   Parent Loop BB98_14 Depth=1
                                        ; =>  This Inner Loop Header: Depth=2
	s_ff1_i32_b64 s76, s[28:29]
	v_readlane_b32 s77, v17, s76
	v_readlane_b32 s78, v16, s76
	v_mov_b32_e32 v14, s78
	v_mov_b32_e32 v15, s77
	v_cmp_lt_u64_e32 vcc, s[24:25], v[14:15]
	s_and_b64 s[30:31], vcc, exec
	s_cselect_b32 s25, s25, s77
	s_cselect_b32 s24, s24, s78
	s_lshl_b64 s[30:31], 1, s76
	s_andn2_b64 s[28:29], s[28:29], s[30:31]
	s_cmp_lg_u64 s[28:29], 0
	s_cbranch_scc1 .LBB98_73
; %bb.74:                               ;   in Loop: Header=BB98_14 Depth=1
	v_mbcnt_lo_u32_b32 v5, exec_lo, 0
	v_mbcnt_hi_u32_b32 v5, exec_hi, v5
	v_cmp_eq_u32_e32 vcc, 0, v5
	s_and_saveexec_b64 s[28:29], vcc
	s_xor_b64 s[28:29], exec, s[28:29]
	s_cbranch_execz .LBB98_76
; %bb.75:                               ;   in Loop: Header=BB98_14 Depth=1
	v_pk_mov_b32 v[14:15], s[24:25], s[24:25] op_sel:[0,1]
	ds_min_u64 v3, v[14:15] offset:5376
.LBB98_76:                              ;   in Loop: Header=BB98_14 Depth=1
	s_or_b64 exec, exec, s[22:23]
	s_waitcnt lgkmcnt(0)
	s_barrier
	ds_read_b32 v5, v41
	s_waitcnt lgkmcnt(0)
	s_barrier
	s_and_saveexec_b64 s[22:23], s[10:11]
	s_cbranch_execz .LBB98_78
; %bb.77:                               ;   in Loop: Header=BB98_14 Depth=1
	ds_read_b32 v14, v42
	s_waitcnt lgkmcnt(0)
	v_add_u32_e32 v5, v14, v5
.LBB98_78:                              ;   in Loop: Header=BB98_14 Depth=1
	s_or_b64 exec, exec, s[22:23]
	s_barrier
	ds_write_b32 v41, v5
	s_waitcnt lgkmcnt(0)
	s_barrier
	s_and_saveexec_b64 s[22:23], s[12:13]
	s_cbranch_execz .LBB98_80
; %bb.79:                               ;   in Loop: Header=BB98_14 Depth=1
	ds_read_b32 v14, v44
	s_waitcnt lgkmcnt(0)
	v_add_u32_e32 v5, v14, v5
.LBB98_80:                              ;   in Loop: Header=BB98_14 Depth=1
	s_or_b64 exec, exec, s[22:23]
	s_barrier
	ds_write_b32 v41, v5
	;; [unrolled: 12-line block ×6, first 2 shown]
	s_waitcnt lgkmcnt(0)
	s_barrier
	ds_read_b32 v17, v3 offset:5372
	v_mov_b32_e32 v14, 0
	s_and_saveexec_b64 s[22:23], s[8:9]
	s_cbranch_execz .LBB98_90
; %bb.89:                               ;   in Loop: Header=BB98_14 Depth=1
	ds_read_b32 v14, v42
.LBB98_90:                              ;   in Loop: Header=BB98_14 Depth=1
	s_or_b64 exec, exec, s[22:23]
	s_waitcnt lgkmcnt(0)
	v_cmp_eq_u32_e32 vcc, v5, v14
	s_and_b64 s[24:25], s[8:9], vcc
	s_barrier
	s_and_saveexec_b64 s[22:23], s[24:25]
	s_cbranch_execz .LBB98_92
; %bb.91:                               ;   in Loop: Header=BB98_14 Depth=1
	ds_write_b32 v41, v3
.LBB98_92:                              ;   in Loop: Header=BB98_14 Depth=1
	s_or_b64 exec, exec, s[22:23]
	v_add_co_u32_e32 v18, vcc, -1, v12
	s_add_u32 s28, s46, s74
	v_addc_co_u32_e32 v19, vcc, -1, v13, vcc
	s_addc_u32 s29, 0, s75
	s_mov_b64 s[22:23], 0
	v_mov_b32_e32 v20, v53
	v_mov_b32_e32 v21, v34
	v_pk_mov_b32 v[14:15], v[2:3], v[2:3] op_sel:[0,1]
	s_waitcnt lgkmcnt(0)
	s_barrier
	s_branch .LBB98_94
.LBB98_93:                              ;   in Loop: Header=BB98_94 Depth=2
	s_or_b64 exec, exec, s[24:25]
	v_add_co_u32_e32 v14, vcc, 16, v14
	v_addc_co_u32_e32 v15, vcc, 0, v15, vcc
	v_add_u32_e32 v5, -16, v14
	v_cmp_lt_u32_e32 vcc, 47, v5
	v_add_u32_e32 v21, 0x400, v21
	s_or_b64 s[22:23], vcc, s[22:23]
	v_add_u32_e32 v20, 64, v20
	s_andn2_b64 exec, exec, s[22:23]
	s_cbranch_execz .LBB98_13
.LBB98_94:                              ;   Parent Loop BB98_14 Depth=1
                                        ; =>  This Inner Loop Header: Depth=2
	ds_read_b32 v16, v20
	s_waitcnt lgkmcnt(0)
	v_cmp_ne_u32_e32 vcc, 0, v16
	s_and_saveexec_b64 s[24:25], vcc
	s_cbranch_execz .LBB98_93
; %bb.95:                               ;   in Loop: Header=BB98_94 Depth=2
	v_mov_b32_e32 v23, s29
	v_add_co_u32_e32 v22, vcc, s28, v14
	v_addc_co_u32_e32 v23, vcc, v23, v15, vcc
	v_ashrrev_i32_e32 v5, 31, v16
	v_add_co_u32_e32 v24, vcc, v12, v16
	v_addc_co_u32_e32 v25, vcc, v13, v5, vcc
	v_lshlrev_b64 v[24:25], 3, v[24:25]
	v_mov_b32_e32 v26, s93
	v_add_co_u32_e32 v24, vcc, s92, v24
	v_addc_co_u32_e32 v25, vcc, v26, v25, vcc
	global_store_dwordx2 v[24:25], v[22:23], off
	s_and_b64 exec, exec, s[66:67]
	s_cbranch_execz .LBB98_93
; %bb.96:                               ;   in Loop: Header=BB98_94 Depth=2
	v_add_co_u32_e32 v16, vcc, v18, v16
	v_addc_co_u32_e32 v5, vcc, v19, v5, vcc
	ds_read_b32 v24, v21
	v_mul_lo_u32 v5, v5, s58
	v_mul_lo_u32 v25, v16, s59
	v_mad_u64_u32 v[22:23], s[30:31], v16, s58, 0
	v_add3_u32 v23, v23, v25, v5
	v_lshlrev_b64 v[22:23], 2, v[22:23]
	v_add_co_u32_e32 v22, vcc, v0, v22
	v_addc_co_u32_e32 v23, vcc, v1, v23, vcc
	s_waitcnt lgkmcnt(0)
	global_store_dword v[22:23], v24, off
	s_branch .LBB98_93
.LBB98_97:
	s_endpgm
	.section	.rodata,"a",@progbits
	.p2align	6, 0x0
	.amdhsa_kernel _ZN9rocsparseL38bsrgemm_block_per_row_atomic_multipassILj256ELj64ELj4EllfEEv20rocsparse_direction_T3_S2_PKS2_S4_NS_24const_host_device_scalarIT4_EEPKT2_S4_PKS6_SA_S4_SC_S7_SA_S4_SC_SA_PS2_PS6_PS8_21rocsparse_index_base_SG_SG_SG_bbb
		.amdhsa_group_segment_fixed_size 5384
		.amdhsa_private_segment_fixed_size 0
		.amdhsa_kernarg_size 180
		.amdhsa_user_sgpr_count 6
		.amdhsa_user_sgpr_private_segment_buffer 1
		.amdhsa_user_sgpr_dispatch_ptr 0
		.amdhsa_user_sgpr_queue_ptr 0
		.amdhsa_user_sgpr_kernarg_segment_ptr 1
		.amdhsa_user_sgpr_dispatch_id 0
		.amdhsa_user_sgpr_flat_scratch_init 0
		.amdhsa_user_sgpr_kernarg_preload_length 0
		.amdhsa_user_sgpr_kernarg_preload_offset 0
		.amdhsa_user_sgpr_private_segment_size 0
		.amdhsa_uses_dynamic_stack 0
		.amdhsa_system_sgpr_private_segment_wavefront_offset 0
		.amdhsa_system_sgpr_workgroup_id_x 1
		.amdhsa_system_sgpr_workgroup_id_y 0
		.amdhsa_system_sgpr_workgroup_id_z 0
		.amdhsa_system_sgpr_workgroup_info 0
		.amdhsa_system_vgpr_workitem_id 0
		.amdhsa_next_free_vgpr 60
		.amdhsa_next_free_sgpr 94
		.amdhsa_accum_offset 60
		.amdhsa_reserve_vcc 1
		.amdhsa_reserve_flat_scratch 0
		.amdhsa_float_round_mode_32 0
		.amdhsa_float_round_mode_16_64 0
		.amdhsa_float_denorm_mode_32 3
		.amdhsa_float_denorm_mode_16_64 3
		.amdhsa_dx10_clamp 1
		.amdhsa_ieee_mode 1
		.amdhsa_fp16_overflow 0
		.amdhsa_tg_split 0
		.amdhsa_exception_fp_ieee_invalid_op 0
		.amdhsa_exception_fp_denorm_src 0
		.amdhsa_exception_fp_ieee_div_zero 0
		.amdhsa_exception_fp_ieee_overflow 0
		.amdhsa_exception_fp_ieee_underflow 0
		.amdhsa_exception_fp_ieee_inexact 0
		.amdhsa_exception_int_div_zero 0
	.end_amdhsa_kernel
	.section	.text._ZN9rocsparseL38bsrgemm_block_per_row_atomic_multipassILj256ELj64ELj4EllfEEv20rocsparse_direction_T3_S2_PKS2_S4_NS_24const_host_device_scalarIT4_EEPKT2_S4_PKS6_SA_S4_SC_S7_SA_S4_SC_SA_PS2_PS6_PS8_21rocsparse_index_base_SG_SG_SG_bbb,"axG",@progbits,_ZN9rocsparseL38bsrgemm_block_per_row_atomic_multipassILj256ELj64ELj4EllfEEv20rocsparse_direction_T3_S2_PKS2_S4_NS_24const_host_device_scalarIT4_EEPKT2_S4_PKS6_SA_S4_SC_S7_SA_S4_SC_SA_PS2_PS6_PS8_21rocsparse_index_base_SG_SG_SG_bbb,comdat
.Lfunc_end98:
	.size	_ZN9rocsparseL38bsrgemm_block_per_row_atomic_multipassILj256ELj64ELj4EllfEEv20rocsparse_direction_T3_S2_PKS2_S4_NS_24const_host_device_scalarIT4_EEPKT2_S4_PKS6_SA_S4_SC_S7_SA_S4_SC_SA_PS2_PS6_PS8_21rocsparse_index_base_SG_SG_SG_bbb, .Lfunc_end98-_ZN9rocsparseL38bsrgemm_block_per_row_atomic_multipassILj256ELj64ELj4EllfEEv20rocsparse_direction_T3_S2_PKS2_S4_NS_24const_host_device_scalarIT4_EEPKT2_S4_PKS6_SA_S4_SC_S7_SA_S4_SC_SA_PS2_PS6_PS8_21rocsparse_index_base_SG_SG_SG_bbb
                                        ; -- End function
	.section	.AMDGPU.csdata,"",@progbits
; Kernel info:
; codeLenInByte = 3620
; NumSgprs: 98
; NumVgprs: 60
; NumAgprs: 0
; TotalNumVgprs: 60
; ScratchSize: 0
; MemoryBound: 0
; FloatMode: 240
; IeeeMode: 1
; LDSByteSize: 5384 bytes/workgroup (compile time only)
; SGPRBlocks: 12
; VGPRBlocks: 7
; NumSGPRsForWavesPerEU: 98
; NumVGPRsForWavesPerEU: 60
; AccumOffset: 60
; Occupancy: 8
; WaveLimiterHint : 1
; COMPUTE_PGM_RSRC2:SCRATCH_EN: 0
; COMPUTE_PGM_RSRC2:USER_SGPR: 6
; COMPUTE_PGM_RSRC2:TRAP_HANDLER: 0
; COMPUTE_PGM_RSRC2:TGID_X_EN: 1
; COMPUTE_PGM_RSRC2:TGID_Y_EN: 0
; COMPUTE_PGM_RSRC2:TGID_Z_EN: 0
; COMPUTE_PGM_RSRC2:TIDIG_COMP_CNT: 0
; COMPUTE_PGM_RSRC3_GFX90A:ACCUM_OFFSET: 14
; COMPUTE_PGM_RSRC3_GFX90A:TG_SPLIT: 0
	.section	.text._ZN9rocsparseL38bsrgemm_block_per_row_atomic_multipassILj256ELj128ELj4EllfEEv20rocsparse_direction_T3_S2_PKS2_S4_NS_24const_host_device_scalarIT4_EEPKT2_S4_PKS6_SA_S4_SC_S7_SA_S4_SC_SA_PS2_PS6_PS8_21rocsparse_index_base_SG_SG_SG_bbb,"axG",@progbits,_ZN9rocsparseL38bsrgemm_block_per_row_atomic_multipassILj256ELj128ELj4EllfEEv20rocsparse_direction_T3_S2_PKS2_S4_NS_24const_host_device_scalarIT4_EEPKT2_S4_PKS6_SA_S4_SC_S7_SA_S4_SC_SA_PS2_PS6_PS8_21rocsparse_index_base_SG_SG_SG_bbb,comdat
	.globl	_ZN9rocsparseL38bsrgemm_block_per_row_atomic_multipassILj256ELj128ELj4EllfEEv20rocsparse_direction_T3_S2_PKS2_S4_NS_24const_host_device_scalarIT4_EEPKT2_S4_PKS6_SA_S4_SC_S7_SA_S4_SC_SA_PS2_PS6_PS8_21rocsparse_index_base_SG_SG_SG_bbb ; -- Begin function _ZN9rocsparseL38bsrgemm_block_per_row_atomic_multipassILj256ELj128ELj4EllfEEv20rocsparse_direction_T3_S2_PKS2_S4_NS_24const_host_device_scalarIT4_EEPKT2_S4_PKS6_SA_S4_SC_S7_SA_S4_SC_SA_PS2_PS6_PS8_21rocsparse_index_base_SG_SG_SG_bbb
	.p2align	8
	.type	_ZN9rocsparseL38bsrgemm_block_per_row_atomic_multipassILj256ELj128ELj4EllfEEv20rocsparse_direction_T3_S2_PKS2_S4_NS_24const_host_device_scalarIT4_EEPKT2_S4_PKS6_SA_S4_SC_S7_SA_S4_SC_SA_PS2_PS6_PS8_21rocsparse_index_base_SG_SG_SG_bbb,@function
_ZN9rocsparseL38bsrgemm_block_per_row_atomic_multipassILj256ELj128ELj4EllfEEv20rocsparse_direction_T3_S2_PKS2_S4_NS_24const_host_device_scalarIT4_EEPKT2_S4_PKS6_SA_S4_SC_S7_SA_S4_SC_SA_PS2_PS6_PS8_21rocsparse_index_base_SG_SG_SG_bbb: ; @_ZN9rocsparseL38bsrgemm_block_per_row_atomic_multipassILj256ELj128ELj4EllfEEv20rocsparse_direction_T3_S2_PKS2_S4_NS_24const_host_device_scalarIT4_EEPKT2_S4_PKS6_SA_S4_SC_S7_SA_S4_SC_SA_PS2_PS6_PS8_21rocsparse_index_base_SG_SG_SG_bbb
; %bb.0:
	s_load_dword s7, s[4:5], 0xb0
	s_load_dwordx4 s[28:31], s[4:5], 0xa0
	s_load_dwordx2 s[0:1], s[4:5], 0x28
	s_load_dwordx2 s[8:9], s[4:5], 0x60
	s_waitcnt lgkmcnt(0)
	s_bitcmp1_b32 s7, 0
	s_cselect_b64 s[10:11], -1, 0
	s_bitcmp1_b32 s7, 16
	s_cselect_b64 s[12:13], -1, 0
	s_xor_b64 s[2:3], s[10:11], -1
	s_or_b64 s[2:3], s[2:3], s[12:13]
	s_and_b64 vcc, exec, s[2:3]
	s_cbranch_vccnz .LBB99_2
; %bb.1:
	s_load_dword s0, s[0:1], 0x0
	s_waitcnt lgkmcnt(0)
	v_mov_b32_e32 v32, s0
	s_branch .LBB99_3
.LBB99_2:
	v_mov_b32_e32 v1, s0
	v_cndmask_b32_e64 v32, 0, v1, s[10:11]
.LBB99_3:
	s_load_dwordx2 s[2:3], s[4:5], 0x20
	s_bitcmp1_b32 s7, 8
	s_cselect_b64 s[0:1], -1, 0
	s_xor_b64 s[14:15], s[0:1], -1
	s_or_b64 s[12:13], s[14:15], s[12:13]
	s_mov_b32 s7, 0
	s_and_b64 vcc, exec, s[12:13]
	s_cbranch_vccnz .LBB99_5
; %bb.4:
	s_load_dword s8, s[8:9], 0x0
	s_waitcnt lgkmcnt(0)
	v_mov_b32_e32 v33, s8
	s_load_dwordx2 s[8:9], s[4:5], 0x30
	s_cmp_eq_u64 s[2:3], 0
	s_mov_b64 s[34:35], 0
	s_cbranch_scc0 .LBB99_6
	s_branch .LBB99_7
.LBB99_5:
	v_mov_b32_e32 v1, s8
	v_cndmask_b32_e64 v33, 0, v1, s[0:1]
	s_load_dwordx2 s[8:9], s[4:5], 0x30
	s_waitcnt lgkmcnt(0)
	s_cmp_eq_u64 s[2:3], 0
	s_mov_b64 s[34:35], 0
	s_cbranch_scc1 .LBB99_7
.LBB99_6:
	s_load_dwordx2 s[12:13], s[4:5], 0x18
	s_waitcnt lgkmcnt(0)
	s_load_dwordx2 s[12:13], s[12:13], 0x0
	s_waitcnt lgkmcnt(0)
	s_lshl_b64 s[12:13], s[12:13], 3
	s_add_u32 s12, s2, s12
	s_addc_u32 s13, s3, s13
	s_lshl_b64 s[2:3], s[6:7], 3
	s_add_u32 s2, s12, s2
	s_addc_u32 s3, s13, s3
	s_load_dwordx2 s[6:7], s[2:3], 0x0
.LBB99_7:
	v_cndmask_b32_e64 v1, 0, 1, s[10:11]
	v_cmp_ne_u32_e64 s[2:3], 1, v1
	s_andn2_b64 vcc, exec, s[10:11]
	s_cbranch_vccz .LBB99_10
; %bb.8:
	s_and_b64 vcc, exec, s[2:3]
	s_mov_b64 s[60:61], 0
	s_cbranch_vccz .LBB99_11
.LBB99_9:
	s_load_dwordx4 s[52:55], s[4:5], 0x8
	s_waitcnt lgkmcnt(0)
	v_cmp_lt_i64_e64 s[2:3], s[52:53], 1
	s_and_b64 vcc, exec, s[2:3]
	s_cbranch_vccz .LBB99_12
	s_branch .LBB99_99
.LBB99_10:
	s_waitcnt lgkmcnt(0)
	s_lshl_b64 s[12:13], s[6:7], 3
	s_add_u32 s12, s8, s12
	s_addc_u32 s13, s9, s13
	s_load_dwordx2 s[12:13], s[12:13], 0x0
	s_waitcnt lgkmcnt(0)
	s_sub_u32 s34, s12, s28
	s_subb_u32 s35, s13, 0
	s_and_b64 vcc, exec, s[2:3]
	s_mov_b64 s[60:61], 0
	s_cbranch_vccnz .LBB99_9
.LBB99_11:
	s_waitcnt lgkmcnt(0)
	s_lshl_b64 s[2:3], s[6:7], 3
	s_add_u32 s2, s8, s2
	s_addc_u32 s3, s9, s3
	s_load_dwordx2 s[2:3], s[2:3], 0x8
	s_waitcnt lgkmcnt(0)
	s_sub_u32 s60, s2, s28
	s_subb_u32 s61, s3, 0
	s_load_dwordx4 s[52:55], s[4:5], 0x8
	s_waitcnt lgkmcnt(0)
	v_cmp_lt_i64_e64 s[2:3], s[52:53], 1
	s_and_b64 vcc, exec, s[2:3]
	s_cbranch_vccnz .LBB99_99
.LBB99_12:
	s_load_dwordx2 s[62:63], s[4:5], 0x98
	s_load_dwordx4 s[56:59], s[4:5], 0x88
	s_load_dwordx8 s[68:75], s[4:5], 0x68
	s_load_dwordx2 s[64:65], s[4:5], 0x58
	s_load_dwordx8 s[44:51], s[4:5], 0x38
	s_lshl_b64 s[8:9], s[6:7], 3
	s_mul_i32 s6, s54, s55
	s_waitcnt lgkmcnt(0)
	s_add_u32 s2, s74, s8
	s_addc_u32 s3, s75, s9
	s_load_dwordx2 s[2:3], s[2:3], 0x0
	s_mul_hi_u32 s7, s54, s54
	v_bfe_u32 v8, v0, 2, 2
	v_pk_mov_b32 v[6:7], s[60:61], s[60:61] op_sel:[0,1]
	v_cmp_lt_i64_e32 vcc, s[34:35], v[6:7]
	s_waitcnt lgkmcnt(0)
	s_sub_u32 s26, s2, s30
	s_subb_u32 s27, s3, 0
	s_add_i32 s7, s7, s6
	s_add_i32 s43, s7, s6
	v_mad_u64_u32 v[6:7], s[6:7], v8, s54, 0
	v_mov_b32_e32 v10, v7
	v_mad_u64_u32 v[10:11], s[6:7], v8, s55, v[10:11]
	v_mov_b32_e32 v7, v10
	v_lshlrev_b64 v[10:11], 2, v[6:7]
	v_and_b32_e32 v4, 3, v0
	v_mov_b32_e32 v6, s47
	v_add_co_u32_e64 v12, s[6:7], s46, v10
	v_addc_co_u32_e64 v13, s[6:7], v6, v11, s[6:7]
	v_lshlrev_b32_e32 v6, 2, v4
	v_mov_b32_e32 v3, 0
	v_add_co_u32_e64 v36, s[6:7], v12, v6
	v_mov_b32_e32 v5, v3
	v_mov_b32_e32 v9, v3
	v_addc_co_u32_e64 v37, s[6:7], 0, v13, s[6:7]
	v_cmp_gt_i64_e64 s[14:15], s[54:55], v[4:5]
	v_cmp_gt_i64_e64 s[6:7], s[54:55], v[8:9]
	s_and_b64 s[46:47], s[14:15], s[6:7]
	v_mad_u64_u32 v[12:13], s[6:7], v4, s54, 0
	v_mov_b32_e32 v14, v13
	v_mad_u64_u32 v[14:15], s[6:7], v4, s55, v[14:15]
	v_mov_b32_e32 v13, v14
	v_lshlrev_b64 v[12:13], 2, v[12:13]
	v_mov_b32_e32 v5, s59
	v_add_co_u32_e64 v14, s[6:7], s58, v12
	v_cmp_gt_u64_e64 s[12:13], s[54:55], v[8:9]
	v_lshlrev_b64 v[8:9], 2, v[8:9]
	v_addc_co_u32_e64 v15, s[6:7], v5, v13, s[6:7]
	v_add_co_u32_e64 v14, s[6:7], v14, v8
	v_addc_co_u32_e64 v15, s[6:7], v15, v9, s[6:7]
	v_add_co_u32_e64 v16, s[6:7], s58, v10
	v_addc_co_u32_e64 v5, s[6:7], v5, v11, s[6:7]
	s_load_dword s16, s[4:5], 0x0
	v_add_co_u32_e64 v16, s[6:7], v16, v6
	v_lshrrev_b32_e32 v2, 4, v0
	v_addc_co_u32_e64 v5, s[6:7], 0, v5, s[6:7]
	v_subrev_co_u32_e64 v39, s[6:7], s31, v2
	v_subb_co_u32_e64 v40, s[6:7], 0, 0, s[6:7]
	v_mov_b32_e32 v17, s73
	v_add_co_u32_e64 v12, s[6:7], s72, v12
	s_waitcnt lgkmcnt(0)
	s_cmp_eq_u32 s16, 0
	v_addc_co_u32_e64 v13, s[6:7], v17, v13, s[6:7]
	s_cselect_b64 s[24:25], -1, 0
	s_cmp_lg_u32 s16, 0
	v_add_co_u32_e64 v8, s[6:7], v12, v8
	s_cselect_b64 s[58:59], -1, 0
	s_add_u32 s36, s68, s8
	v_addc_co_u32_e64 v9, s[6:7], v13, v9, s[6:7]
                                        ; implicit-def: $vgpr61 : SGPR spill to VGPR lane
	s_addc_u32 s37, s69, s9
	v_writelane_b32 v61, s68, 0
	v_add_co_u32_e64 v10, s[6:7], s72, v10
	v_addc_co_u32_e64 v11, s[6:7], v17, v11, s[6:7]
	s_movk_i32 s2, 0x80
	v_add_co_u32_e64 v10, s[6:7], v10, v6
	v_and_b32_e32 v1, 15, v0
	v_cmp_gt_u32_e64 s[2:3], s2, v0
	v_cmp_eq_u32_e64 s[4:5], 0, v0
	v_lshlrev_b32_e32 v34, 2, v0
	v_and_b32_e32 v38, 12, v0
	v_writelane_b32 v61, s69, 1
	v_addc_co_u32_e64 v11, s[6:7], 0, v11, s[6:7]
	v_and_b32_e32 v0, 0x7f, v0
	v_writelane_b32 v61, s70, 2
	v_cmp_eq_u32_e64 s[6:7], 15, v1
	v_lshlrev_b32_e32 v1, 2, v0
	s_movk_i32 s38, 0x2000
	v_writelane_b32 v61, s71, 3
	v_or_b32_e32 v41, 0x2400, v1
	s_and_b64 s[40:41], s[10:11], vcc
	s_and_b64 s[66:67], s[14:15], s[12:13]
	v_add_u32_e32 v44, 0x23f8, v1
	v_add_u32_e32 v45, 0x23f0, v1
	;; [unrolled: 1-line block ×6, first 2 shown]
	v_cndmask_b32_e64 v1, v15, v5, s[24:25]
	v_lshlrev_b32_e32 v5, 6, v2
	s_mov_b32 s91, s31
	v_writelane_b32 v61, s72, 4
	v_cndmask_b32_e64 v8, v8, v10, s[24:25]
	s_add_u32 s31, s48, 8
	v_or3_b32 v50, v5, v38, s38
	v_mov_b32_e32 v5, s65
	v_add_co_u32_e32 v10, vcc, s64, v6
	v_writelane_b32 v61, s73, 5
	v_cndmask_b32_e64 v9, v9, v11, s[24:25]
	s_addc_u32 s93, s49, 0
	v_addc_co_u32_e32 v11, vcc, 0, v5, vcc
	s_mov_b32 s33, 0
	s_mul_i32 s42, s54, s54
	v_writelane_b32 v61, s74, 6
	v_add_co_u32_e64 v12, s[8:9], -1, v0
	v_mov_b32_e32 v13, 0x2400
	v_cmp_ne_u32_e64 s[10:11], 0, v0
	v_cmp_lt_u32_e64 s[12:13], 1, v0
	v_cmp_lt_u32_e64 s[14:15], 3, v0
	;; [unrolled: 1-line block ×6, first 2 shown]
	v_cndmask_b32_e64 v0, v14, v16, s[24:25]
	s_add_u32 s94, s56, -8
	v_and_b32_e32 v5, 0x3f0, v34
	v_add_co_u32_e32 v52, vcc, 16, v39
	v_mov_b32_e32 v14, 0x80
	v_or_b32_e32 v35, 0x2000, v34
	v_mov_b32_e32 v7, v3
	s_mov_b32 s90, s33
	s_mov_b32 s92, s33
	v_writelane_b32 v61, s75, 7
	v_lshl_add_u32 v42, v12, 2, v13
	v_or_b32_e32 v43, 0x2400, v34
	s_addc_u32 s95, s57, -1
	s_lshl_b64 s[56:57], s[54:55], 2
	s_lshl_b64 s[68:69], s[42:43], 2
	v_or_b32_e32 v51, 0x2000, v5
	s_lshl_b64 s[70:71], s[42:43], 6
	v_addc_co_u32_e32 v53, vcc, 0, v40, vcc
	v_lshl_or_b32 v54, v2, 2, v13
	s_mov_b64 s[72:73], 0
	v_mov_b32_e32 v15, 0
	v_pk_mov_b32 v[12:13], s[26:27], s[26:27] op_sel:[0,1]
	v_mov_b32_e32 v55, 1
	s_movk_i32 s38, 0x6f
	s_branch .LBB99_14
.LBB99_13:                              ;   in Loop: Header=BB99_14 Depth=1
	s_or_b64 exec, exec, s[24:25]
	s_barrier
	ds_read_b64 v[18:19], v3 offset:9728
	v_ashrrev_i32_e32 v5, 31, v17
	v_add_co_u32_e32 v12, vcc, v12, v17
	v_addc_co_u32_e32 v13, vcc, v13, v5, vcc
	s_waitcnt lgkmcnt(0)
	v_add_co_u32_e32 v14, vcc, 0x80, v18
	v_addc_co_u32_e32 v15, vcc, 0, v19, vcc
	v_cmp_le_i64_e32 vcc, s[52:53], v[18:19]
	v_readfirstlane_b32 s72, v18
	v_readfirstlane_b32 s73, v19
	s_barrier
	s_cbranch_vccnz .LBB99_99
.LBB99_14:                              ; =>This Loop Header: Depth=1
                                        ;     Child Loop BB99_18 Depth 2
                                        ;     Child Loop BB99_27 Depth 2
                                        ;       Child Loop BB99_42 Depth 3
                                        ;         Child Loop BB99_54 Depth 4
                                        ;         Child Loop BB99_50 Depth 4
                                        ;     Child Loop BB99_64 Depth 2
                                        ;     Child Loop BB99_73 Depth 2
	;; [unrolled: 1-line block ×3, first 2 shown]
	s_and_saveexec_b64 s[24:25], s[2:3]
	s_cbranch_execz .LBB99_16
; %bb.15:                               ;   in Loop: Header=BB99_14 Depth=1
	ds_write_b32 v43, v3
.LBB99_16:                              ;   in Loop: Header=BB99_14 Depth=1
	s_or_b64 exec, exec, s[24:25]
	s_mov_b32 s39, 0
	s_mov_b64 s[24:25], 0
	v_mov_b32_e32 v5, v34
	s_branch .LBB99_18
.LBB99_17:                              ;   in Loop: Header=BB99_18 Depth=2
	s_or_b64 exec, exec, s[74:75]
	s_add_i32 s39, s39, 2
	v_cmp_eq_u32_e64 s[26:27], 8, s39
	s_or_b64 s[24:25], s[26:27], s[24:25]
	v_add_u32_e32 v5, 0x800, v5
	s_andn2_b64 exec, exec, s[24:25]
	s_cbranch_execz .LBB99_22
.LBB99_18:                              ;   Parent Loop BB99_14 Depth=1
                                        ; =>  This Inner Loop Header: Depth=2
	s_or_b32 s26, s39, 1
	v_cmp_le_u32_e64 s[26:27], s26, 7
	v_cmp_le_u32_e64 s[76:77], s39, 7
	s_and_saveexec_b64 s[74:75], s[76:77]
	s_cbranch_execz .LBB99_20
; %bb.19:                               ;   in Loop: Header=BB99_18 Depth=2
	ds_write_b32 v5, v3
.LBB99_20:                              ;   in Loop: Header=BB99_18 Depth=2
	s_or_b64 exec, exec, s[74:75]
	s_and_saveexec_b64 s[74:75], s[26:27]
	s_cbranch_execz .LBB99_17
; %bb.21:                               ;   in Loop: Header=BB99_18 Depth=2
	ds_write_b32 v5, v3 offset:1024
	s_branch .LBB99_17
.LBB99_22:                              ;   in Loop: Header=BB99_14 Depth=1
	s_or_b64 exec, exec, s[24:25]
	s_and_saveexec_b64 s[24:25], s[4:5]
	s_cbranch_execz .LBB99_24
; %bb.23:                               ;   in Loop: Header=BB99_14 Depth=1
	v_pk_mov_b32 v[16:17], s[52:53], s[52:53] op_sel:[0,1]
	ds_write_b64 v3, v[16:17] offset:9728
.LBB99_24:                              ;   in Loop: Header=BB99_14 Depth=1
	s_or_b64 exec, exec, s[24:25]
	s_andn2_b64 vcc, exec, s[40:41]
	v_pk_mov_b32 v[16:17], s[52:53], s[52:53] op_sel:[0,1]
	s_waitcnt lgkmcnt(0)
	s_barrier
	s_cbranch_vccnz .LBB99_59
; %bb.25:                               ;   in Loop: Header=BB99_14 Depth=1
	s_cmp_lg_u64 s[72:73], 0
	s_cselect_b64 s[74:75], -1, 0
	v_pk_mov_b32 v[16:17], s[52:53], s[52:53] op_sel:[0,1]
	s_mov_b64 s[76:77], s[34:35]
	s_branch .LBB99_27
.LBB99_26:                              ;   in Loop: Header=BB99_27 Depth=2
	s_or_b64 exec, exec, s[26:27]
	s_add_u32 s76, s76, 16
	s_addc_u32 s77, s77, 0
	v_pk_mov_b32 v[18:19], s[60:61], s[60:61] op_sel:[0,1]
	v_cmp_lt_i64_e32 vcc, s[76:77], v[18:19]
	s_cbranch_vccz .LBB99_59
.LBB99_27:                              ;   Parent Loop BB99_14 Depth=1
                                        ; =>  This Loop Header: Depth=2
                                        ;       Child Loop BB99_42 Depth 3
                                        ;         Child Loop BB99_54 Depth 4
                                        ;         Child Loop BB99_50 Depth 4
	v_mov_b32_e32 v5, s77
	v_add_co_u32_e32 v18, vcc, s76, v2
	v_addc_co_u32_e32 v19, vcc, 0, v5, vcc
	v_cmp_gt_i64_e64 s[24:25], s[60:61], v[18:19]
	s_barrier
	s_and_saveexec_b64 s[26:27], s[24:25]
	s_cbranch_execz .LBB99_31
; %bb.28:                               ;   in Loop: Header=BB99_27 Depth=2
	v_mov_b32_e32 v5, 0
	s_and_saveexec_b64 s[78:79], s[66:67]
	s_cbranch_execz .LBB99_30
; %bb.29:                               ;   in Loop: Header=BB99_27 Depth=2
	v_mul_lo_u32 v5, v19, s42
	v_mul_lo_u32 v22, v18, s43
	v_mad_u64_u32 v[20:21], s[80:81], v18, s42, 0
	v_add3_u32 v21, v21, v22, v5
	v_lshlrev_b64 v[20:21], 2, v[20:21]
	v_add_co_u32_e32 v20, vcc, v36, v20
	v_addc_co_u32_e32 v21, vcc, v37, v21, vcc
	global_load_dword v5, v[20:21], off
.LBB99_30:                              ;   in Loop: Header=BB99_27 Depth=2
	s_or_b64 exec, exec, s[78:79]
	s_waitcnt vmcnt(0)
	ds_write_b32 v35, v5
.LBB99_31:                              ;   in Loop: Header=BB99_27 Depth=2
	s_or_b64 exec, exec, s[26:27]
	v_pk_mov_b32 v[20:21], 0, 0
	v_lshlrev_b64 v[18:19], 3, v[18:19]
	s_waitcnt lgkmcnt(0)
	s_barrier
	s_and_saveexec_b64 s[78:79], s[24:25]
	s_cbranch_execz .LBB99_57
; %bb.32:                               ;   in Loop: Header=BB99_27 Depth=2
	v_mov_b32_e32 v5, s45
	v_add_co_u32_e32 v20, vcc, s44, v18
	v_addc_co_u32_e32 v21, vcc, v5, v19, vcc
	global_load_dwordx2 v[22:23], v[20:21], off
	s_and_b64 vcc, exec, s[74:75]
	s_cbranch_vccz .LBB99_34
; %bb.33:                               ;   in Loop: Header=BB99_27 Depth=2
	v_mov_b32_e32 v5, s63
	v_add_co_u32_e32 v20, vcc, s62, v18
	v_addc_co_u32_e32 v21, vcc, v5, v19, vcc
	global_load_dwordx2 v[20:21], v[20:21], off
	s_mov_b64 s[26:27], 0
	s_branch .LBB99_35
.LBB99_34:                              ;   in Loop: Header=BB99_27 Depth=2
	s_mov_b64 s[26:27], -1
                                        ; implicit-def: $vgpr20_vgpr21
.LBB99_35:                              ;   in Loop: Header=BB99_27 Depth=2
	v_mov_b32_e32 v5, s90
	s_waitcnt vmcnt(0)
	v_subrev_co_u32_e32 v22, vcc, s28, v22
	v_subb_co_u32_e32 v23, vcc, v23, v5, vcc
	s_andn2_b64 vcc, exec, s[26:27]
	v_lshlrev_b64 v[22:23], 3, v[22:23]
	s_cbranch_vccnz .LBB99_37
; %bb.36:                               ;   in Loop: Header=BB99_27 Depth=2
	v_mov_b32_e32 v5, s49
	v_add_co_u32_e32 v20, vcc, s48, v22
	v_addc_co_u32_e32 v21, vcc, v5, v23, vcc
	global_load_dwordx2 v[20:21], v[20:21], off
	v_mov_b32_e32 v5, s33
	s_waitcnt vmcnt(0)
	v_subrev_co_u32_e32 v20, vcc, s29, v20
	v_subb_co_u32_e32 v21, vcc, v21, v5, vcc
.LBB99_37:                              ;   in Loop: Header=BB99_27 Depth=2
	v_mov_b32_e32 v5, s93
	v_add_co_u32_e32 v22, vcc, s31, v22
	v_addc_co_u32_e32 v23, vcc, v5, v23, vcc
	global_load_dwordx2 v[22:23], v[22:23], off
	v_mov_b32_e32 v5, s33
	s_waitcnt vmcnt(0)
	v_subrev_co_u32_e32 v22, vcc, s29, v22
	v_subb_co_u32_e32 v23, vcc, v23, v5, vcc
	v_cmp_lt_i64_e32 vcc, v[20:21], v[22:23]
	s_and_saveexec_b64 s[80:81], vcc
	s_cbranch_execz .LBB99_56
; %bb.38:                               ;   in Loop: Header=BB99_27 Depth=2
	v_mad_u64_u32 v[24:25], s[26:27], s56, v20, v[6:7]
	v_mul_lo_u32 v5, s56, v21
	v_mul_lo_u32 v26, s57, v20
	v_add3_u32 v5, v26, v25, v5
	v_pk_mov_b32 v[26:27], s[64:65], s[64:65] op_sel:[0,1]
	v_mul_lo_u32 v28, s55, v24
	v_mul_lo_u32 v5, s54, v5
	v_mad_u64_u32 v[24:25], s[26:27], s54, v24, v[26:27]
	v_add3_u32 v25, v28, v25, v5
	v_mad_u64_u32 v[26:27], s[26:27], s68, v20, v[10:11]
	v_mul_lo_u32 v5, s68, v21
	v_mul_lo_u32 v28, s69, v20
	v_add3_u32 v27, v28, v27, v5
	s_mov_b64 s[82:83], 0
	v_pk_mov_b32 v[28:29], v[20:21], v[20:21] op_sel:[0,1]
	s_branch .LBB99_42
.LBB99_39:                              ;   in Loop: Header=BB99_42 Depth=3
	v_lshlrev_b32_e32 v5, 4, v5
	v_or3_b32 v5, v5, v38, v4
	v_lshlrev_b32_e32 v5, 2, v5
	v_mul_f32_e32 v30, v32, v56
	ds_add_f32 v5, v30
.LBB99_40:                              ;   in Loop: Header=BB99_42 Depth=3
	s_or_b64 exec, exec, s[86:87]
	s_or_b64 s[26:27], s[26:27], exec
.LBB99_41:                              ;   in Loop: Header=BB99_42 Depth=3
	s_or_b64 exec, exec, s[84:85]
	v_add_co_u32_e32 v20, vcc, 1, v20
	v_addc_co_u32_e32 v21, vcc, 0, v21, vcc
	v_cmp_ge_i64_e32 vcc, v[20:21], v[22:23]
	s_xor_b64 s[26:27], s[26:27], -1
	s_or_b64 s[26:27], s[26:27], vcc
	v_mov_b32_e32 v5, s69
	v_add_co_u32_e32 v24, vcc, s68, v24
	v_addc_co_u32_e32 v25, vcc, v25, v5, vcc
	s_and_b64 s[26:27], exec, s[26:27]
	v_add_co_u32_e32 v26, vcc, s68, v26
	s_or_b64 s[82:83], s[26:27], s[82:83]
	v_addc_co_u32_e32 v27, vcc, v27, v5, vcc
	s_andn2_b64 exec, exec, s[82:83]
	s_cbranch_execz .LBB99_55
.LBB99_42:                              ;   Parent Loop BB99_14 Depth=1
                                        ;     Parent Loop BB99_27 Depth=2
                                        ; =>    This Loop Header: Depth=3
                                        ;         Child Loop BB99_54 Depth 4
                                        ;         Child Loop BB99_50 Depth 4
	v_lshlrev_b64 v[30:31], 3, v[20:21]
	v_mov_b32_e32 v5, s51
	v_add_co_u32_e32 v30, vcc, s50, v30
	v_addc_co_u32_e32 v31, vcc, v5, v31, vcc
	global_load_dwordx2 v[30:31], v[30:31], off
	v_mov_b32_e32 v5, s33
	s_waitcnt vmcnt(0)
	v_subrev_co_u32_e32 v30, vcc, s29, v30
	v_subb_co_u32_e32 v31, vcc, v31, v5, vcc
	v_cmp_gt_i64_e64 s[26:27], s[72:73], v[30:31]
	v_cmp_ge_i64_e32 vcc, v[30:31], v[14:15]
	s_or_b64 s[84:85], s[26:27], vcc
                                        ; implicit-def: $sgpr26_sgpr27
	s_and_saveexec_b64 s[86:87], s[84:85]
	s_xor_b64 s[84:85], exec, s[86:87]
	s_cbranch_execz .LBB99_46
; %bb.43:                               ;   in Loop: Header=BB99_42 Depth=3
	s_mov_b64 s[26:27], -1
	s_and_saveexec_b64 s[86:87], vcc
; %bb.44:                               ;   in Loop: Header=BB99_42 Depth=3
	v_cmp_lt_i64_e32 vcc, v[30:31], v[16:17]
	v_cndmask_b32_e32 v17, v17, v31, vcc
	v_cndmask_b32_e32 v16, v16, v30, vcc
	s_xor_b64 s[26:27], exec, -1
	v_pk_mov_b32 v[28:29], v[20:21], v[20:21] op_sel:[0,1]
; %bb.45:                               ;   in Loop: Header=BB99_42 Depth=3
	s_or_b64 exec, exec, s[86:87]
	s_and_b64 s[26:27], s[26:27], exec
                                        ; implicit-def: $vgpr30_vgpr31
.LBB99_46:                              ;   in Loop: Header=BB99_42 Depth=3
	s_andn2_saveexec_b64 s[84:85], s[84:85]
	s_cbranch_execz .LBB99_41
; %bb.47:                               ;   in Loop: Header=BB99_42 Depth=3
	v_subrev_u32_e32 v5, s72, v30
	v_lshlrev_b32_e32 v30, 2, v5
	ds_write_b32 v30, v55 offset:9216
	s_and_saveexec_b64 s[86:87], s[46:47]
	s_cbranch_execz .LBB99_40
; %bb.48:                               ;   in Loop: Header=BB99_42 Depth=3
	s_andn2_b64 vcc, exec, s[58:59]
	s_cbranch_vccnz .LBB99_52
; %bb.49:                               ;   in Loop: Header=BB99_42 Depth=3
	v_mov_b32_e32 v56, 0
	v_mov_b32_e32 v57, v50
	s_mov_b64 s[88:89], s[54:55]
	v_pk_mov_b32 v[30:31], v[24:25], v[24:25] op_sel:[0,1]
.LBB99_50:                              ;   Parent Loop BB99_14 Depth=1
                                        ;     Parent Loop BB99_27 Depth=2
                                        ;       Parent Loop BB99_42 Depth=3
                                        ; =>      This Inner Loop Header: Depth=4
	global_load_dword v58, v[30:31], off
	ds_read_b32 v59, v57
	s_add_u32 s88, s88, -1
	v_add_co_u32_e32 v30, vcc, 4, v30
	s_addc_u32 s89, s89, -1
	v_addc_co_u32_e32 v31, vcc, 0, v31, vcc
	v_add_u32_e32 v57, 16, v57
	s_cmp_lg_u64 s[88:89], 0
	s_waitcnt vmcnt(0) lgkmcnt(0)
	v_fmac_f32_e32 v56, v59, v58
	s_cbranch_scc1 .LBB99_50
; %bb.51:                               ;   in Loop: Header=BB99_42 Depth=3
	s_branch .LBB99_39
.LBB99_52:                              ;   in Loop: Header=BB99_42 Depth=3
                                        ; implicit-def: $vgpr56
	s_cbranch_execz .LBB99_39
; %bb.53:                               ;   in Loop: Header=BB99_42 Depth=3
	v_mov_b32_e32 v56, 0
	v_mov_b32_e32 v57, v51
	v_pk_mov_b32 v[30:31], v[26:27], v[26:27] op_sel:[0,1]
	s_mov_b64 s[88:89], s[54:55]
.LBB99_54:                              ;   Parent Loop BB99_14 Depth=1
                                        ;     Parent Loop BB99_27 Depth=2
                                        ;       Parent Loop BB99_42 Depth=3
                                        ; =>      This Inner Loop Header: Depth=4
	global_load_dword v58, v[30:31], off
	ds_read_b32 v59, v57
	s_add_u32 s88, s88, -1
	v_mov_b32_e32 v60, s57
	v_add_co_u32_e32 v30, vcc, s56, v30
	s_addc_u32 s89, s89, -1
	v_add_u32_e32 v57, 4, v57
	v_addc_co_u32_e32 v31, vcc, v31, v60, vcc
	s_cmp_eq_u64 s[88:89], 0
	s_waitcnt vmcnt(0) lgkmcnt(0)
	v_fmac_f32_e32 v56, v59, v58
	s_cbranch_scc0 .LBB99_54
	s_branch .LBB99_39
.LBB99_55:                              ;   in Loop: Header=BB99_27 Depth=2
	s_or_b64 exec, exec, s[82:83]
	v_pk_mov_b32 v[20:21], v[28:29], v[28:29] op_sel:[0,1]
.LBB99_56:                              ;   in Loop: Header=BB99_27 Depth=2
	s_or_b64 exec, exec, s[80:81]
.LBB99_57:                              ;   in Loop: Header=BB99_27 Depth=2
	s_or_b64 exec, exec, s[78:79]
	s_waitcnt lgkmcnt(0)
	s_barrier
	s_and_saveexec_b64 s[26:27], s[24:25]
	s_cbranch_execz .LBB99_26
; %bb.58:                               ;   in Loop: Header=BB99_27 Depth=2
	v_mov_b32_e32 v5, s63
	v_add_co_u32_e32 v18, vcc, s62, v18
	v_addc_co_u32_e32 v19, vcc, v5, v19, vcc
	global_store_dwordx2 v[18:19], v[20:21], off
	s_branch .LBB99_26
.LBB99_59:                              ;   in Loop: Header=BB99_14 Depth=1
	s_andn2_b64 vcc, exec, s[0:1]
	s_cbranch_vccnz .LBB99_71
; %bb.60:                               ;   in Loop: Header=BB99_14 Depth=1
	s_load_dwordx4 s[24:27], s[36:37], 0x0
	s_waitcnt lgkmcnt(0)
	s_sub_u32 s26, s26, s91
	v_mov_b32_e32 v5, s25
	v_add_co_u32_e32 v22, vcc, s24, v39
	s_subb_u32 s27, s27, 0
	v_addc_co_u32_e32 v23, vcc, v5, v40, vcc
	v_cmp_gt_i64_e32 vcc, s[26:27], v[22:23]
	s_and_saveexec_b64 s[74:75], vcc
	s_cbranch_execz .LBB99_70
; %bb.61:                               ;   in Loop: Header=BB99_14 Depth=1
	v_readlane_b32 s76, v61, 0
	v_lshlrev_b64 v[18:19], 3, v[22:23]
	v_readlane_b32 s78, v61, 2
	v_readlane_b32 s79, v61, 3
	;; [unrolled: 1-line block ×3, first 2 shown]
	v_mov_b32_e32 v5, s79
	v_add_co_u32_e32 v18, vcc, s78, v18
	v_addc_co_u32_e32 v19, vcc, v5, v19, vcc
	v_mad_u64_u32 v[20:21], s[76:77], s68, v22, v[8:9]
	v_mul_lo_u32 v5, s68, v23
	v_mul_lo_u32 v22, s69, v22
	v_add3_u32 v21, v22, v21, v5
	v_mov_b32_e32 v5, s25
	v_add_co_u32_e32 v22, vcc, s24, v52
	v_addc_co_u32_e32 v23, vcc, v53, v5, vcc
	s_mov_b64 s[76:77], 0
	v_readlane_b32 s80, v61, 4
	v_readlane_b32 s81, v61, 5
	;; [unrolled: 1-line block ×4, first 2 shown]
	s_branch .LBB99_64
.LBB99_62:                              ;   in Loop: Header=BB99_64 Depth=2
	s_or_b64 exec, exec, s[80:81]
	s_or_b64 s[24:25], s[24:25], exec
.LBB99_63:                              ;   in Loop: Header=BB99_64 Depth=2
	s_or_b64 exec, exec, s[78:79]
	v_cmp_le_i64_e32 vcc, s[26:27], v[22:23]
	s_xor_b64 s[24:25], s[24:25], -1
	s_or_b64 s[24:25], s[24:25], vcc
	v_add_co_u32_e32 v18, vcc, 0x80, v18
	v_addc_co_u32_e32 v19, vcc, 0, v19, vcc
	v_mov_b32_e32 v5, s71
	v_add_co_u32_e32 v20, vcc, s70, v20
	v_addc_co_u32_e32 v21, vcc, v21, v5, vcc
	s_and_b64 s[24:25], exec, s[24:25]
	v_add_co_u32_e32 v22, vcc, 16, v22
	s_or_b64 s[76:77], s[24:25], s[76:77]
	v_addc_co_u32_e32 v23, vcc, 0, v23, vcc
	s_andn2_b64 exec, exec, s[76:77]
	s_cbranch_execz .LBB99_69
.LBB99_64:                              ;   Parent Loop BB99_14 Depth=1
                                        ; =>  This Inner Loop Header: Depth=2
	global_load_dwordx2 v[24:25], v[18:19], off
	v_mov_b32_e32 v5, s92
	s_waitcnt vmcnt(0)
	v_subrev_co_u32_e32 v24, vcc, s91, v24
	v_subb_co_u32_e32 v25, vcc, v25, v5, vcc
	v_cmp_lt_i64_e32 vcc, v[24:25], v[14:15]
	v_cmp_gt_i64_e64 s[24:25], s[72:73], v[24:25]
	s_xor_b64 s[78:79], vcc, -1
	s_or_b64 s[78:79], s[24:25], s[78:79]
                                        ; implicit-def: $sgpr24_sgpr25
	s_and_saveexec_b64 s[80:81], s[78:79]
	s_xor_b64 s[78:79], exec, s[80:81]
; %bb.65:                               ;   in Loop: Header=BB99_64 Depth=2
	v_cmp_lt_i64_e64 s[24:25], v[24:25], v[16:17]
	v_cndmask_b32_e64 v5, v16, v24, s[24:25]
	v_cndmask_b32_e64 v24, v17, v25, s[24:25]
	v_cndmask_b32_e32 v17, v24, v17, vcc
	v_cndmask_b32_e32 v16, v5, v16, vcc
	s_and_b64 s[24:25], vcc, exec
                                        ; implicit-def: $vgpr24
; %bb.66:                               ;   in Loop: Header=BB99_64 Depth=2
	s_andn2_saveexec_b64 s[78:79], s[78:79]
	s_cbranch_execz .LBB99_63
; %bb.67:                               ;   in Loop: Header=BB99_64 Depth=2
	v_subrev_u32_e32 v5, s72, v24
	v_lshlrev_b32_e32 v24, 2, v5
	ds_write_b32 v24, v55 offset:9216
	s_and_saveexec_b64 s[80:81], s[66:67]
	s_cbranch_execz .LBB99_62
; %bb.68:                               ;   in Loop: Header=BB99_64 Depth=2
	global_load_dword v24, v[20:21], off
	v_lshlrev_b32_e32 v5, 4, v5
	v_or3_b32 v5, v5, v38, v4
	v_lshlrev_b32_e32 v5, 2, v5
	s_waitcnt vmcnt(0)
	v_mul_f32_e32 v24, v33, v24
	ds_add_f32 v5, v24
	s_branch .LBB99_62
.LBB99_69:                              ;   in Loop: Header=BB99_14 Depth=1
	s_or_b64 exec, exec, s[76:77]
.LBB99_70:                              ;   in Loop: Header=BB99_14 Depth=1
	s_or_b64 exec, exec, s[74:75]
.LBB99_71:                              ;   in Loop: Header=BB99_14 Depth=1
	s_and_saveexec_b64 s[24:25], s[6:7]
	s_cbranch_execz .LBB99_76
; %bb.72:                               ;   in Loop: Header=BB99_14 Depth=1
	s_mov_b64 s[74:75], exec
	s_mov_b64 s[26:27], -1
.LBB99_73:                              ;   Parent Loop BB99_14 Depth=1
                                        ; =>  This Inner Loop Header: Depth=2
	s_ff1_i32_b64 s39, s[74:75]
	v_readlane_b32 s78, v17, s39
	v_readlane_b32 s79, v16, s39
	v_mov_b32_e32 v14, s79
	v_mov_b32_e32 v15, s78
	v_cmp_lt_u64_e32 vcc, s[26:27], v[14:15]
	s_and_b64 s[76:77], vcc, exec
	s_cselect_b32 s27, s27, s78
	s_cselect_b32 s26, s26, s79
	s_lshl_b64 s[76:77], 1, s39
	s_andn2_b64 s[74:75], s[74:75], s[76:77]
	s_cmp_lg_u64 s[74:75], 0
	s_cbranch_scc1 .LBB99_73
; %bb.74:                               ;   in Loop: Header=BB99_14 Depth=1
	v_mbcnt_lo_u32_b32 v5, exec_lo, 0
	v_mbcnt_hi_u32_b32 v5, exec_hi, v5
	v_cmp_eq_u32_e32 vcc, 0, v5
	s_and_saveexec_b64 s[74:75], vcc
	s_xor_b64 s[74:75], exec, s[74:75]
	s_cbranch_execz .LBB99_76
; %bb.75:                               ;   in Loop: Header=BB99_14 Depth=1
	v_pk_mov_b32 v[14:15], s[26:27], s[26:27] op_sel:[0,1]
	ds_min_u64 v3, v[14:15] offset:9728
.LBB99_76:                              ;   in Loop: Header=BB99_14 Depth=1
	s_or_b64 exec, exec, s[24:25]
	s_waitcnt lgkmcnt(0)
	s_barrier
	ds_read_b32 v5, v41
	s_waitcnt lgkmcnt(0)
	s_barrier
	s_and_saveexec_b64 s[24:25], s[10:11]
	s_cbranch_execz .LBB99_78
; %bb.77:                               ;   in Loop: Header=BB99_14 Depth=1
	ds_read_b32 v14, v42
	s_waitcnt lgkmcnt(0)
	v_add_u32_e32 v5, v14, v5
.LBB99_78:                              ;   in Loop: Header=BB99_14 Depth=1
	s_or_b64 exec, exec, s[24:25]
	s_barrier
	ds_write_b32 v41, v5
	s_waitcnt lgkmcnt(0)
	s_barrier
	s_and_saveexec_b64 s[24:25], s[12:13]
	s_cbranch_execz .LBB99_80
; %bb.79:                               ;   in Loop: Header=BB99_14 Depth=1
	ds_read_b32 v14, v44
	s_waitcnt lgkmcnt(0)
	v_add_u32_e32 v5, v14, v5
.LBB99_80:                              ;   in Loop: Header=BB99_14 Depth=1
	s_or_b64 exec, exec, s[24:25]
	s_barrier
	ds_write_b32 v41, v5
	;; [unrolled: 12-line block ×7, first 2 shown]
	s_waitcnt lgkmcnt(0)
	s_barrier
	ds_read_b32 v17, v3 offset:9724
	v_mov_b32_e32 v14, 0
	s_and_saveexec_b64 s[24:25], s[8:9]
	s_cbranch_execz .LBB99_92
; %bb.91:                               ;   in Loop: Header=BB99_14 Depth=1
	ds_read_b32 v14, v42
.LBB99_92:                              ;   in Loop: Header=BB99_14 Depth=1
	s_or_b64 exec, exec, s[24:25]
	s_waitcnt lgkmcnt(0)
	v_cmp_eq_u32_e32 vcc, v5, v14
	s_and_b64 s[26:27], s[8:9], vcc
	s_barrier
	s_and_saveexec_b64 s[24:25], s[26:27]
	s_cbranch_execz .LBB99_94
; %bb.93:                               ;   in Loop: Header=BB99_14 Depth=1
	ds_write_b32 v41, v3
.LBB99_94:                              ;   in Loop: Header=BB99_14 Depth=1
	s_or_b64 exec, exec, s[24:25]
	v_add_co_u32_e32 v18, vcc, -1, v12
	s_add_u32 s39, s30, s72
	v_addc_co_u32_e32 v19, vcc, -1, v13, vcc
	s_addc_u32 s72, 0, s73
	s_mov_b64 s[24:25], 0
	v_mov_b32_e32 v20, v54
	v_mov_b32_e32 v21, v34
	v_pk_mov_b32 v[14:15], v[2:3], v[2:3] op_sel:[0,1]
	s_waitcnt lgkmcnt(0)
	s_barrier
	s_branch .LBB99_96
.LBB99_95:                              ;   in Loop: Header=BB99_96 Depth=2
	s_or_b64 exec, exec, s[26:27]
	v_add_co_u32_e32 v14, vcc, 16, v14
	v_addc_co_u32_e32 v15, vcc, 0, v15, vcc
	v_add_u32_e32 v5, -16, v14
	v_cmp_lt_u32_e32 vcc, s38, v5
	v_add_u32_e32 v21, 0x400, v21
	s_or_b64 s[24:25], vcc, s[24:25]
	v_add_u32_e32 v20, 64, v20
	s_andn2_b64 exec, exec, s[24:25]
	s_cbranch_execz .LBB99_13
.LBB99_96:                              ;   Parent Loop BB99_14 Depth=1
                                        ; =>  This Inner Loop Header: Depth=2
	ds_read_b32 v16, v20
	s_waitcnt lgkmcnt(0)
	v_cmp_ne_u32_e32 vcc, 0, v16
	s_and_saveexec_b64 s[26:27], vcc
	s_cbranch_execz .LBB99_95
; %bb.97:                               ;   in Loop: Header=BB99_96 Depth=2
	v_mov_b32_e32 v23, s72
	v_add_co_u32_e32 v22, vcc, s39, v14
	v_addc_co_u32_e32 v23, vcc, v23, v15, vcc
	v_ashrrev_i32_e32 v5, 31, v16
	v_add_co_u32_e32 v24, vcc, v12, v16
	v_addc_co_u32_e32 v25, vcc, v13, v5, vcc
	v_lshlrev_b64 v[24:25], 3, v[24:25]
	v_mov_b32_e32 v26, s95
	v_add_co_u32_e32 v24, vcc, s94, v24
	v_addc_co_u32_e32 v25, vcc, v26, v25, vcc
	global_store_dwordx2 v[24:25], v[22:23], off
	s_and_b64 exec, exec, s[66:67]
	s_cbranch_execz .LBB99_95
; %bb.98:                               ;   in Loop: Header=BB99_96 Depth=2
	v_add_co_u32_e32 v16, vcc, v18, v16
	v_addc_co_u32_e32 v5, vcc, v19, v5, vcc
	ds_read_b32 v24, v21
	v_mul_lo_u32 v5, v5, s42
	v_mul_lo_u32 v25, v16, s43
	v_mad_u64_u32 v[22:23], s[74:75], v16, s42, 0
	v_add3_u32 v23, v23, v25, v5
	v_lshlrev_b64 v[22:23], 2, v[22:23]
	v_add_co_u32_e32 v22, vcc, v0, v22
	v_addc_co_u32_e32 v23, vcc, v1, v23, vcc
	s_waitcnt lgkmcnt(0)
	global_store_dword v[22:23], v24, off
	s_branch .LBB99_95
.LBB99_99:
	s_endpgm
	.section	.rodata,"a",@progbits
	.p2align	6, 0x0
	.amdhsa_kernel _ZN9rocsparseL38bsrgemm_block_per_row_atomic_multipassILj256ELj128ELj4EllfEEv20rocsparse_direction_T3_S2_PKS2_S4_NS_24const_host_device_scalarIT4_EEPKT2_S4_PKS6_SA_S4_SC_S7_SA_S4_SC_SA_PS2_PS6_PS8_21rocsparse_index_base_SG_SG_SG_bbb
		.amdhsa_group_segment_fixed_size 9736
		.amdhsa_private_segment_fixed_size 0
		.amdhsa_kernarg_size 180
		.amdhsa_user_sgpr_count 6
		.amdhsa_user_sgpr_private_segment_buffer 1
		.amdhsa_user_sgpr_dispatch_ptr 0
		.amdhsa_user_sgpr_queue_ptr 0
		.amdhsa_user_sgpr_kernarg_segment_ptr 1
		.amdhsa_user_sgpr_dispatch_id 0
		.amdhsa_user_sgpr_flat_scratch_init 0
		.amdhsa_user_sgpr_kernarg_preload_length 0
		.amdhsa_user_sgpr_kernarg_preload_offset 0
		.amdhsa_user_sgpr_private_segment_size 0
		.amdhsa_uses_dynamic_stack 0
		.amdhsa_system_sgpr_private_segment_wavefront_offset 0
		.amdhsa_system_sgpr_workgroup_id_x 1
		.amdhsa_system_sgpr_workgroup_id_y 0
		.amdhsa_system_sgpr_workgroup_id_z 0
		.amdhsa_system_sgpr_workgroup_info 0
		.amdhsa_system_vgpr_workitem_id 0
		.amdhsa_next_free_vgpr 62
		.amdhsa_next_free_sgpr 96
		.amdhsa_accum_offset 64
		.amdhsa_reserve_vcc 1
		.amdhsa_reserve_flat_scratch 0
		.amdhsa_float_round_mode_32 0
		.amdhsa_float_round_mode_16_64 0
		.amdhsa_float_denorm_mode_32 3
		.amdhsa_float_denorm_mode_16_64 3
		.amdhsa_dx10_clamp 1
		.amdhsa_ieee_mode 1
		.amdhsa_fp16_overflow 0
		.amdhsa_tg_split 0
		.amdhsa_exception_fp_ieee_invalid_op 0
		.amdhsa_exception_fp_denorm_src 0
		.amdhsa_exception_fp_ieee_div_zero 0
		.amdhsa_exception_fp_ieee_overflow 0
		.amdhsa_exception_fp_ieee_underflow 0
		.amdhsa_exception_fp_ieee_inexact 0
		.amdhsa_exception_int_div_zero 0
	.end_amdhsa_kernel
	.section	.text._ZN9rocsparseL38bsrgemm_block_per_row_atomic_multipassILj256ELj128ELj4EllfEEv20rocsparse_direction_T3_S2_PKS2_S4_NS_24const_host_device_scalarIT4_EEPKT2_S4_PKS6_SA_S4_SC_S7_SA_S4_SC_SA_PS2_PS6_PS8_21rocsparse_index_base_SG_SG_SG_bbb,"axG",@progbits,_ZN9rocsparseL38bsrgemm_block_per_row_atomic_multipassILj256ELj128ELj4EllfEEv20rocsparse_direction_T3_S2_PKS2_S4_NS_24const_host_device_scalarIT4_EEPKT2_S4_PKS6_SA_S4_SC_S7_SA_S4_SC_SA_PS2_PS6_PS8_21rocsparse_index_base_SG_SG_SG_bbb,comdat
.Lfunc_end99:
	.size	_ZN9rocsparseL38bsrgemm_block_per_row_atomic_multipassILj256ELj128ELj4EllfEEv20rocsparse_direction_T3_S2_PKS2_S4_NS_24const_host_device_scalarIT4_EEPKT2_S4_PKS6_SA_S4_SC_S7_SA_S4_SC_SA_PS2_PS6_PS8_21rocsparse_index_base_SG_SG_SG_bbb, .Lfunc_end99-_ZN9rocsparseL38bsrgemm_block_per_row_atomic_multipassILj256ELj128ELj4EllfEEv20rocsparse_direction_T3_S2_PKS2_S4_NS_24const_host_device_scalarIT4_EEPKT2_S4_PKS6_SA_S4_SC_S7_SA_S4_SC_SA_PS2_PS6_PS8_21rocsparse_index_base_SG_SG_SG_bbb
                                        ; -- End function
	.section	.AMDGPU.csdata,"",@progbits
; Kernel info:
; codeLenInByte = 3832
; NumSgprs: 100
; NumVgprs: 62
; NumAgprs: 0
; TotalNumVgprs: 62
; ScratchSize: 0
; MemoryBound: 0
; FloatMode: 240
; IeeeMode: 1
; LDSByteSize: 9736 bytes/workgroup (compile time only)
; SGPRBlocks: 12
; VGPRBlocks: 7
; NumSGPRsForWavesPerEU: 100
; NumVGPRsForWavesPerEU: 62
; AccumOffset: 64
; Occupancy: 6
; WaveLimiterHint : 1
; COMPUTE_PGM_RSRC2:SCRATCH_EN: 0
; COMPUTE_PGM_RSRC2:USER_SGPR: 6
; COMPUTE_PGM_RSRC2:TRAP_HANDLER: 0
; COMPUTE_PGM_RSRC2:TGID_X_EN: 1
; COMPUTE_PGM_RSRC2:TGID_Y_EN: 0
; COMPUTE_PGM_RSRC2:TGID_Z_EN: 0
; COMPUTE_PGM_RSRC2:TIDIG_COMP_CNT: 0
; COMPUTE_PGM_RSRC3_GFX90A:ACCUM_OFFSET: 15
; COMPUTE_PGM_RSRC3_GFX90A:TG_SPLIT: 0
	.section	.text._ZN9rocsparseL23bsrgemm_fill_wf_per_rowILj256ELj64ELj8ELj137ELj8EllfEEv20rocsparse_direction_T5_S2_S2_PKS2_S4_NS_24const_host_device_scalarIT6_EEPKT4_S4_PKS6_SA_S4_SC_S7_SA_S4_SC_SA_PS2_PS6_21rocsparse_index_base_SF_SF_SF_bbb,"axG",@progbits,_ZN9rocsparseL23bsrgemm_fill_wf_per_rowILj256ELj64ELj8ELj137ELj8EllfEEv20rocsparse_direction_T5_S2_S2_PKS2_S4_NS_24const_host_device_scalarIT6_EEPKT4_S4_PKS6_SA_S4_SC_S7_SA_S4_SC_SA_PS2_PS6_21rocsparse_index_base_SF_SF_SF_bbb,comdat
	.globl	_ZN9rocsparseL23bsrgemm_fill_wf_per_rowILj256ELj64ELj8ELj137ELj8EllfEEv20rocsparse_direction_T5_S2_S2_PKS2_S4_NS_24const_host_device_scalarIT6_EEPKT4_S4_PKS6_SA_S4_SC_S7_SA_S4_SC_SA_PS2_PS6_21rocsparse_index_base_SF_SF_SF_bbb ; -- Begin function _ZN9rocsparseL23bsrgemm_fill_wf_per_rowILj256ELj64ELj8ELj137ELj8EllfEEv20rocsparse_direction_T5_S2_S2_PKS2_S4_NS_24const_host_device_scalarIT6_EEPKT4_S4_PKS6_SA_S4_SC_S7_SA_S4_SC_SA_PS2_PS6_21rocsparse_index_base_SF_SF_SF_bbb
	.p2align	8
	.type	_ZN9rocsparseL23bsrgemm_fill_wf_per_rowILj256ELj64ELj8ELj137ELj8EllfEEv20rocsparse_direction_T5_S2_S2_PKS2_S4_NS_24const_host_device_scalarIT6_EEPKT4_S4_PKS6_SA_S4_SC_S7_SA_S4_SC_SA_PS2_PS6_21rocsparse_index_base_SF_SF_SF_bbb,@function
_ZN9rocsparseL23bsrgemm_fill_wf_per_rowILj256ELj64ELj8ELj137ELj8EllfEEv20rocsparse_direction_T5_S2_S2_PKS2_S4_NS_24const_host_device_scalarIT6_EEPKT4_S4_PKS6_SA_S4_SC_S7_SA_S4_SC_SA_PS2_PS6_21rocsparse_index_base_SF_SF_SF_bbb: ; @_ZN9rocsparseL23bsrgemm_fill_wf_per_rowILj256ELj64ELj8ELj137ELj8EllfEEv20rocsparse_direction_T5_S2_S2_PKS2_S4_NS_24const_host_device_scalarIT6_EEPKT4_S4_PKS6_SA_S4_SC_S7_SA_S4_SC_SA_PS2_PS6_21rocsparse_index_base_SF_SF_SF_bbb
; %bb.0:
	s_load_dword s7, s[4:5], 0xb0
	s_load_dwordx2 s[0:1], s[4:5], 0x30
	s_load_dwordx2 s[8:9], s[4:5], 0x68
	s_waitcnt lgkmcnt(0)
	s_bitcmp1_b32 s7, 0
	s_cselect_b64 s[2:3], -1, 0
	s_bitcmp1_b32 s7, 16
	s_cselect_b64 s[10:11], -1, 0
	s_xor_b64 s[12:13], s[2:3], -1
	s_or_b64 s[12:13], s[12:13], s[10:11]
	s_and_b64 vcc, exec, s[12:13]
	s_cbranch_vccnz .LBB100_2
; %bb.1:
	s_load_dword s0, s[0:1], 0x0
	s_waitcnt lgkmcnt(0)
	v_mov_b32_e32 v37, s0
	s_branch .LBB100_3
.LBB100_2:
	v_mov_b32_e32 v1, s0
	v_cndmask_b32_e64 v37, 0, v1, s[2:3]
.LBB100_3:
	s_bitcmp1_b32 s7, 8
	s_cselect_b64 s[0:1], -1, 0
	s_xor_b64 s[12:13], s[0:1], -1
	s_or_b64 s[10:11], s[12:13], s[10:11]
	s_and_b64 vcc, exec, s[10:11]
	s_cbranch_vccnz .LBB100_5
; %bb.4:
	s_load_dword s7, s[8:9], 0x0
	s_waitcnt lgkmcnt(0)
	v_mov_b32_e32 v36, s7
	s_branch .LBB100_6
.LBB100_5:
	v_mov_b32_e32 v1, s8
	v_cndmask_b32_e64 v36, 0, v1, s[0:1]
.LBB100_6:
	s_load_dwordx4 s[16:19], s[4:5], 0x8
	s_load_dwordx2 s[24:25], s[4:5], 0x18
	v_and_b32_e32 v4, 63, v0
	v_and_b32_e32 v1, 0xc0, v0
	v_lshrrev_b32_e32 v35, 6, v0
	v_or_b32_e32 v34, 0x2000, v1
	v_cmp_gt_u32_e32 vcc, 8, v4
	s_and_saveexec_b64 s[8:9], vcc
	s_cbranch_execz .LBB100_8
; %bb.7:
	v_lshl_add_u32 v1, v4, 3, v34
	s_waitcnt lgkmcnt(0)
	v_pk_mov_b32 v[2:3], s[18:19], s[18:19] op_sel:[0,1]
	ds_write_b64 v1, v[2:3]
.LBB100_8:
	s_or_b64 exec, exec, s[8:9]
	v_lshlrev_b32_e32 v1, 5, v0
	v_lshl_or_b32 v2, s6, 2, v35
	v_mov_b32_e32 v3, 0
	v_and_b32_e32 v1, 0x1800, v1
	v_lshl_or_b32 v5, v4, 2, v1
	s_waitcnt lgkmcnt(0)
	v_cmp_gt_i64_e32 vcc, s[16:17], v[2:3]
	ds_write2st64_b32 v5, v3, v3 offset1:1
	ds_write2st64_b32 v5, v3, v3 offset0:2 offset1:3
	ds_write2st64_b32 v5, v3, v3 offset0:4 offset1:5
	;; [unrolled: 1-line block ×3, first 2 shown]
	s_waitcnt lgkmcnt(0)
	s_barrier
	s_and_saveexec_b64 s[6:7], vcc
	s_cbranch_execz .LBB100_62
; %bb.9:
	s_load_dwordx2 s[6:7], s[4:5], 0x28
	s_load_dwordx4 s[20:23], s[4:5], 0xa0
	s_waitcnt lgkmcnt(0)
	s_cmp_eq_u64 s[6:7], 0
	s_cbranch_scc1 .LBB100_11
; %bb.10:
	s_load_dwordx2 s[8:9], s[4:5], 0x20
	v_lshlrev_b64 v[2:3], 3, v[2:3]
	s_waitcnt lgkmcnt(0)
	s_load_dwordx2 s[8:9], s[8:9], 0x0
	s_waitcnt lgkmcnt(0)
	s_lshl_b64 s[8:9], s[8:9], 3
	s_add_u32 s6, s6, s8
	s_addc_u32 s7, s7, s9
	v_mov_b32_e32 v5, s7
	v_add_co_u32_e32 v2, vcc, s6, v2
	v_addc_co_u32_e32 v3, vcc, v5, v3, vcc
	global_load_dwordx2 v[2:3], v[2:3], off
.LBB100_11:
	s_load_dwordx2 s[26:27], s[4:5], 0x98
	s_load_dwordx2 s[28:29], s[4:5], 0x88
	s_load_dword s57, s[4:5], 0x0
	v_and_b32_e32 v6, 7, v0
	v_lshrrev_b32_e32 v8, 3, v4
	s_andn2_b64 vcc, exec, s[2:3]
	s_waitcnt vmcnt(0)
	v_lshlrev_b64 v[10:11], 3, v[2:3]
	s_mul_i32 s33, s24, s25
	s_mul_hi_u32 s56, s24, s24
	s_mul_i32 s16, s24, s24
	s_cbranch_vccnz .LBB100_39
; %bb.12:
	s_load_dwordx2 s[2:3], s[4:5], 0x38
	s_waitcnt lgkmcnt(0)
	v_mov_b32_e32 v3, s3
	v_add_co_u32_e32 v2, vcc, s2, v10
	v_addc_co_u32_e32 v3, vcc, v3, v11, vcc
	global_load_dwordx4 v[2:5], v[2:3], off
	s_waitcnt vmcnt(0)
	v_cmp_lt_i64_e32 vcc, v[2:3], v[4:5]
	s_and_saveexec_b64 s[6:7], vcc
	s_cbranch_execz .LBB100_38
; %bb.13:
	v_subrev_co_u32_e32 v12, vcc, s20, v4
	v_subbrev_co_u32_e32 v13, vcc, 0, v5, vcc
	s_cmp_lg_u32 s57, 0
	s_mov_b32 s58, s20
	v_subrev_co_u32_e32 v14, vcc, s20, v2
	s_mov_b32 s59, s21
	v_mov_b32_e32 v7, 0
	s_cselect_b64 s[20:21], -1, 0
	v_and_b32_e32 v2, 56, v0
	s_add_i32 s17, s56, s33
	v_subbrev_co_u32_e32 v15, vcc, 0, v3, vcc
	v_lshlrev_b32_e32 v16, 2, v6
	v_mov_b32_e32 v9, v7
	v_lshlrev_b32_e32 v2, 2, v2
	s_add_i32 s17, s17, s33
	s_load_dwordx2 s[30:31], s[4:5], 0x60
	s_load_dwordx8 s[8:15], s[4:5], 0x40
	v_cmp_gt_u64_e64 s[2:3], s[24:25], v[8:9]
	v_add3_u32 v9, v1, v16, v2
	v_mul_lo_u32 v4, s17, v14
	v_mul_lo_u32 v5, s16, v15
	v_mad_u64_u32 v[2:3], s[38:39], s16, v14, 0
	v_add3_u32 v3, v3, v5, v4
	v_cmp_gt_i64_e32 vcc, s[24:25], v[6:7]
	v_lshlrev_b64 v[2:3], 2, v[2:3]
	v_lshlrev_b32_e32 v4, 2, v8
	s_and_b64 s[2:3], vcc, s[2:3]
	v_add_co_u32_e32 v2, vcc, v2, v4
	v_addc_co_u32_e32 v3, vcc, 0, v3, vcc
	s_waitcnt lgkmcnt(0)
	v_mov_b32_e32 v5, s11
	v_add_co_u32_e32 v18, vcc, s10, v2
	v_mov_b32_e32 v17, v7
	v_addc_co_u32_e32 v19, vcc, v5, v3, vcc
	v_mul_lo_u32 v5, s25, v14
	v_mul_lo_u32 v7, s24, v15
	v_mad_u64_u32 v[2:3], s[38:39], s24, v14, 0
	v_add3_u32 v3, v3, v7, v5
	v_lshlrev_b64 v[2:3], 2, v[2:3]
	v_add_co_u32_e32 v4, vcc, v2, v4
	v_addc_co_u32_e32 v2, vcc, 0, v3, vcc
	v_mul_lo_u32 v5, s24, v2
	v_pk_mov_b32 v[2:3], s[10:11], s[10:11] op_sel:[0,1]
	s_mov_b32 s40, 0
	v_mul_lo_u32 v7, s25, v4
	v_mad_u64_u32 v[20:21], s[10:11], s24, v4, v[2:3]
	v_mov_b32_e32 v2, s31
	v_add_co_u32_e32 v22, vcc, s30, v16
	s_mov_b32 s60, s40
	s_lshl_b64 s[34:35], s[24:25], 2
	s_lshl_b64 s[36:37], s[16:17], 2
	v_add3_u32 v21, v7, v21, v5
	v_addc_co_u32_e32 v23, vcc, 0, v2, vcc
	s_mov_b64 s[10:11], 0
	v_mov_b32_e32 v7, s9
	v_mov_b32_e32 v38, s40
	;; [unrolled: 1-line block ×3, first 2 shown]
	s_branch .LBB100_15
.LBB100_14:                             ;   in Loop: Header=BB100_15 Depth=1
	s_or_b64 exec, exec, s[38:39]
	v_add_co_u32_e32 v14, vcc, 1, v14
	v_addc_co_u32_e32 v15, vcc, 0, v15, vcc
	v_mov_b32_e32 v2, s37
	v_add_co_u32_e32 v18, vcc, s36, v18
	v_addc_co_u32_e32 v19, vcc, v19, v2, vcc
	v_cmp_ge_i64_e32 vcc, v[14:15], v[12:13]
	s_or_b64 s[10:11], vcc, s[10:11]
	v_add_co_u32_e32 v20, vcc, s36, v20
	v_addc_co_u32_e32 v21, vcc, v21, v2, vcc
	s_andn2_b64 exec, exec, s[10:11]
	s_cbranch_execz .LBB100_38
.LBB100_15:                             ; =>This Loop Header: Depth=1
                                        ;     Child Loop BB100_18 Depth 2
                                        ;       Child Loop BB100_25 Depth 3
                                        ;       Child Loop BB100_21 Depth 3
	;; [unrolled: 1-line block ×3, first 2 shown]
	v_lshlrev_b64 v[2:3], 3, v[14:15]
	v_add_co_u32_e32 v2, vcc, s8, v2
	v_addc_co_u32_e32 v3, vcc, v7, v3, vcc
	global_load_dwordx2 v[2:3], v[2:3], off
	s_waitcnt vmcnt(0)
	v_subrev_co_u32_e32 v2, vcc, s58, v2
	v_subb_co_u32_e32 v3, vcc, v3, v38, vcc
	v_lshlrev_b64 v[2:3], 3, v[2:3]
	v_add_co_u32_e32 v2, vcc, s12, v2
	v_addc_co_u32_e32 v3, vcc, v39, v3, vcc
	global_load_dwordx4 v[2:5], v[2:3], off
	s_waitcnt vmcnt(0)
	v_cmp_lt_i64_e32 vcc, v[2:3], v[4:5]
	s_and_saveexec_b64 s[38:39], vcc
	s_cbranch_execz .LBB100_14
; %bb.16:                               ;   in Loop: Header=BB100_15 Depth=1
	v_mov_b32_e32 v24, s60
	v_subrev_co_u32_e32 v4, vcc, s59, v4
	v_subb_co_u32_e32 v5, vcc, v5, v24, vcc
	v_subrev_co_u32_e32 v2, vcc, s59, v2
	v_subb_co_u32_e32 v3, vcc, v3, v24, vcc
	v_mul_lo_u32 v26, s34, v3
	v_mul_lo_u32 v27, s35, v2
	v_mad_u64_u32 v[24:25], s[40:41], s34, v2, v[16:17]
	v_add3_u32 v25, v27, v25, v26
	v_pk_mov_b32 v[26:27], s[30:31], s[30:31] op_sel:[0,1]
	v_mul_lo_u32 v28, s24, v25
	v_mul_lo_u32 v29, s25, v24
	v_mad_u64_u32 v[24:25], s[40:41], s24, v24, v[26:27]
	v_add3_u32 v25, v29, v25, v28
	v_mul_lo_u32 v28, s36, v3
	v_mul_lo_u32 v29, s37, v2
	v_mad_u64_u32 v[26:27], s[40:41], s36, v2, v[22:23]
	v_add3_u32 v27, v29, v27, v28
	s_mov_b64 s[40:41], 0
	s_branch .LBB100_18
.LBB100_17:                             ;   in Loop: Header=BB100_18 Depth=2
	s_or_b64 exec, exec, s[42:43]
	v_add_co_u32_e32 v2, vcc, 1, v2
	v_addc_co_u32_e32 v3, vcc, 0, v3, vcc
	v_mov_b32_e32 v28, s37
	v_add_co_u32_e32 v24, vcc, s36, v24
	v_addc_co_u32_e32 v25, vcc, v25, v28, vcc
	v_cmp_ge_i64_e32 vcc, v[2:3], v[4:5]
	s_or_b64 s[40:41], vcc, s[40:41]
	v_add_co_u32_e32 v26, vcc, s36, v26
	v_addc_co_u32_e32 v27, vcc, v27, v28, vcc
	s_andn2_b64 exec, exec, s[40:41]
	s_cbranch_execz .LBB100_14
.LBB100_18:                             ;   Parent Loop BB100_15 Depth=1
                                        ; =>  This Loop Header: Depth=2
                                        ;       Child Loop BB100_25 Depth 3
                                        ;       Child Loop BB100_21 Depth 3
	;; [unrolled: 1-line block ×3, first 2 shown]
	s_and_saveexec_b64 s[42:43], s[2:3]
	s_cbranch_execz .LBB100_17
; %bb.19:                               ;   in Loop: Header=BB100_18 Depth=2
	v_lshlrev_b64 v[28:29], 3, v[2:3]
	v_mov_b32_e32 v30, s15
	v_add_co_u32_e32 v28, vcc, s14, v28
	v_addc_co_u32_e32 v29, vcc, v30, v29, vcc
	global_load_dwordx2 v[28:29], v[28:29], off
	s_andn2_b64 vcc, exec, s[20:21]
	s_cbranch_vccnz .LBB100_23
; %bb.20:                               ;   in Loop: Header=BB100_18 Depth=2
	v_mov_b32_e32 v40, 0
	v_pk_mov_b32 v[30:31], v[18:19], v[18:19] op_sel:[0,1]
	s_mov_b64 s[44:45], s[24:25]
	v_pk_mov_b32 v[32:33], v[24:25], v[24:25] op_sel:[0,1]
.LBB100_21:                             ;   Parent Loop BB100_15 Depth=1
                                        ;     Parent Loop BB100_18 Depth=2
                                        ; =>    This Inner Loop Header: Depth=3
	global_load_dword v41, v[30:31], off
	global_load_dword v42, v[32:33], off
	v_add_co_u32_e32 v32, vcc, 4, v32
	v_addc_co_u32_e32 v33, vcc, 0, v33, vcc
	s_add_u32 s44, s44, -1
	v_mov_b32_e32 v43, s35
	v_add_co_u32_e32 v30, vcc, s34, v30
	s_addc_u32 s45, s45, -1
	v_addc_co_u32_e32 v31, vcc, v31, v43, vcc
	s_cmp_lg_u64 s[44:45], 0
	s_waitcnt vmcnt(0)
	v_fmac_f32_e32 v40, v41, v42
	s_cbranch_scc1 .LBB100_21
; %bb.22:                               ;   in Loop: Header=BB100_18 Depth=2
	s_branch .LBB100_26
.LBB100_23:                             ;   in Loop: Header=BB100_18 Depth=2
                                        ; implicit-def: $vgpr40
	s_cbranch_execz .LBB100_26
; %bb.24:                               ;   in Loop: Header=BB100_18 Depth=2
	v_mov_b32_e32 v40, 0
	v_pk_mov_b32 v[30:31], v[26:27], v[26:27] op_sel:[0,1]
	s_mov_b64 s[44:45], s[24:25]
	v_pk_mov_b32 v[32:33], v[20:21], v[20:21] op_sel:[0,1]
.LBB100_25:                             ;   Parent Loop BB100_15 Depth=1
                                        ;     Parent Loop BB100_18 Depth=2
                                        ; =>    This Inner Loop Header: Depth=3
	global_load_dword v41, v[32:33], off
	global_load_dword v42, v[30:31], off
	v_add_co_u32_e32 v32, vcc, 4, v32
	v_addc_co_u32_e32 v33, vcc, 0, v33, vcc
	s_add_u32 s44, s44, -1
	v_mov_b32_e32 v43, s35
	v_add_co_u32_e32 v30, vcc, s34, v30
	s_addc_u32 s45, s45, -1
	v_addc_co_u32_e32 v31, vcc, v31, v43, vcc
	s_cmp_eq_u64 s[44:45], 0
	s_waitcnt vmcnt(0)
	v_fmac_f32_e32 v40, v41, v42
	s_cbranch_scc0 .LBB100_25
.LBB100_26:                             ;   in Loop: Header=BB100_18 Depth=2
	v_mov_b32_e32 v30, s60
	s_waitcnt vmcnt(0)
	v_subrev_co_u32_e32 v28, vcc, s59, v28
	v_subb_co_u32_e32 v29, vcc, v29, v30, vcc
	v_mul_f32_e32 v31, v37, v40
	v_and_b32_e32 v30, 7, v28
	s_mov_b64 s[44:45], 0
	s_branch .LBB100_28
.LBB100_27:                             ;   in Loop: Header=BB100_28 Depth=3
	s_or_b64 exec, exec, s[46:47]
	s_xor_b64 s[46:47], s[48:49], -1
	s_and_b64 s[46:47], exec, s[46:47]
	s_or_b64 s[44:45], s[46:47], s[44:45]
	s_andn2_b64 exec, exec, s[44:45]
	s_cbranch_execz .LBB100_17
.LBB100_28:                             ;   Parent Loop BB100_15 Depth=1
                                        ;     Parent Loop BB100_18 Depth=2
                                        ; =>    This Inner Loop Header: Depth=3
	v_lshl_add_u32 v40, v30, 3, v34
	ds_read_b64 v[32:33], v40
                                        ; implicit-def: $sgpr48_sgpr49
	s_waitcnt lgkmcnt(0)
	v_cmp_ne_u64_e32 vcc, v[32:33], v[28:29]
	s_and_saveexec_b64 s[46:47], vcc
	s_xor_b64 s[46:47], exec, s[46:47]
	s_cbranch_execz .LBB100_36
; %bb.29:                               ;   in Loop: Header=BB100_28 Depth=3
	v_cmp_ne_u64_e32 vcc, s[18:19], v[32:33]
                                        ; implicit-def: $sgpr48_sgpr49
	s_and_saveexec_b64 s[50:51], vcc
	s_xor_b64 s[50:51], exec, s[50:51]
; %bb.30:                               ;   in Loop: Header=BB100_28 Depth=3
	v_add_u32_e32 v30, 1, v30
	v_and_b32_e32 v30, 7, v30
	s_mov_b64 s[48:49], -1
                                        ; implicit-def: $vgpr40
; %bb.31:                               ;   in Loop: Header=BB100_28 Depth=3
	s_andn2_saveexec_b64 s[50:51], s[50:51]
	s_cbranch_execz .LBB100_35
; %bb.32:                               ;   in Loop: Header=BB100_28 Depth=3
	v_pk_mov_b32 v[32:33], s[18:19], s[18:19] op_sel:[0,1]
	ds_cmpst_rtn_b64 v[32:33], v40, v[32:33], v[28:29]
	s_mov_b64 s[52:53], -1
	s_waitcnt lgkmcnt(0)
	v_cmp_eq_u64_e32 vcc, s[18:19], v[32:33]
	s_and_saveexec_b64 s[54:55], vcc
	s_cbranch_execz .LBB100_34
; %bb.33:                               ;   in Loop: Header=BB100_28 Depth=3
	v_lshl_add_u32 v32, v30, 8, v9
	ds_add_f32 v32, v31
	s_xor_b64 s[52:53], exec, -1
.LBB100_34:                             ;   in Loop: Header=BB100_28 Depth=3
	s_or_b64 exec, exec, s[54:55]
	s_andn2_b64 s[48:49], s[48:49], exec
	s_and_b64 s[52:53], s[52:53], exec
	s_or_b64 s[48:49], s[48:49], s[52:53]
.LBB100_35:                             ;   in Loop: Header=BB100_28 Depth=3
	s_or_b64 exec, exec, s[50:51]
	s_and_b64 s[48:49], s[48:49], exec
.LBB100_36:                             ;   in Loop: Header=BB100_28 Depth=3
	s_andn2_saveexec_b64 s[46:47], s[46:47]
	s_cbranch_execz .LBB100_27
; %bb.37:                               ;   in Loop: Header=BB100_28 Depth=3
	v_lshl_add_u32 v32, v30, 8, v9
	ds_add_f32 v32, v31
	s_andn2_b64 s[48:49], s[48:49], exec
	s_branch .LBB100_27
.LBB100_38:
	s_or_b64 exec, exec, s[6:7]
.LBB100_39:
	s_load_dwordx2 s[8:9], s[4:5], 0x90
	s_andn2_b64 vcc, exec, s[0:1]
	s_waitcnt lgkmcnt(0)
	s_barrier
	s_cbranch_vccnz .LBB100_57
; %bb.40:
	s_load_dwordx2 s[0:1], s[4:5], 0x70
	s_waitcnt lgkmcnt(0)
	v_mov_b32_e32 v3, s1
	v_add_co_u32_e32 v2, vcc, s0, v10
	v_addc_co_u32_e32 v3, vcc, v3, v11, vcc
	global_load_dwordx4 v[2:5], v[2:3], off
	s_waitcnt vmcnt(0)
	v_cmp_lt_i64_e32 vcc, v[2:3], v[4:5]
	s_and_saveexec_b64 s[10:11], vcc
	s_cbranch_execz .LBB100_56
; %bb.41:
	s_load_dwordx4 s[4:7], s[4:5], 0x78
	v_mad_u64_u32 v[12:13], s[2:3], v6, s24, 0
	v_subrev_co_u32_e32 v4, vcc, s23, v4
	v_mov_b32_e32 v14, v13
	v_subbrev_co_u32_e32 v5, vcc, 0, v5, vcc
	v_mad_u64_u32 v[14:15], s[2:3], v6, s25, v[14:15]
	v_subrev_co_u32_e32 v2, vcc, s23, v2
	v_mov_b32_e32 v13, v14
	v_subbrev_co_u32_e32 v3, vcc, 0, v3, vcc
	v_mov_b32_e32 v7, 0
	v_lshlrev_b64 v[12:13], 2, v[12:13]
	v_cmp_gt_i64_e32 vcc, s[24:25], v[6:7]
	v_mov_b32_e32 v9, v7
	s_waitcnt lgkmcnt(0)
	v_mov_b32_e32 v7, s7
	v_add_co_u32_e64 v14, s[2:3], s6, v12
	v_addc_co_u32_e64 v15, s[2:3], v7, v13, s[2:3]
	v_lshlrev_b64 v[12:13], 2, v[8:9]
	v_cmp_gt_u64_e64 s[0:1], s[24:25], v[8:9]
	v_add_co_u32_e64 v9, s[2:3], v14, v12
	v_addc_co_u32_e64 v17, s[2:3], v15, v13, s[2:3]
	v_mad_u64_u32 v[12:13], s[2:3], v8, s24, 0
	v_mov_b32_e32 v14, v13
	v_mad_u64_u32 v[14:15], s[2:3], v8, s25, v[14:15]
	v_mov_b32_e32 v13, v14
	v_lshlrev_b64 v[12:13], 2, v[12:13]
	v_add_co_u32_e64 v12, s[2:3], s6, v12
	v_lshlrev_b32_e32 v16, 2, v6
	v_addc_co_u32_e64 v7, s[2:3], v7, v13, s[2:3]
	v_add_co_u32_e64 v12, s[2:3], v12, v16
	s_cmp_eq_u32 s57, 0
	v_addc_co_u32_e64 v13, s[2:3], 0, v7, s[2:3]
	v_and_b32_e32 v7, 56, v0
	s_cselect_b64 s[2:3], -1, 0
	s_add_i32 s6, s56, s33
	v_lshlrev_b32_e32 v7, 2, v7
	s_mov_b32 s17, 0
	s_mov_b32 s38, s23
	s_add_i32 s23, s6, s33
	v_add3_u32 v7, v1, v16, v7
	s_and_b64 s[0:1], vcc, s[0:1]
	v_cndmask_b32_e64 v1, v17, v13, s[2:3]
	v_cndmask_b32_e64 v12, v9, v12, s[2:3]
	s_mov_b64 s[2:3], 0
	s_branch .LBB100_43
.LBB100_42:                             ;   in Loop: Header=BB100_43 Depth=1
	s_or_b64 exec, exec, s[6:7]
	v_add_co_u32_e32 v2, vcc, 1, v2
	v_addc_co_u32_e32 v3, vcc, 0, v3, vcc
	v_cmp_ge_i64_e32 vcc, v[2:3], v[4:5]
	s_or_b64 s[2:3], vcc, s[2:3]
	s_andn2_b64 exec, exec, s[2:3]
	s_cbranch_execz .LBB100_56
.LBB100_43:                             ; =>This Loop Header: Depth=1
                                        ;     Child Loop BB100_46 Depth 2
	s_and_saveexec_b64 s[6:7], s[0:1]
	s_cbranch_execz .LBB100_42
; %bb.44:                               ;   in Loop: Header=BB100_43 Depth=1
	v_lshlrev_b64 v[14:15], 3, v[2:3]
	v_mov_b32_e32 v9, s5
	v_add_co_u32_e32 v14, vcc, s4, v14
	v_addc_co_u32_e32 v15, vcc, v9, v15, vcc
	v_mul_lo_u32 v9, s23, v2
	v_mul_lo_u32 v13, s16, v3
	v_mad_u64_u32 v[16:17], s[12:13], s16, v2, 0
	v_add3_u32 v17, v17, v13, v9
	v_lshlrev_b64 v[16:17], 2, v[16:17]
	v_add_co_u32_e32 v16, vcc, v12, v16
	global_load_dwordx2 v[14:15], v[14:15], off
	v_addc_co_u32_e32 v17, vcc, v1, v17, vcc
	global_load_dword v9, v[16:17], off
	v_mov_b32_e32 v13, s17
	s_mov_b64 s[12:13], 0
	s_waitcnt vmcnt(1)
	v_subrev_co_u32_e32 v14, vcc, s38, v14
	v_subb_co_u32_e32 v15, vcc, v15, v13, vcc
	v_and_b32_e32 v16, 7, v14
	s_waitcnt vmcnt(0)
	v_mul_f32_e32 v9, v36, v9
	s_branch .LBB100_46
.LBB100_45:                             ;   in Loop: Header=BB100_46 Depth=2
	s_or_b64 exec, exec, s[14:15]
	s_xor_b64 s[14:15], s[20:21], -1
	s_and_b64 s[14:15], exec, s[14:15]
	s_or_b64 s[12:13], s[14:15], s[12:13]
	s_andn2_b64 exec, exec, s[12:13]
	s_cbranch_execz .LBB100_42
.LBB100_46:                             ;   Parent Loop BB100_43 Depth=1
                                        ; =>  This Inner Loop Header: Depth=2
	v_lshl_add_u32 v13, v16, 3, v34
	ds_read_b64 v[18:19], v13
                                        ; implicit-def: $sgpr20_sgpr21
	s_waitcnt lgkmcnt(0)
	v_cmp_ne_u64_e32 vcc, v[18:19], v[14:15]
	s_and_saveexec_b64 s[14:15], vcc
	s_xor_b64 s[14:15], exec, s[14:15]
	s_cbranch_execz .LBB100_54
; %bb.47:                               ;   in Loop: Header=BB100_46 Depth=2
	v_cmp_ne_u64_e32 vcc, s[18:19], v[18:19]
                                        ; implicit-def: $sgpr20_sgpr21
	s_and_saveexec_b64 s[30:31], vcc
	s_xor_b64 s[30:31], exec, s[30:31]
; %bb.48:                               ;   in Loop: Header=BB100_46 Depth=2
	v_add_u32_e32 v13, 1, v16
	v_and_b32_e32 v16, 7, v13
	s_mov_b64 s[20:21], -1
                                        ; implicit-def: $vgpr13
; %bb.49:                               ;   in Loop: Header=BB100_46 Depth=2
	s_andn2_saveexec_b64 s[30:31], s[30:31]
	s_cbranch_execz .LBB100_53
; %bb.50:                               ;   in Loop: Header=BB100_46 Depth=2
	v_pk_mov_b32 v[18:19], s[18:19], s[18:19] op_sel:[0,1]
	ds_cmpst_rtn_b64 v[18:19], v13, v[18:19], v[14:15]
	s_mov_b64 s[34:35], -1
	s_waitcnt lgkmcnt(0)
	v_cmp_eq_u64_e32 vcc, s[18:19], v[18:19]
	s_and_saveexec_b64 s[36:37], vcc
	s_cbranch_execz .LBB100_52
; %bb.51:                               ;   in Loop: Header=BB100_46 Depth=2
	v_lshl_add_u32 v13, v16, 8, v7
	ds_add_f32 v13, v9
	s_xor_b64 s[34:35], exec, -1
.LBB100_52:                             ;   in Loop: Header=BB100_46 Depth=2
	s_or_b64 exec, exec, s[36:37]
	s_andn2_b64 s[20:21], s[20:21], exec
	s_and_b64 s[34:35], s[34:35], exec
	s_or_b64 s[20:21], s[20:21], s[34:35]
.LBB100_53:                             ;   in Loop: Header=BB100_46 Depth=2
	s_or_b64 exec, exec, s[30:31]
	s_and_b64 s[20:21], s[20:21], exec
.LBB100_54:                             ;   in Loop: Header=BB100_46 Depth=2
	s_andn2_saveexec_b64 s[14:15], s[14:15]
	s_cbranch_execz .LBB100_45
; %bb.55:                               ;   in Loop: Header=BB100_46 Depth=2
	v_lshl_add_u32 v13, v16, 8, v7
	ds_add_f32 v13, v9
	s_andn2_b64 s[20:21], s[20:21], exec
	s_branch .LBB100_45
.LBB100_56:
	s_or_b64 exec, exec, s[10:11]
.LBB100_57:
	v_mov_b32_e32 v1, s29
	v_add_co_u32_e32 v2, vcc, s28, v10
	v_addc_co_u32_e32 v3, vcc, v1, v11, vcc
	s_waitcnt lgkmcnt(0)
	s_barrier
	global_load_dwordx2 v[2:3], v[2:3], off
	s_cmp_eq_u32 s57, 0
	v_mad_u64_u32 v[10:11], s[0:1], v8, s24, 0
	v_mov_b32_e32 v7, 0
	v_lshlrev_b32_e32 v1, 3, v6
	v_and_b32_e32 v4, 56, v0
	s_cselect_b64 s[0:1], -1, 0
	v_mov_b32_e32 v0, v11
	v_cmp_gt_i64_e32 vcc, s[24:25], v[6:7]
	v_mov_b32_e32 v9, v7
	v_cndmask_b32_e64 v7, v1, v4, s[0:1]
	v_mad_u64_u32 v[0:1], s[6:7], v8, s25, v[0:1]
	v_cndmask_b32_e64 v1, v8, v6, s[0:1]
	v_mov_b32_e32 v11, v0
	v_lshlrev_b32_e32 v12, 2, v6
	v_cmp_gt_u64_e64 s[2:3], s[24:25], v[8:9]
	v_or_b32_e32 v6, v1, v7
	v_lshlrev_b64 v[0:1], 2, v[10:11]
	v_mov_b32_e32 v5, s27
	s_and_b64 s[0:1], vcc, s[2:3]
	v_add_co_u32_e32 v0, vcc, s26, v0
	v_lshlrev_b32_e32 v6, 2, v6
	v_addc_co_u32_e32 v1, vcc, v5, v1, vcc
	v_lshl_or_b32 v5, v35, 11, v6
	v_add_co_u32_e32 v6, vcc, v0, v12
	v_addc_co_u32_e32 v7, vcc, 0, v1, vcc
	s_mov_b32 s4, 0
	v_mov_b32_e32 v13, 0x2000
	s_add_i32 s5, s56, s33
	v_lshl_or_b32 v4, v35, 6, v13
	s_add_i32 s5, s5, s33
	s_mov_b32 s6, s4
	s_waitcnt vmcnt(0)
	v_subrev_co_u32_e32 v8, vcc, s22, v2
	v_subbrev_co_u32_e32 v9, vcc, 0, v3, vcc
	s_branch .LBB100_59
.LBB100_58:                             ;   in Loop: Header=BB100_59 Depth=1
	s_or_b64 exec, exec, s[2:3]
	s_add_i32 s6, s6, 8
	s_cmp_lg_u32 s6, 64
	v_add_u32_e32 v5, 0x100, v5
	s_cbranch_scc0 .LBB100_62
.LBB100_59:                             ; =>This Inner Loop Header: Depth=1
	v_add_u32_e32 v0, s6, v4
	ds_read_b64 v[0:1], v0
	s_waitcnt lgkmcnt(0)
	v_cmp_gt_i64_e32 vcc, s[18:19], v[0:1]
	s_and_saveexec_b64 s[2:3], vcc
	s_cbranch_execz .LBB100_58
; %bb.60:                               ;   in Loop: Header=BB100_59 Depth=1
	ds_read_b128 v[10:13], v34
	ds_read_b128 v[14:17], v34 offset:16
	ds_read_b128 v[18:21], v34 offset:32
	;; [unrolled: 1-line block ×3, first 2 shown]
	s_waitcnt lgkmcnt(3)
	v_cmp_gt_i64_e32 vcc, v[0:1], v[10:11]
	v_cndmask_b32_e64 v2, 0, 1, vcc
	v_add_co_u32_e32 v2, vcc, v8, v2
	v_addc_co_u32_e32 v3, vcc, 0, v9, vcc
	v_cmp_gt_i64_e32 vcc, v[0:1], v[12:13]
	v_cndmask_b32_e64 v10, 0, 1, vcc
	v_add_co_u32_e32 v2, vcc, v2, v10
	v_addc_co_u32_e32 v3, vcc, 0, v3, vcc
	s_waitcnt lgkmcnt(2)
	v_cmp_gt_i64_e32 vcc, v[0:1], v[14:15]
	v_cndmask_b32_e64 v10, 0, 1, vcc
	v_add_co_u32_e32 v2, vcc, v2, v10
	v_addc_co_u32_e32 v3, vcc, 0, v3, vcc
	v_cmp_gt_i64_e32 vcc, v[0:1], v[16:17]
	v_cndmask_b32_e64 v10, 0, 1, vcc
	v_add_co_u32_e32 v2, vcc, v2, v10
	v_addc_co_u32_e32 v3, vcc, 0, v3, vcc
	;; [unrolled: 9-line block ×4, first 2 shown]
	v_mov_b32_e32 v10, s4
	v_add_co_u32_e32 v0, vcc, s22, v0
	v_addc_co_u32_e32 v1, vcc, v1, v10, vcc
	v_lshlrev_b64 v[10:11], 3, v[2:3]
	v_mov_b32_e32 v12, s9
	v_add_co_u32_e32 v10, vcc, s8, v10
	v_addc_co_u32_e32 v11, vcc, v12, v11, vcc
	global_store_dwordx2 v[10:11], v[0:1], off
	s_and_b64 exec, exec, s[0:1]
	s_cbranch_execz .LBB100_58
; %bb.61:                               ;   in Loop: Header=BB100_59 Depth=1
	v_mul_lo_u32 v10, s5, v2
	v_mul_lo_u32 v3, s16, v3
	v_mad_u64_u32 v[0:1], s[10:11], s16, v2, 0
	ds_read_b32 v2, v5
	v_add3_u32 v1, v1, v3, v10
	v_lshlrev_b64 v[0:1], 2, v[0:1]
	v_add_co_u32_e32 v0, vcc, v6, v0
	v_addc_co_u32_e32 v1, vcc, v7, v1, vcc
	s_waitcnt lgkmcnt(0)
	global_store_dword v[0:1], v2, off
	s_branch .LBB100_58
.LBB100_62:
	s_endpgm
	.section	.rodata,"a",@progbits
	.p2align	6, 0x0
	.amdhsa_kernel _ZN9rocsparseL23bsrgemm_fill_wf_per_rowILj256ELj64ELj8ELj137ELj8EllfEEv20rocsparse_direction_T5_S2_S2_PKS2_S4_NS_24const_host_device_scalarIT6_EEPKT4_S4_PKS6_SA_S4_SC_S7_SA_S4_SC_SA_PS2_PS6_21rocsparse_index_base_SF_SF_SF_bbb
		.amdhsa_group_segment_fixed_size 8448
		.amdhsa_private_segment_fixed_size 0
		.amdhsa_kernarg_size 180
		.amdhsa_user_sgpr_count 6
		.amdhsa_user_sgpr_private_segment_buffer 1
		.amdhsa_user_sgpr_dispatch_ptr 0
		.amdhsa_user_sgpr_queue_ptr 0
		.amdhsa_user_sgpr_kernarg_segment_ptr 1
		.amdhsa_user_sgpr_dispatch_id 0
		.amdhsa_user_sgpr_flat_scratch_init 0
		.amdhsa_user_sgpr_kernarg_preload_length 0
		.amdhsa_user_sgpr_kernarg_preload_offset 0
		.amdhsa_user_sgpr_private_segment_size 0
		.amdhsa_uses_dynamic_stack 0
		.amdhsa_system_sgpr_private_segment_wavefront_offset 0
		.amdhsa_system_sgpr_workgroup_id_x 1
		.amdhsa_system_sgpr_workgroup_id_y 0
		.amdhsa_system_sgpr_workgroup_id_z 0
		.amdhsa_system_sgpr_workgroup_info 0
		.amdhsa_system_vgpr_workitem_id 0
		.amdhsa_next_free_vgpr 44
		.amdhsa_next_free_sgpr 61
		.amdhsa_accum_offset 44
		.amdhsa_reserve_vcc 1
		.amdhsa_reserve_flat_scratch 0
		.amdhsa_float_round_mode_32 0
		.amdhsa_float_round_mode_16_64 0
		.amdhsa_float_denorm_mode_32 3
		.amdhsa_float_denorm_mode_16_64 3
		.amdhsa_dx10_clamp 1
		.amdhsa_ieee_mode 1
		.amdhsa_fp16_overflow 0
		.amdhsa_tg_split 0
		.amdhsa_exception_fp_ieee_invalid_op 0
		.amdhsa_exception_fp_denorm_src 0
		.amdhsa_exception_fp_ieee_div_zero 0
		.amdhsa_exception_fp_ieee_overflow 0
		.amdhsa_exception_fp_ieee_underflow 0
		.amdhsa_exception_fp_ieee_inexact 0
		.amdhsa_exception_int_div_zero 0
	.end_amdhsa_kernel
	.section	.text._ZN9rocsparseL23bsrgemm_fill_wf_per_rowILj256ELj64ELj8ELj137ELj8EllfEEv20rocsparse_direction_T5_S2_S2_PKS2_S4_NS_24const_host_device_scalarIT6_EEPKT4_S4_PKS6_SA_S4_SC_S7_SA_S4_SC_SA_PS2_PS6_21rocsparse_index_base_SF_SF_SF_bbb,"axG",@progbits,_ZN9rocsparseL23bsrgemm_fill_wf_per_rowILj256ELj64ELj8ELj137ELj8EllfEEv20rocsparse_direction_T5_S2_S2_PKS2_S4_NS_24const_host_device_scalarIT6_EEPKT4_S4_PKS6_SA_S4_SC_S7_SA_S4_SC_SA_PS2_PS6_21rocsparse_index_base_SF_SF_SF_bbb,comdat
.Lfunc_end100:
	.size	_ZN9rocsparseL23bsrgemm_fill_wf_per_rowILj256ELj64ELj8ELj137ELj8EllfEEv20rocsparse_direction_T5_S2_S2_PKS2_S4_NS_24const_host_device_scalarIT6_EEPKT4_S4_PKS6_SA_S4_SC_S7_SA_S4_SC_SA_PS2_PS6_21rocsparse_index_base_SF_SF_SF_bbb, .Lfunc_end100-_ZN9rocsparseL23bsrgemm_fill_wf_per_rowILj256ELj64ELj8ELj137ELj8EllfEEv20rocsparse_direction_T5_S2_S2_PKS2_S4_NS_24const_host_device_scalarIT6_EEPKT4_S4_PKS6_SA_S4_SC_S7_SA_S4_SC_SA_PS2_PS6_21rocsparse_index_base_SF_SF_SF_bbb
                                        ; -- End function
	.section	.AMDGPU.csdata,"",@progbits
; Kernel info:
; codeLenInByte = 2880
; NumSgprs: 65
; NumVgprs: 44
; NumAgprs: 0
; TotalNumVgprs: 44
; ScratchSize: 0
; MemoryBound: 0
; FloatMode: 240
; IeeeMode: 1
; LDSByteSize: 8448 bytes/workgroup (compile time only)
; SGPRBlocks: 8
; VGPRBlocks: 5
; NumSGPRsForWavesPerEU: 65
; NumVGPRsForWavesPerEU: 44
; AccumOffset: 44
; Occupancy: 7
; WaveLimiterHint : 1
; COMPUTE_PGM_RSRC2:SCRATCH_EN: 0
; COMPUTE_PGM_RSRC2:USER_SGPR: 6
; COMPUTE_PGM_RSRC2:TRAP_HANDLER: 0
; COMPUTE_PGM_RSRC2:TGID_X_EN: 1
; COMPUTE_PGM_RSRC2:TGID_Y_EN: 0
; COMPUTE_PGM_RSRC2:TGID_Z_EN: 0
; COMPUTE_PGM_RSRC2:TIDIG_COMP_CNT: 0
; COMPUTE_PGM_RSRC3_GFX90A:ACCUM_OFFSET: 10
; COMPUTE_PGM_RSRC3_GFX90A:TG_SPLIT: 0
	.section	.text._ZN9rocsparseL38bsrgemm_block_per_row_atomic_multipassILj256ELj16ELj8EllfEEv20rocsparse_direction_T3_S2_PKS2_S4_NS_24const_host_device_scalarIT4_EEPKT2_S4_PKS6_SA_S4_SC_S7_SA_S4_SC_SA_PS2_PS6_PS8_21rocsparse_index_base_SG_SG_SG_bbb,"axG",@progbits,_ZN9rocsparseL38bsrgemm_block_per_row_atomic_multipassILj256ELj16ELj8EllfEEv20rocsparse_direction_T3_S2_PKS2_S4_NS_24const_host_device_scalarIT4_EEPKT2_S4_PKS6_SA_S4_SC_S7_SA_S4_SC_SA_PS2_PS6_PS8_21rocsparse_index_base_SG_SG_SG_bbb,comdat
	.globl	_ZN9rocsparseL38bsrgemm_block_per_row_atomic_multipassILj256ELj16ELj8EllfEEv20rocsparse_direction_T3_S2_PKS2_S4_NS_24const_host_device_scalarIT4_EEPKT2_S4_PKS6_SA_S4_SC_S7_SA_S4_SC_SA_PS2_PS6_PS8_21rocsparse_index_base_SG_SG_SG_bbb ; -- Begin function _ZN9rocsparseL38bsrgemm_block_per_row_atomic_multipassILj256ELj16ELj8EllfEEv20rocsparse_direction_T3_S2_PKS2_S4_NS_24const_host_device_scalarIT4_EEPKT2_S4_PKS6_SA_S4_SC_S7_SA_S4_SC_SA_PS2_PS6_PS8_21rocsparse_index_base_SG_SG_SG_bbb
	.p2align	8
	.type	_ZN9rocsparseL38bsrgemm_block_per_row_atomic_multipassILj256ELj16ELj8EllfEEv20rocsparse_direction_T3_S2_PKS2_S4_NS_24const_host_device_scalarIT4_EEPKT2_S4_PKS6_SA_S4_SC_S7_SA_S4_SC_SA_PS2_PS6_PS8_21rocsparse_index_base_SG_SG_SG_bbb,@function
_ZN9rocsparseL38bsrgemm_block_per_row_atomic_multipassILj256ELj16ELj8EllfEEv20rocsparse_direction_T3_S2_PKS2_S4_NS_24const_host_device_scalarIT4_EEPKT2_S4_PKS6_SA_S4_SC_S7_SA_S4_SC_SA_PS2_PS6_PS8_21rocsparse_index_base_SG_SG_SG_bbb: ; @_ZN9rocsparseL38bsrgemm_block_per_row_atomic_multipassILj256ELj16ELj8EllfEEv20rocsparse_direction_T3_S2_PKS2_S4_NS_24const_host_device_scalarIT4_EEPKT2_S4_PKS6_SA_S4_SC_S7_SA_S4_SC_SA_PS2_PS6_PS8_21rocsparse_index_base_SG_SG_SG_bbb
; %bb.0:
	s_load_dword s7, s[4:5], 0xb0
	s_load_dwordx4 s[28:31], s[4:5], 0xa0
	s_load_dwordx2 s[0:1], s[4:5], 0x28
	s_load_dwordx2 s[8:9], s[4:5], 0x60
	s_waitcnt lgkmcnt(0)
	s_bitcmp1_b32 s7, 0
	s_cselect_b64 s[10:11], -1, 0
	s_bitcmp1_b32 s7, 16
	s_cselect_b64 s[12:13], -1, 0
	s_xor_b64 s[2:3], s[10:11], -1
	s_or_b64 s[2:3], s[2:3], s[12:13]
	s_and_b64 vcc, exec, s[2:3]
	s_cbranch_vccnz .LBB101_2
; %bb.1:
	s_load_dword s0, s[0:1], 0x0
	s_waitcnt lgkmcnt(0)
	v_mov_b32_e32 v32, s0
	s_branch .LBB101_3
.LBB101_2:
	v_mov_b32_e32 v1, s0
	v_cndmask_b32_e64 v32, 0, v1, s[10:11]
.LBB101_3:
	s_load_dwordx2 s[2:3], s[4:5], 0x20
	s_bitcmp1_b32 s7, 8
	s_cselect_b64 s[0:1], -1, 0
	s_xor_b64 s[14:15], s[0:1], -1
	s_or_b64 s[12:13], s[14:15], s[12:13]
	s_mov_b32 s7, 0
	s_and_b64 vcc, exec, s[12:13]
	s_cbranch_vccnz .LBB101_5
; %bb.4:
	s_load_dword s8, s[8:9], 0x0
	s_waitcnt lgkmcnt(0)
	v_mov_b32_e32 v33, s8
	s_load_dwordx2 s[8:9], s[4:5], 0x30
	s_cmp_eq_u64 s[2:3], 0
	s_mov_b64 s[34:35], 0
	s_cbranch_scc0 .LBB101_6
	s_branch .LBB101_7
.LBB101_5:
	v_mov_b32_e32 v1, s8
	v_cndmask_b32_e64 v33, 0, v1, s[0:1]
	s_load_dwordx2 s[8:9], s[4:5], 0x30
	s_waitcnt lgkmcnt(0)
	s_cmp_eq_u64 s[2:3], 0
	s_mov_b64 s[34:35], 0
	s_cbranch_scc1 .LBB101_7
.LBB101_6:
	s_load_dwordx2 s[12:13], s[4:5], 0x18
	s_waitcnt lgkmcnt(0)
	s_load_dwordx2 s[12:13], s[12:13], 0x0
	s_waitcnt lgkmcnt(0)
	s_lshl_b64 s[12:13], s[12:13], 3
	s_add_u32 s12, s2, s12
	s_addc_u32 s13, s3, s13
	s_lshl_b64 s[2:3], s[6:7], 3
	s_add_u32 s2, s12, s2
	s_addc_u32 s3, s13, s3
	s_load_dwordx2 s[6:7], s[2:3], 0x0
.LBB101_7:
	v_cndmask_b32_e64 v1, 0, 1, s[10:11]
	v_cmp_ne_u32_e64 s[2:3], 1, v1
	s_andn2_b64 vcc, exec, s[10:11]
	s_cbranch_vccz .LBB101_10
; %bb.8:
	s_and_b64 vcc, exec, s[2:3]
	s_mov_b64 s[52:53], 0
	s_cbranch_vccz .LBB101_11
.LBB101_9:
	s_load_dwordx4 s[44:47], s[4:5], 0x8
	s_waitcnt lgkmcnt(0)
	v_cmp_lt_i64_e64 s[2:3], s[44:45], 1
	s_and_b64 vcc, exec, s[2:3]
	s_cbranch_vccz .LBB101_12
	s_branch .LBB101_93
.LBB101_10:
	s_waitcnt lgkmcnt(0)
	s_lshl_b64 s[12:13], s[6:7], 3
	s_add_u32 s12, s8, s12
	s_addc_u32 s13, s9, s13
	s_load_dwordx2 s[12:13], s[12:13], 0x0
	s_waitcnt lgkmcnt(0)
	s_sub_u32 s34, s12, s28
	s_subb_u32 s35, s13, 0
	s_and_b64 vcc, exec, s[2:3]
	s_mov_b64 s[52:53], 0
	s_cbranch_vccnz .LBB101_9
.LBB101_11:
	s_waitcnt lgkmcnt(0)
	s_lshl_b64 s[2:3], s[6:7], 3
	s_add_u32 s2, s8, s2
	s_addc_u32 s3, s9, s3
	s_load_dwordx2 s[2:3], s[2:3], 0x8
	s_waitcnt lgkmcnt(0)
	s_sub_u32 s52, s2, s28
	s_subb_u32 s53, s3, 0
	s_load_dwordx4 s[44:47], s[4:5], 0x8
	s_waitcnt lgkmcnt(0)
	v_cmp_lt_i64_e64 s[2:3], s[44:45], 1
	s_and_b64 vcc, exec, s[2:3]
	s_cbranch_vccnz .LBB101_93
.LBB101_12:
	s_load_dwordx2 s[54:55], s[4:5], 0x98
	s_load_dwordx4 s[48:51], s[4:5], 0x88
	s_load_dwordx8 s[20:27], s[4:5], 0x68
	s_load_dwordx2 s[56:57], s[4:5], 0x58
	s_load_dwordx8 s[36:43], s[4:5], 0x38
	s_lshl_b64 s[8:9], s[6:7], 3
	s_mul_i32 s6, s46, s47
	s_waitcnt lgkmcnt(0)
	s_add_u32 s2, s26, s8
	s_addc_u32 s3, s27, s9
	s_load_dwordx2 s[2:3], s[2:3], 0x0
	s_mul_hi_u32 s7, s46, s46
	v_bfe_u32 v12, v0, 3, 3
	v_pk_mov_b32 v[6:7], s[52:53], s[52:53] op_sel:[0,1]
	v_cmp_lt_i64_e32 vcc, s[34:35], v[6:7]
	s_waitcnt lgkmcnt(0)
	s_sub_u32 s26, s2, s30
	s_subb_u32 s27, s3, 0
	s_add_i32 s7, s7, s6
	s_add_i32 s59, s7, s6
	v_mad_u64_u32 v[6:7], s[6:7], v12, s46, 0
	v_mov_b32_e32 v8, v7
	v_mad_u64_u32 v[8:9], s[6:7], v12, s47, v[8:9]
	v_mov_b32_e32 v7, v8
	v_lshlrev_b64 v[8:9], 2, v[6:7]
	v_and_b32_e32 v4, 7, v0
	v_mov_b32_e32 v6, s39
	v_add_co_u32_e64 v10, s[6:7], s38, v8
	v_addc_co_u32_e64 v11, s[6:7], v6, v9, s[6:7]
	v_lshlrev_b32_e32 v6, 2, v4
	v_mov_b32_e32 v3, 0
	v_add_co_u32_e64 v36, s[6:7], v10, v6
	v_mov_b32_e32 v5, v3
	v_mov_b32_e32 v13, v3
	v_addc_co_u32_e64 v37, s[6:7], 0, v11, s[6:7]
	v_cmp_gt_i64_e64 s[14:15], s[46:47], v[4:5]
	v_cmp_gt_i64_e64 s[6:7], s[46:47], v[12:13]
	s_and_b64 s[38:39], s[14:15], s[6:7]
	v_mad_u64_u32 v[10:11], s[6:7], v4, s46, 0
	v_mov_b32_e32 v14, v11
	v_mad_u64_u32 v[14:15], s[6:7], v4, s47, v[14:15]
	v_mov_b32_e32 v11, v14
	v_lshlrev_b64 v[10:11], 2, v[10:11]
	v_cmp_gt_u64_e64 s[12:13], s[46:47], v[12:13]
	v_lshlrev_b64 v[14:15], 2, v[12:13]
	v_mov_b32_e32 v5, s51
	v_add_co_u32_e64 v13, s[6:7], s50, v10
	v_addc_co_u32_e64 v16, s[6:7], v5, v11, s[6:7]
	v_add_co_u32_e64 v13, s[6:7], v13, v14
	v_addc_co_u32_e64 v16, s[6:7], v16, v15, s[6:7]
	;; [unrolled: 2-line block ×3, first 2 shown]
	v_add_co_u32_e64 v17, s[6:7], v17, v6
	v_lshrrev_b32_e32 v2, 6, v0
	v_addc_co_u32_e64 v5, s[6:7], 0, v5, s[6:7]
	v_subrev_co_u32_e64 v39, s[6:7], s31, v2
	v_subb_co_u32_e64 v40, s[6:7], 0, 0, s[6:7]
	v_mov_b32_e32 v18, s25
	v_add_co_u32_e64 v10, s[6:7], s24, v10
	s_load_dword s16, s[4:5], 0x0
	v_addc_co_u32_e64 v11, s[6:7], v18, v11, s[6:7]
	v_add_co_u32_e64 v10, s[6:7], v10, v14
	v_addc_co_u32_e64 v11, s[6:7], v11, v15, s[6:7]
	v_add_co_u32_e64 v8, s[6:7], s24, v8
	v_addc_co_u32_e64 v9, s[6:7], v18, v9, s[6:7]
	s_waitcnt lgkmcnt(0)
	s_cmp_eq_u32 s16, 0
	v_add_co_u32_e64 v8, s[6:7], v8, v6
	v_and_b32_e32 v1, 63, v0
	v_cmp_gt_u32_e64 s[2:3], 16, v0
	v_cmp_eq_u32_e64 s[4:5], 0, v0
	v_lshlrev_b32_e32 v34, 2, v0
	s_cselect_b64 s[18:19], -1, 0
	s_cmp_lg_u32 s16, 0
	v_and_b32_e32 v38, 56, v0
	v_addc_co_u32_e64 v9, s[6:7], 0, v9, s[6:7]
	v_and_b32_e32 v0, 15, v0
	s_cselect_b64 s[50:51], -1, 0
	s_add_u32 s60, s20, s8
	v_cmp_eq_u32_e64 s[6:7], 63, v1
	v_lshlrev_b32_e32 v1, 2, v0
	s_addc_u32 s61, s21, s9
	v_or_b32_e32 v41, 0x1400, v1
	s_and_b64 s[62:63], s[10:11], vcc
	s_and_b64 s[64:65], s[14:15], s[12:13]
	v_add_u32_e32 v44, 0x13f8, v1
	v_add_u32_e32 v45, 0x13f0, v1
	v_add_u32_e32 v46, 0x13e0, v1
	v_cndmask_b32_e64 v1, v16, v5, s[18:19]
	v_cndmask_b32_e64 v8, v10, v8, s[18:19]
	v_mov_b32_e32 v5, s57
	v_add_co_u32_e32 v10, vcc, s56, v6
	s_mov_b32 s85, s31
	v_cndmask_b32_e64 v9, v11, v9, s[18:19]
	s_add_u32 s31, s40, 8
	v_addc_co_u32_e32 v11, vcc, 0, v5, vcc
	v_lshlrev_b32_e32 v5, 2, v12
	v_add_co_u32_e64 v14, s[8:9], -1, v0
	v_mov_b32_e32 v15, 0x1400
	s_addc_u32 s87, s41, 0
	v_lshl_or_b32 v5, v2, 8, v5
	s_mov_b32 s33, 0
	s_mul_i32 s58, s46, s46
	v_lshl_add_u32 v42, v14, 2, v15
	s_add_u32 s88, s48, -8
	v_add_co_u32_e32 v47, vcc, 4, v39
	v_add_u32_e32 v49, 0x1000, v5
	v_and_b32_e32 v5, 0x3e0, v34
	v_lshl_or_b32 v51, v2, 2, v15
	v_mov_b32_e32 v14, 16
	v_or_b32_e32 v35, 0x1000, v34
	v_mov_b32_e32 v7, v3
	s_mov_b32 s84, s33
	s_mov_b32 s86, s33
	v_or_b32_e32 v43, 0x1400, v34
	v_cmp_ne_u32_e64 s[10:11], 0, v0
	v_cmp_lt_u32_e64 s[12:13], 1, v0
	v_cmp_lt_u32_e64 s[14:15], 3, v0
	;; [unrolled: 1-line block ×3, first 2 shown]
	v_cndmask_b32_e64 v0, v13, v17, s[18:19]
	s_addc_u32 s89, s49, -1
	s_lshl_b64 s[48:49], s[46:47], 2
	v_addc_co_u32_e32 v48, vcc, 0, v40, vcc
	s_lshl_b64 s[66:67], s[58:59], 2
	v_or_b32_e32 v50, 0x1000, v5
	v_pk_mov_b32 v[12:13], s[26:27], s[26:27] op_sel:[0,1]
	s_lshl_b64 s[68:69], s[58:59], 4
	v_mov_b32_e32 v15, 0
	v_mov_b32_e32 v52, 1
	s_mov_b64 s[70:71], 0
	s_branch .LBB101_14
.LBB101_13:                             ;   in Loop: Header=BB101_14 Depth=1
	s_or_b64 exec, exec, s[18:19]
	s_barrier
	ds_read_b64 v[18:19], v3 offset:5184
	v_ashrrev_i32_e32 v5, 31, v17
	v_add_co_u32_e32 v12, vcc, v12, v17
	v_addc_co_u32_e32 v13, vcc, v13, v5, vcc
	s_waitcnt lgkmcnt(0)
	v_add_co_u32_e32 v14, vcc, 16, v18
	v_addc_co_u32_e32 v15, vcc, 0, v19, vcc
	v_cmp_le_i64_e32 vcc, s[44:45], v[18:19]
	v_readfirstlane_b32 s70, v18
	v_readfirstlane_b32 s71, v19
	s_barrier
	s_cbranch_vccnz .LBB101_93
.LBB101_14:                             ; =>This Loop Header: Depth=1
                                        ;     Child Loop BB101_18 Depth 2
                                        ;     Child Loop BB101_27 Depth 2
                                        ;       Child Loop BB101_42 Depth 3
                                        ;         Child Loop BB101_54 Depth 4
                                        ;         Child Loop BB101_50 Depth 4
                                        ;     Child Loop BB101_64 Depth 2
                                        ;     Child Loop BB101_73 Depth 2
	;; [unrolled: 1-line block ×3, first 2 shown]
	s_and_saveexec_b64 s[18:19], s[2:3]
	s_cbranch_execz .LBB101_16
; %bb.15:                               ;   in Loop: Header=BB101_14 Depth=1
	ds_write_b32 v43, v3
.LBB101_16:                             ;   in Loop: Header=BB101_14 Depth=1
	s_or_b64 exec, exec, s[18:19]
	s_mov_b32 s26, 0
	s_mov_b64 s[18:19], 0
	v_mov_b32_e32 v5, v34
	s_branch .LBB101_18
.LBB101_17:                             ;   in Loop: Header=BB101_18 Depth=2
	s_or_b64 exec, exec, s[24:25]
	s_add_i32 s26, s26, 2
	v_cmp_eq_u32_e64 s[20:21], 4, s26
	s_or_b64 s[18:19], s[20:21], s[18:19]
	v_add_u32_e32 v5, 0x800, v5
	s_andn2_b64 exec, exec, s[18:19]
	s_cbranch_execz .LBB101_22
.LBB101_18:                             ;   Parent Loop BB101_14 Depth=1
                                        ; =>  This Inner Loop Header: Depth=2
	s_or_b32 s20, s26, 1
	v_cmp_le_u32_e64 s[20:21], s20, 3
	v_cmp_le_u32_e64 s[72:73], s26, 3
	s_and_saveexec_b64 s[24:25], s[72:73]
	s_cbranch_execz .LBB101_20
; %bb.19:                               ;   in Loop: Header=BB101_18 Depth=2
	ds_write_b32 v5, v3
.LBB101_20:                             ;   in Loop: Header=BB101_18 Depth=2
	s_or_b64 exec, exec, s[24:25]
	s_and_saveexec_b64 s[24:25], s[20:21]
	s_cbranch_execz .LBB101_17
; %bb.21:                               ;   in Loop: Header=BB101_18 Depth=2
	ds_write_b32 v5, v3 offset:1024
	s_branch .LBB101_17
.LBB101_22:                             ;   in Loop: Header=BB101_14 Depth=1
	s_or_b64 exec, exec, s[18:19]
	s_and_saveexec_b64 s[18:19], s[4:5]
	s_cbranch_execz .LBB101_24
; %bb.23:                               ;   in Loop: Header=BB101_14 Depth=1
	v_pk_mov_b32 v[16:17], s[44:45], s[44:45] op_sel:[0,1]
	ds_write_b64 v3, v[16:17] offset:5184
.LBB101_24:                             ;   in Loop: Header=BB101_14 Depth=1
	s_or_b64 exec, exec, s[18:19]
	s_andn2_b64 vcc, exec, s[62:63]
	v_pk_mov_b32 v[16:17], s[44:45], s[44:45] op_sel:[0,1]
	s_waitcnt lgkmcnt(0)
	s_barrier
	s_cbranch_vccnz .LBB101_59
; %bb.25:                               ;   in Loop: Header=BB101_14 Depth=1
	s_cmp_lg_u64 s[70:71], 0
	s_cselect_b64 s[24:25], -1, 0
	v_pk_mov_b32 v[16:17], s[44:45], s[44:45] op_sel:[0,1]
	s_mov_b64 s[26:27], s[34:35]
	s_branch .LBB101_27
.LBB101_26:                             ;   in Loop: Header=BB101_27 Depth=2
	s_or_b64 exec, exec, s[20:21]
	s_add_u32 s26, s26, 4
	s_addc_u32 s27, s27, 0
	v_pk_mov_b32 v[18:19], s[52:53], s[52:53] op_sel:[0,1]
	v_cmp_lt_i64_e32 vcc, s[26:27], v[18:19]
	s_cbranch_vccz .LBB101_59
.LBB101_27:                             ;   Parent Loop BB101_14 Depth=1
                                        ; =>  This Loop Header: Depth=2
                                        ;       Child Loop BB101_42 Depth 3
                                        ;         Child Loop BB101_54 Depth 4
                                        ;         Child Loop BB101_50 Depth 4
	v_mov_b32_e32 v5, s27
	v_add_co_u32_e32 v18, vcc, s26, v2
	v_addc_co_u32_e32 v19, vcc, 0, v5, vcc
	v_cmp_gt_i64_e64 s[18:19], s[52:53], v[18:19]
	s_barrier
	s_and_saveexec_b64 s[20:21], s[18:19]
	s_cbranch_execz .LBB101_31
; %bb.28:                               ;   in Loop: Header=BB101_27 Depth=2
	v_mov_b32_e32 v5, 0
	s_and_saveexec_b64 s[72:73], s[64:65]
	s_cbranch_execz .LBB101_30
; %bb.29:                               ;   in Loop: Header=BB101_27 Depth=2
	v_mul_lo_u32 v5, v19, s58
	v_mul_lo_u32 v22, v18, s59
	v_mad_u64_u32 v[20:21], s[74:75], v18, s58, 0
	v_add3_u32 v21, v21, v22, v5
	v_lshlrev_b64 v[20:21], 2, v[20:21]
	v_add_co_u32_e32 v20, vcc, v36, v20
	v_addc_co_u32_e32 v21, vcc, v37, v21, vcc
	global_load_dword v5, v[20:21], off
.LBB101_30:                             ;   in Loop: Header=BB101_27 Depth=2
	s_or_b64 exec, exec, s[72:73]
	s_waitcnt vmcnt(0)
	ds_write_b32 v35, v5
.LBB101_31:                             ;   in Loop: Header=BB101_27 Depth=2
	s_or_b64 exec, exec, s[20:21]
	v_pk_mov_b32 v[20:21], 0, 0
	v_lshlrev_b64 v[18:19], 3, v[18:19]
	s_waitcnt lgkmcnt(0)
	s_barrier
	s_and_saveexec_b64 s[72:73], s[18:19]
	s_cbranch_execz .LBB101_57
; %bb.32:                               ;   in Loop: Header=BB101_27 Depth=2
	v_mov_b32_e32 v5, s37
	v_add_co_u32_e32 v20, vcc, s36, v18
	v_addc_co_u32_e32 v21, vcc, v5, v19, vcc
	global_load_dwordx2 v[22:23], v[20:21], off
	s_and_b64 vcc, exec, s[24:25]
	s_cbranch_vccz .LBB101_34
; %bb.33:                               ;   in Loop: Header=BB101_27 Depth=2
	v_mov_b32_e32 v5, s55
	v_add_co_u32_e32 v20, vcc, s54, v18
	v_addc_co_u32_e32 v21, vcc, v5, v19, vcc
	global_load_dwordx2 v[20:21], v[20:21], off
	s_mov_b64 s[20:21], 0
	s_branch .LBB101_35
.LBB101_34:                             ;   in Loop: Header=BB101_27 Depth=2
	s_mov_b64 s[20:21], -1
                                        ; implicit-def: $vgpr20_vgpr21
.LBB101_35:                             ;   in Loop: Header=BB101_27 Depth=2
	v_mov_b32_e32 v5, s84
	s_waitcnt vmcnt(0)
	v_subrev_co_u32_e32 v22, vcc, s28, v22
	v_subb_co_u32_e32 v23, vcc, v23, v5, vcc
	s_andn2_b64 vcc, exec, s[20:21]
	v_lshlrev_b64 v[22:23], 3, v[22:23]
	s_cbranch_vccnz .LBB101_37
; %bb.36:                               ;   in Loop: Header=BB101_27 Depth=2
	v_mov_b32_e32 v5, s41
	v_add_co_u32_e32 v20, vcc, s40, v22
	v_addc_co_u32_e32 v21, vcc, v5, v23, vcc
	global_load_dwordx2 v[20:21], v[20:21], off
	v_mov_b32_e32 v5, s33
	s_waitcnt vmcnt(0)
	v_subrev_co_u32_e32 v20, vcc, s29, v20
	v_subb_co_u32_e32 v21, vcc, v21, v5, vcc
.LBB101_37:                             ;   in Loop: Header=BB101_27 Depth=2
	v_mov_b32_e32 v5, s87
	v_add_co_u32_e32 v22, vcc, s31, v22
	v_addc_co_u32_e32 v23, vcc, v5, v23, vcc
	global_load_dwordx2 v[22:23], v[22:23], off
	v_mov_b32_e32 v5, s33
	s_waitcnt vmcnt(0)
	v_subrev_co_u32_e32 v22, vcc, s29, v22
	v_subb_co_u32_e32 v23, vcc, v23, v5, vcc
	v_cmp_lt_i64_e32 vcc, v[20:21], v[22:23]
	s_and_saveexec_b64 s[74:75], vcc
	s_cbranch_execz .LBB101_56
; %bb.38:                               ;   in Loop: Header=BB101_27 Depth=2
	v_mad_u64_u32 v[24:25], s[20:21], s48, v20, v[6:7]
	v_mul_lo_u32 v5, s48, v21
	v_mul_lo_u32 v26, s49, v20
	v_add3_u32 v5, v26, v25, v5
	v_pk_mov_b32 v[26:27], s[56:57], s[56:57] op_sel:[0,1]
	v_mul_lo_u32 v28, s47, v24
	v_mul_lo_u32 v5, s46, v5
	v_mad_u64_u32 v[24:25], s[20:21], s46, v24, v[26:27]
	v_add3_u32 v25, v28, v25, v5
	v_mad_u64_u32 v[26:27], s[20:21], s66, v20, v[10:11]
	v_mul_lo_u32 v5, s66, v21
	v_mul_lo_u32 v28, s67, v20
	v_add3_u32 v27, v28, v27, v5
	s_mov_b64 s[76:77], 0
	v_pk_mov_b32 v[28:29], v[20:21], v[20:21] op_sel:[0,1]
	s_branch .LBB101_42
.LBB101_39:                             ;   in Loop: Header=BB101_42 Depth=3
	v_lshlrev_b32_e32 v5, 6, v5
	v_or3_b32 v5, v5, v38, v4
	v_lshlrev_b32_e32 v5, 2, v5
	v_mul_f32_e32 v30, v32, v53
	ds_add_f32 v5, v30
.LBB101_40:                             ;   in Loop: Header=BB101_42 Depth=3
	s_or_b64 exec, exec, s[80:81]
	s_or_b64 s[20:21], s[20:21], exec
.LBB101_41:                             ;   in Loop: Header=BB101_42 Depth=3
	s_or_b64 exec, exec, s[78:79]
	v_add_co_u32_e32 v20, vcc, 1, v20
	v_addc_co_u32_e32 v21, vcc, 0, v21, vcc
	v_cmp_ge_i64_e32 vcc, v[20:21], v[22:23]
	s_xor_b64 s[20:21], s[20:21], -1
	s_or_b64 s[20:21], s[20:21], vcc
	v_mov_b32_e32 v5, s67
	v_add_co_u32_e32 v24, vcc, s66, v24
	v_addc_co_u32_e32 v25, vcc, v25, v5, vcc
	s_and_b64 s[20:21], exec, s[20:21]
	v_add_co_u32_e32 v26, vcc, s66, v26
	s_or_b64 s[76:77], s[20:21], s[76:77]
	v_addc_co_u32_e32 v27, vcc, v27, v5, vcc
	s_andn2_b64 exec, exec, s[76:77]
	s_cbranch_execz .LBB101_55
.LBB101_42:                             ;   Parent Loop BB101_14 Depth=1
                                        ;     Parent Loop BB101_27 Depth=2
                                        ; =>    This Loop Header: Depth=3
                                        ;         Child Loop BB101_54 Depth 4
                                        ;         Child Loop BB101_50 Depth 4
	v_lshlrev_b64 v[30:31], 3, v[20:21]
	v_mov_b32_e32 v5, s43
	v_add_co_u32_e32 v30, vcc, s42, v30
	v_addc_co_u32_e32 v31, vcc, v5, v31, vcc
	global_load_dwordx2 v[30:31], v[30:31], off
	v_mov_b32_e32 v5, s33
	s_waitcnt vmcnt(0)
	v_subrev_co_u32_e32 v30, vcc, s29, v30
	v_subb_co_u32_e32 v31, vcc, v31, v5, vcc
	v_cmp_gt_i64_e64 s[20:21], s[70:71], v[30:31]
	v_cmp_ge_i64_e32 vcc, v[30:31], v[14:15]
	s_or_b64 s[78:79], s[20:21], vcc
                                        ; implicit-def: $sgpr20_sgpr21
	s_and_saveexec_b64 s[80:81], s[78:79]
	s_xor_b64 s[78:79], exec, s[80:81]
	s_cbranch_execz .LBB101_46
; %bb.43:                               ;   in Loop: Header=BB101_42 Depth=3
	s_mov_b64 s[20:21], -1
	s_and_saveexec_b64 s[80:81], vcc
; %bb.44:                               ;   in Loop: Header=BB101_42 Depth=3
	v_cmp_lt_i64_e32 vcc, v[30:31], v[16:17]
	v_cndmask_b32_e32 v17, v17, v31, vcc
	v_cndmask_b32_e32 v16, v16, v30, vcc
	s_xor_b64 s[20:21], exec, -1
	v_pk_mov_b32 v[28:29], v[20:21], v[20:21] op_sel:[0,1]
; %bb.45:                               ;   in Loop: Header=BB101_42 Depth=3
	s_or_b64 exec, exec, s[80:81]
	s_and_b64 s[20:21], s[20:21], exec
                                        ; implicit-def: $vgpr30_vgpr31
.LBB101_46:                             ;   in Loop: Header=BB101_42 Depth=3
	s_andn2_saveexec_b64 s[78:79], s[78:79]
	s_cbranch_execz .LBB101_41
; %bb.47:                               ;   in Loop: Header=BB101_42 Depth=3
	v_subrev_u32_e32 v5, s70, v30
	v_lshlrev_b32_e32 v30, 2, v5
	ds_write_b32 v30, v52 offset:5120
	s_and_saveexec_b64 s[80:81], s[38:39]
	s_cbranch_execz .LBB101_40
; %bb.48:                               ;   in Loop: Header=BB101_42 Depth=3
	s_andn2_b64 vcc, exec, s[50:51]
	s_cbranch_vccnz .LBB101_52
; %bb.49:                               ;   in Loop: Header=BB101_42 Depth=3
	v_mov_b32_e32 v53, 0
	v_mov_b32_e32 v54, v49
	s_mov_b64 s[82:83], s[46:47]
	v_pk_mov_b32 v[30:31], v[24:25], v[24:25] op_sel:[0,1]
.LBB101_50:                             ;   Parent Loop BB101_14 Depth=1
                                        ;     Parent Loop BB101_27 Depth=2
                                        ;       Parent Loop BB101_42 Depth=3
                                        ; =>      This Inner Loop Header: Depth=4
	global_load_dword v55, v[30:31], off
	ds_read_b32 v56, v54
	s_add_u32 s82, s82, -1
	v_add_co_u32_e32 v30, vcc, 4, v30
	s_addc_u32 s83, s83, -1
	v_addc_co_u32_e32 v31, vcc, 0, v31, vcc
	v_add_u32_e32 v54, 32, v54
	s_cmp_lg_u64 s[82:83], 0
	s_waitcnt vmcnt(0) lgkmcnt(0)
	v_fmac_f32_e32 v53, v56, v55
	s_cbranch_scc1 .LBB101_50
; %bb.51:                               ;   in Loop: Header=BB101_42 Depth=3
	s_branch .LBB101_39
.LBB101_52:                             ;   in Loop: Header=BB101_42 Depth=3
                                        ; implicit-def: $vgpr53
	s_cbranch_execz .LBB101_39
; %bb.53:                               ;   in Loop: Header=BB101_42 Depth=3
	v_mov_b32_e32 v53, 0
	v_mov_b32_e32 v54, v50
	v_pk_mov_b32 v[30:31], v[26:27], v[26:27] op_sel:[0,1]
	s_mov_b64 s[82:83], s[46:47]
.LBB101_54:                             ;   Parent Loop BB101_14 Depth=1
                                        ;     Parent Loop BB101_27 Depth=2
                                        ;       Parent Loop BB101_42 Depth=3
                                        ; =>      This Inner Loop Header: Depth=4
	global_load_dword v55, v[30:31], off
	ds_read_b32 v56, v54
	s_add_u32 s82, s82, -1
	v_mov_b32_e32 v57, s49
	v_add_co_u32_e32 v30, vcc, s48, v30
	s_addc_u32 s83, s83, -1
	v_add_u32_e32 v54, 4, v54
	v_addc_co_u32_e32 v31, vcc, v31, v57, vcc
	s_cmp_eq_u64 s[82:83], 0
	s_waitcnt vmcnt(0) lgkmcnt(0)
	v_fmac_f32_e32 v53, v56, v55
	s_cbranch_scc0 .LBB101_54
	s_branch .LBB101_39
.LBB101_55:                             ;   in Loop: Header=BB101_27 Depth=2
	s_or_b64 exec, exec, s[76:77]
	v_pk_mov_b32 v[20:21], v[28:29], v[28:29] op_sel:[0,1]
.LBB101_56:                             ;   in Loop: Header=BB101_27 Depth=2
	s_or_b64 exec, exec, s[74:75]
.LBB101_57:                             ;   in Loop: Header=BB101_27 Depth=2
	s_or_b64 exec, exec, s[72:73]
	s_waitcnt lgkmcnt(0)
	s_barrier
	s_and_saveexec_b64 s[20:21], s[18:19]
	s_cbranch_execz .LBB101_26
; %bb.58:                               ;   in Loop: Header=BB101_27 Depth=2
	v_mov_b32_e32 v5, s55
	v_add_co_u32_e32 v18, vcc, s54, v18
	v_addc_co_u32_e32 v19, vcc, v5, v19, vcc
	global_store_dwordx2 v[18:19], v[20:21], off
	s_branch .LBB101_26
.LBB101_59:                             ;   in Loop: Header=BB101_14 Depth=1
	s_andn2_b64 vcc, exec, s[0:1]
	s_cbranch_vccnz .LBB101_71
; %bb.60:                               ;   in Loop: Header=BB101_14 Depth=1
	s_load_dwordx4 s[24:27], s[60:61], 0x0
	s_waitcnt lgkmcnt(0)
	s_sub_u32 s20, s26, s85
	v_mov_b32_e32 v5, s25
	v_add_co_u32_e32 v22, vcc, s24, v39
	s_subb_u32 s21, s27, 0
	v_addc_co_u32_e32 v23, vcc, v5, v40, vcc
	v_cmp_gt_i64_e32 vcc, s[20:21], v[22:23]
	s_and_saveexec_b64 s[26:27], vcc
	s_cbranch_execz .LBB101_70
; %bb.61:                               ;   in Loop: Header=BB101_14 Depth=1
	v_lshlrev_b64 v[18:19], 3, v[22:23]
	v_mov_b32_e32 v5, s23
	v_add_co_u32_e32 v18, vcc, s22, v18
	v_addc_co_u32_e32 v19, vcc, v5, v19, vcc
	v_mad_u64_u32 v[20:21], s[18:19], s66, v22, v[8:9]
	v_mul_lo_u32 v5, s66, v23
	v_mul_lo_u32 v22, s67, v22
	v_add3_u32 v21, v22, v21, v5
	v_mov_b32_e32 v5, s25
	v_add_co_u32_e32 v22, vcc, s24, v47
	v_addc_co_u32_e32 v23, vcc, v48, v5, vcc
	s_mov_b64 s[24:25], 0
	s_branch .LBB101_64
.LBB101_62:                             ;   in Loop: Header=BB101_64 Depth=2
	s_or_b64 exec, exec, s[74:75]
	s_or_b64 s[18:19], s[18:19], exec
.LBB101_63:                             ;   in Loop: Header=BB101_64 Depth=2
	s_or_b64 exec, exec, s[72:73]
	v_cmp_le_i64_e32 vcc, s[20:21], v[22:23]
	s_xor_b64 s[18:19], s[18:19], -1
	s_or_b64 s[18:19], s[18:19], vcc
	v_add_co_u32_e32 v18, vcc, 32, v18
	v_addc_co_u32_e32 v19, vcc, 0, v19, vcc
	v_mov_b32_e32 v5, s69
	v_add_co_u32_e32 v20, vcc, s68, v20
	v_addc_co_u32_e32 v21, vcc, v21, v5, vcc
	s_and_b64 s[18:19], exec, s[18:19]
	v_add_co_u32_e32 v22, vcc, 4, v22
	s_or_b64 s[24:25], s[18:19], s[24:25]
	v_addc_co_u32_e32 v23, vcc, 0, v23, vcc
	s_andn2_b64 exec, exec, s[24:25]
	s_cbranch_execz .LBB101_69
.LBB101_64:                             ;   Parent Loop BB101_14 Depth=1
                                        ; =>  This Inner Loop Header: Depth=2
	global_load_dwordx2 v[24:25], v[18:19], off
	v_mov_b32_e32 v5, s86
	s_waitcnt vmcnt(0)
	v_subrev_co_u32_e32 v24, vcc, s85, v24
	v_subb_co_u32_e32 v25, vcc, v25, v5, vcc
	v_cmp_lt_i64_e32 vcc, v[24:25], v[14:15]
	v_cmp_gt_i64_e64 s[18:19], s[70:71], v[24:25]
	s_xor_b64 s[72:73], vcc, -1
	s_or_b64 s[72:73], s[18:19], s[72:73]
                                        ; implicit-def: $sgpr18_sgpr19
	s_and_saveexec_b64 s[74:75], s[72:73]
	s_xor_b64 s[72:73], exec, s[74:75]
; %bb.65:                               ;   in Loop: Header=BB101_64 Depth=2
	v_cmp_lt_i64_e64 s[18:19], v[24:25], v[16:17]
	v_cndmask_b32_e64 v5, v16, v24, s[18:19]
	v_cndmask_b32_e64 v24, v17, v25, s[18:19]
	v_cndmask_b32_e32 v17, v24, v17, vcc
	v_cndmask_b32_e32 v16, v5, v16, vcc
	s_and_b64 s[18:19], vcc, exec
                                        ; implicit-def: $vgpr24
; %bb.66:                               ;   in Loop: Header=BB101_64 Depth=2
	s_andn2_saveexec_b64 s[72:73], s[72:73]
	s_cbranch_execz .LBB101_63
; %bb.67:                               ;   in Loop: Header=BB101_64 Depth=2
	v_subrev_u32_e32 v5, s70, v24
	v_lshlrev_b32_e32 v24, 2, v5
	ds_write_b32 v24, v52 offset:5120
	s_and_saveexec_b64 s[74:75], s[64:65]
	s_cbranch_execz .LBB101_62
; %bb.68:                               ;   in Loop: Header=BB101_64 Depth=2
	global_load_dword v24, v[20:21], off
	v_lshlrev_b32_e32 v5, 6, v5
	v_or3_b32 v5, v5, v38, v4
	v_lshlrev_b32_e32 v5, 2, v5
	s_waitcnt vmcnt(0)
	v_mul_f32_e32 v24, v33, v24
	ds_add_f32 v5, v24
	s_branch .LBB101_62
.LBB101_69:                             ;   in Loop: Header=BB101_14 Depth=1
	s_or_b64 exec, exec, s[24:25]
.LBB101_70:                             ;   in Loop: Header=BB101_14 Depth=1
	s_or_b64 exec, exec, s[26:27]
.LBB101_71:                             ;   in Loop: Header=BB101_14 Depth=1
	s_and_saveexec_b64 s[18:19], s[6:7]
	s_cbranch_execz .LBB101_76
; %bb.72:                               ;   in Loop: Header=BB101_14 Depth=1
	s_mov_b64 s[24:25], exec
	s_mov_b64 s[20:21], -1
.LBB101_73:                             ;   Parent Loop BB101_14 Depth=1
                                        ; =>  This Inner Loop Header: Depth=2
	s_ff1_i32_b64 s72, s[24:25]
	v_readlane_b32 s73, v17, s72
	v_readlane_b32 s74, v16, s72
	v_mov_b32_e32 v14, s74
	v_mov_b32_e32 v15, s73
	v_cmp_lt_u64_e32 vcc, s[20:21], v[14:15]
	s_and_b64 s[26:27], vcc, exec
	s_cselect_b32 s21, s21, s73
	s_cselect_b32 s20, s20, s74
	s_lshl_b64 s[26:27], 1, s72
	s_andn2_b64 s[24:25], s[24:25], s[26:27]
	s_cmp_lg_u64 s[24:25], 0
	s_cbranch_scc1 .LBB101_73
; %bb.74:                               ;   in Loop: Header=BB101_14 Depth=1
	v_mbcnt_lo_u32_b32 v5, exec_lo, 0
	v_mbcnt_hi_u32_b32 v5, exec_hi, v5
	v_cmp_eq_u32_e32 vcc, 0, v5
	s_and_saveexec_b64 s[24:25], vcc
	s_xor_b64 s[24:25], exec, s[24:25]
	s_cbranch_execz .LBB101_76
; %bb.75:                               ;   in Loop: Header=BB101_14 Depth=1
	v_pk_mov_b32 v[14:15], s[20:21], s[20:21] op_sel:[0,1]
	ds_min_u64 v3, v[14:15] offset:5184
.LBB101_76:                             ;   in Loop: Header=BB101_14 Depth=1
	s_or_b64 exec, exec, s[18:19]
	s_waitcnt lgkmcnt(0)
	s_barrier
	ds_read_b32 v5, v41
	s_waitcnt lgkmcnt(0)
	s_barrier
	s_and_saveexec_b64 s[18:19], s[10:11]
	s_cbranch_execz .LBB101_78
; %bb.77:                               ;   in Loop: Header=BB101_14 Depth=1
	ds_read_b32 v14, v42
	s_waitcnt lgkmcnt(0)
	v_add_u32_e32 v5, v14, v5
.LBB101_78:                             ;   in Loop: Header=BB101_14 Depth=1
	s_or_b64 exec, exec, s[18:19]
	s_barrier
	ds_write_b32 v41, v5
	s_waitcnt lgkmcnt(0)
	s_barrier
	s_and_saveexec_b64 s[18:19], s[12:13]
	s_cbranch_execz .LBB101_80
; %bb.79:                               ;   in Loop: Header=BB101_14 Depth=1
	ds_read_b32 v14, v44
	s_waitcnt lgkmcnt(0)
	v_add_u32_e32 v5, v14, v5
.LBB101_80:                             ;   in Loop: Header=BB101_14 Depth=1
	s_or_b64 exec, exec, s[18:19]
	s_barrier
	ds_write_b32 v41, v5
	;; [unrolled: 12-line block ×4, first 2 shown]
	s_waitcnt lgkmcnt(0)
	s_barrier
	ds_read_b32 v17, v3 offset:5180
	v_mov_b32_e32 v14, 0
	s_and_saveexec_b64 s[18:19], s[8:9]
	s_cbranch_execz .LBB101_86
; %bb.85:                               ;   in Loop: Header=BB101_14 Depth=1
	ds_read_b32 v14, v42
.LBB101_86:                             ;   in Loop: Header=BB101_14 Depth=1
	s_or_b64 exec, exec, s[18:19]
	s_waitcnt lgkmcnt(0)
	v_cmp_eq_u32_e32 vcc, v5, v14
	s_and_b64 s[20:21], s[8:9], vcc
	s_barrier
	s_and_saveexec_b64 s[18:19], s[20:21]
	s_cbranch_execz .LBB101_88
; %bb.87:                               ;   in Loop: Header=BB101_14 Depth=1
	ds_write_b32 v41, v3
.LBB101_88:                             ;   in Loop: Header=BB101_14 Depth=1
	s_or_b64 exec, exec, s[18:19]
	v_add_co_u32_e32 v18, vcc, -1, v12
	s_add_u32 s24, s30, s70
	v_addc_co_u32_e32 v19, vcc, -1, v13, vcc
	s_addc_u32 s25, 0, s71
	s_mov_b64 s[18:19], 0
	v_mov_b32_e32 v20, v51
	v_mov_b32_e32 v21, v34
	v_pk_mov_b32 v[14:15], v[2:3], v[2:3] op_sel:[0,1]
	s_waitcnt lgkmcnt(0)
	s_barrier
	s_branch .LBB101_90
.LBB101_89:                             ;   in Loop: Header=BB101_90 Depth=2
	s_or_b64 exec, exec, s[20:21]
	v_add_co_u32_e32 v14, vcc, 4, v14
	v_addc_co_u32_e32 v15, vcc, 0, v15, vcc
	v_add_u32_e32 v5, -4, v14
	v_cmp_lt_u32_e32 vcc, 11, v5
	v_add_u32_e32 v21, 0x400, v21
	s_or_b64 s[18:19], vcc, s[18:19]
	v_add_u32_e32 v20, 16, v20
	s_andn2_b64 exec, exec, s[18:19]
	s_cbranch_execz .LBB101_13
.LBB101_90:                             ;   Parent Loop BB101_14 Depth=1
                                        ; =>  This Inner Loop Header: Depth=2
	ds_read_b32 v16, v20
	s_waitcnt lgkmcnt(0)
	v_cmp_ne_u32_e32 vcc, 0, v16
	s_and_saveexec_b64 s[20:21], vcc
	s_cbranch_execz .LBB101_89
; %bb.91:                               ;   in Loop: Header=BB101_90 Depth=2
	v_mov_b32_e32 v23, s25
	v_add_co_u32_e32 v22, vcc, s24, v14
	v_addc_co_u32_e32 v23, vcc, v23, v15, vcc
	v_ashrrev_i32_e32 v5, 31, v16
	v_add_co_u32_e32 v24, vcc, v12, v16
	v_addc_co_u32_e32 v25, vcc, v13, v5, vcc
	v_lshlrev_b64 v[24:25], 3, v[24:25]
	v_mov_b32_e32 v26, s89
	v_add_co_u32_e32 v24, vcc, s88, v24
	v_addc_co_u32_e32 v25, vcc, v26, v25, vcc
	global_store_dwordx2 v[24:25], v[22:23], off
	s_and_b64 exec, exec, s[64:65]
	s_cbranch_execz .LBB101_89
; %bb.92:                               ;   in Loop: Header=BB101_90 Depth=2
	v_add_co_u32_e32 v16, vcc, v18, v16
	v_addc_co_u32_e32 v5, vcc, v19, v5, vcc
	ds_read_b32 v24, v21
	v_mul_lo_u32 v5, v5, s58
	v_mul_lo_u32 v25, v16, s59
	v_mad_u64_u32 v[22:23], s[26:27], v16, s58, 0
	v_add3_u32 v23, v23, v25, v5
	v_lshlrev_b64 v[22:23], 2, v[22:23]
	v_add_co_u32_e32 v22, vcc, v0, v22
	v_addc_co_u32_e32 v23, vcc, v1, v23, vcc
	s_waitcnt lgkmcnt(0)
	global_store_dword v[22:23], v24, off
	s_branch .LBB101_89
.LBB101_93:
	s_endpgm
	.section	.rodata,"a",@progbits
	.p2align	6, 0x0
	.amdhsa_kernel _ZN9rocsparseL38bsrgemm_block_per_row_atomic_multipassILj256ELj16ELj8EllfEEv20rocsparse_direction_T3_S2_PKS2_S4_NS_24const_host_device_scalarIT4_EEPKT2_S4_PKS6_SA_S4_SC_S7_SA_S4_SC_SA_PS2_PS6_PS8_21rocsparse_index_base_SG_SG_SG_bbb
		.amdhsa_group_segment_fixed_size 5192
		.amdhsa_private_segment_fixed_size 0
		.amdhsa_kernarg_size 180
		.amdhsa_user_sgpr_count 6
		.amdhsa_user_sgpr_private_segment_buffer 1
		.amdhsa_user_sgpr_dispatch_ptr 0
		.amdhsa_user_sgpr_queue_ptr 0
		.amdhsa_user_sgpr_kernarg_segment_ptr 1
		.amdhsa_user_sgpr_dispatch_id 0
		.amdhsa_user_sgpr_flat_scratch_init 0
		.amdhsa_user_sgpr_kernarg_preload_length 0
		.amdhsa_user_sgpr_kernarg_preload_offset 0
		.amdhsa_user_sgpr_private_segment_size 0
		.amdhsa_uses_dynamic_stack 0
		.amdhsa_system_sgpr_private_segment_wavefront_offset 0
		.amdhsa_system_sgpr_workgroup_id_x 1
		.amdhsa_system_sgpr_workgroup_id_y 0
		.amdhsa_system_sgpr_workgroup_id_z 0
		.amdhsa_system_sgpr_workgroup_info 0
		.amdhsa_system_vgpr_workitem_id 0
		.amdhsa_next_free_vgpr 58
		.amdhsa_next_free_sgpr 90
		.amdhsa_accum_offset 60
		.amdhsa_reserve_vcc 1
		.amdhsa_reserve_flat_scratch 0
		.amdhsa_float_round_mode_32 0
		.amdhsa_float_round_mode_16_64 0
		.amdhsa_float_denorm_mode_32 3
		.amdhsa_float_denorm_mode_16_64 3
		.amdhsa_dx10_clamp 1
		.amdhsa_ieee_mode 1
		.amdhsa_fp16_overflow 0
		.amdhsa_tg_split 0
		.amdhsa_exception_fp_ieee_invalid_op 0
		.amdhsa_exception_fp_denorm_src 0
		.amdhsa_exception_fp_ieee_div_zero 0
		.amdhsa_exception_fp_ieee_overflow 0
		.amdhsa_exception_fp_ieee_underflow 0
		.amdhsa_exception_fp_ieee_inexact 0
		.amdhsa_exception_int_div_zero 0
	.end_amdhsa_kernel
	.section	.text._ZN9rocsparseL38bsrgemm_block_per_row_atomic_multipassILj256ELj16ELj8EllfEEv20rocsparse_direction_T3_S2_PKS2_S4_NS_24const_host_device_scalarIT4_EEPKT2_S4_PKS6_SA_S4_SC_S7_SA_S4_SC_SA_PS2_PS6_PS8_21rocsparse_index_base_SG_SG_SG_bbb,"axG",@progbits,_ZN9rocsparseL38bsrgemm_block_per_row_atomic_multipassILj256ELj16ELj8EllfEEv20rocsparse_direction_T3_S2_PKS2_S4_NS_24const_host_device_scalarIT4_EEPKT2_S4_PKS6_SA_S4_SC_S7_SA_S4_SC_SA_PS2_PS6_PS8_21rocsparse_index_base_SG_SG_SG_bbb,comdat
.Lfunc_end101:
	.size	_ZN9rocsparseL38bsrgemm_block_per_row_atomic_multipassILj256ELj16ELj8EllfEEv20rocsparse_direction_T3_S2_PKS2_S4_NS_24const_host_device_scalarIT4_EEPKT2_S4_PKS6_SA_S4_SC_S7_SA_S4_SC_SA_PS2_PS6_PS8_21rocsparse_index_base_SG_SG_SG_bbb, .Lfunc_end101-_ZN9rocsparseL38bsrgemm_block_per_row_atomic_multipassILj256ELj16ELj8EllfEEv20rocsparse_direction_T3_S2_PKS2_S4_NS_24const_host_device_scalarIT4_EEPKT2_S4_PKS6_SA_S4_SC_S7_SA_S4_SC_SA_PS2_PS6_PS8_21rocsparse_index_base_SG_SG_SG_bbb
                                        ; -- End function
	.section	.AMDGPU.csdata,"",@progbits
; Kernel info:
; codeLenInByte = 3492
; NumSgprs: 94
; NumVgprs: 58
; NumAgprs: 0
; TotalNumVgprs: 58
; ScratchSize: 0
; MemoryBound: 0
; FloatMode: 240
; IeeeMode: 1
; LDSByteSize: 5192 bytes/workgroup (compile time only)
; SGPRBlocks: 11
; VGPRBlocks: 7
; NumSGPRsForWavesPerEU: 94
; NumVGPRsForWavesPerEU: 58
; AccumOffset: 60
; Occupancy: 8
; WaveLimiterHint : 1
; COMPUTE_PGM_RSRC2:SCRATCH_EN: 0
; COMPUTE_PGM_RSRC2:USER_SGPR: 6
; COMPUTE_PGM_RSRC2:TRAP_HANDLER: 0
; COMPUTE_PGM_RSRC2:TGID_X_EN: 1
; COMPUTE_PGM_RSRC2:TGID_Y_EN: 0
; COMPUTE_PGM_RSRC2:TGID_Z_EN: 0
; COMPUTE_PGM_RSRC2:TIDIG_COMP_CNT: 0
; COMPUTE_PGM_RSRC3_GFX90A:ACCUM_OFFSET: 14
; COMPUTE_PGM_RSRC3_GFX90A:TG_SPLIT: 0
	.section	.text._ZN9rocsparseL38bsrgemm_block_per_row_atomic_multipassILj256ELj32ELj8EllfEEv20rocsparse_direction_T3_S2_PKS2_S4_NS_24const_host_device_scalarIT4_EEPKT2_S4_PKS6_SA_S4_SC_S7_SA_S4_SC_SA_PS2_PS6_PS8_21rocsparse_index_base_SG_SG_SG_bbb,"axG",@progbits,_ZN9rocsparseL38bsrgemm_block_per_row_atomic_multipassILj256ELj32ELj8EllfEEv20rocsparse_direction_T3_S2_PKS2_S4_NS_24const_host_device_scalarIT4_EEPKT2_S4_PKS6_SA_S4_SC_S7_SA_S4_SC_SA_PS2_PS6_PS8_21rocsparse_index_base_SG_SG_SG_bbb,comdat
	.globl	_ZN9rocsparseL38bsrgemm_block_per_row_atomic_multipassILj256ELj32ELj8EllfEEv20rocsparse_direction_T3_S2_PKS2_S4_NS_24const_host_device_scalarIT4_EEPKT2_S4_PKS6_SA_S4_SC_S7_SA_S4_SC_SA_PS2_PS6_PS8_21rocsparse_index_base_SG_SG_SG_bbb ; -- Begin function _ZN9rocsparseL38bsrgemm_block_per_row_atomic_multipassILj256ELj32ELj8EllfEEv20rocsparse_direction_T3_S2_PKS2_S4_NS_24const_host_device_scalarIT4_EEPKT2_S4_PKS6_SA_S4_SC_S7_SA_S4_SC_SA_PS2_PS6_PS8_21rocsparse_index_base_SG_SG_SG_bbb
	.p2align	8
	.type	_ZN9rocsparseL38bsrgemm_block_per_row_atomic_multipassILj256ELj32ELj8EllfEEv20rocsparse_direction_T3_S2_PKS2_S4_NS_24const_host_device_scalarIT4_EEPKT2_S4_PKS6_SA_S4_SC_S7_SA_S4_SC_SA_PS2_PS6_PS8_21rocsparse_index_base_SG_SG_SG_bbb,@function
_ZN9rocsparseL38bsrgemm_block_per_row_atomic_multipassILj256ELj32ELj8EllfEEv20rocsparse_direction_T3_S2_PKS2_S4_NS_24const_host_device_scalarIT4_EEPKT2_S4_PKS6_SA_S4_SC_S7_SA_S4_SC_SA_PS2_PS6_PS8_21rocsparse_index_base_SG_SG_SG_bbb: ; @_ZN9rocsparseL38bsrgemm_block_per_row_atomic_multipassILj256ELj32ELj8EllfEEv20rocsparse_direction_T3_S2_PKS2_S4_NS_24const_host_device_scalarIT4_EEPKT2_S4_PKS6_SA_S4_SC_S7_SA_S4_SC_SA_PS2_PS6_PS8_21rocsparse_index_base_SG_SG_SG_bbb
; %bb.0:
	s_load_dword s7, s[4:5], 0xb0
	s_load_dwordx4 s[44:47], s[4:5], 0xa0
	s_load_dwordx2 s[0:1], s[4:5], 0x28
	s_load_dwordx2 s[8:9], s[4:5], 0x60
	s_waitcnt lgkmcnt(0)
	s_bitcmp1_b32 s7, 0
	s_cselect_b64 s[10:11], -1, 0
	s_bitcmp1_b32 s7, 16
	s_cselect_b64 s[12:13], -1, 0
	s_xor_b64 s[2:3], s[10:11], -1
	s_or_b64 s[2:3], s[2:3], s[12:13]
	s_and_b64 vcc, exec, s[2:3]
	s_cbranch_vccnz .LBB102_2
; %bb.1:
	s_load_dword s0, s[0:1], 0x0
	s_waitcnt lgkmcnt(0)
	v_mov_b32_e32 v32, s0
	s_branch .LBB102_3
.LBB102_2:
	v_mov_b32_e32 v1, s0
	v_cndmask_b32_e64 v32, 0, v1, s[10:11]
.LBB102_3:
	s_load_dwordx2 s[2:3], s[4:5], 0x20
	s_bitcmp1_b32 s7, 8
	s_cselect_b64 s[0:1], -1, 0
	s_xor_b64 s[14:15], s[0:1], -1
	s_or_b64 s[12:13], s[14:15], s[12:13]
	s_mov_b32 s7, 0
	s_and_b64 vcc, exec, s[12:13]
	s_cbranch_vccnz .LBB102_5
; %bb.4:
	s_load_dword s8, s[8:9], 0x0
	s_waitcnt lgkmcnt(0)
	v_mov_b32_e32 v33, s8
	s_load_dwordx2 s[8:9], s[4:5], 0x30
	s_cmp_eq_u64 s[2:3], 0
	s_mov_b64 s[34:35], 0
	s_cbranch_scc0 .LBB102_6
	s_branch .LBB102_7
.LBB102_5:
	v_mov_b32_e32 v1, s8
	v_cndmask_b32_e64 v33, 0, v1, s[0:1]
	s_load_dwordx2 s[8:9], s[4:5], 0x30
	s_waitcnt lgkmcnt(0)
	s_cmp_eq_u64 s[2:3], 0
	s_mov_b64 s[34:35], 0
	s_cbranch_scc1 .LBB102_7
.LBB102_6:
	s_load_dwordx2 s[12:13], s[4:5], 0x18
	s_waitcnt lgkmcnt(0)
	s_load_dwordx2 s[12:13], s[12:13], 0x0
	s_waitcnt lgkmcnt(0)
	s_lshl_b64 s[12:13], s[12:13], 3
	s_add_u32 s12, s2, s12
	s_addc_u32 s13, s3, s13
	s_lshl_b64 s[2:3], s[6:7], 3
	s_add_u32 s2, s12, s2
	s_addc_u32 s3, s13, s3
	s_load_dwordx2 s[6:7], s[2:3], 0x0
.LBB102_7:
	v_cndmask_b32_e64 v1, 0, 1, s[10:11]
	v_cmp_ne_u32_e64 s[2:3], 1, v1
	s_andn2_b64 vcc, exec, s[10:11]
	s_cbranch_vccz .LBB102_10
; %bb.8:
	s_and_b64 vcc, exec, s[2:3]
	s_mov_b64 s[56:57], 0
	s_cbranch_vccz .LBB102_11
.LBB102_9:
	s_load_dwordx4 s[48:51], s[4:5], 0x8
	s_waitcnt lgkmcnt(0)
	v_cmp_lt_i64_e64 s[2:3], s[48:49], 1
	s_and_b64 vcc, exec, s[2:3]
	s_cbranch_vccz .LBB102_12
	s_branch .LBB102_95
.LBB102_10:
	s_waitcnt lgkmcnt(0)
	s_lshl_b64 s[12:13], s[6:7], 3
	s_add_u32 s12, s8, s12
	s_addc_u32 s13, s9, s13
	s_load_dwordx2 s[12:13], s[12:13], 0x0
	s_waitcnt lgkmcnt(0)
	s_sub_u32 s34, s12, s44
	s_subb_u32 s35, s13, 0
	s_and_b64 vcc, exec, s[2:3]
	s_mov_b64 s[56:57], 0
	s_cbranch_vccnz .LBB102_9
.LBB102_11:
	s_waitcnt lgkmcnt(0)
	s_lshl_b64 s[2:3], s[6:7], 3
	s_add_u32 s2, s8, s2
	s_addc_u32 s3, s9, s3
	s_load_dwordx2 s[2:3], s[2:3], 0x8
	s_waitcnt lgkmcnt(0)
	s_sub_u32 s56, s2, s44
	s_subb_u32 s57, s3, 0
	s_load_dwordx4 s[48:51], s[4:5], 0x8
	s_waitcnt lgkmcnt(0)
	v_cmp_lt_i64_e64 s[2:3], s[48:49], 1
	s_and_b64 vcc, exec, s[2:3]
	s_cbranch_vccnz .LBB102_95
.LBB102_12:
	s_load_dwordx2 s[58:59], s[4:5], 0x98
	s_load_dwordx4 s[52:55], s[4:5], 0x88
	s_load_dwordx8 s[24:31], s[4:5], 0x68
	s_load_dwordx2 s[60:61], s[4:5], 0x58
	s_load_dwordx8 s[36:43], s[4:5], 0x38
	s_lshl_b64 s[8:9], s[6:7], 3
	s_mul_i32 s6, s50, s51
	s_waitcnt lgkmcnt(0)
	s_add_u32 s2, s30, s8
	s_addc_u32 s3, s31, s9
	s_load_dwordx2 s[2:3], s[2:3], 0x0
	s_mul_hi_u32 s7, s50, s50
	v_bfe_u32 v10, v0, 3, 3
	v_pk_mov_b32 v[6:7], s[56:57], s[56:57] op_sel:[0,1]
	v_cmp_lt_i64_e32 vcc, s[34:35], v[6:7]
	s_waitcnt lgkmcnt(0)
	s_sub_u32 s22, s2, s46
	s_subb_u32 s23, s3, 0
	s_add_i32 s7, s7, s6
	s_add_i32 s31, s7, s6
	v_mad_u64_u32 v[6:7], s[6:7], v10, s50, 0
	v_mov_b32_e32 v8, v7
	v_mad_u64_u32 v[8:9], s[6:7], v10, s51, v[8:9]
	v_mov_b32_e32 v7, v8
	v_lshlrev_b64 v[8:9], 2, v[6:7]
	v_and_b32_e32 v4, 7, v0
	v_mov_b32_e32 v6, s39
	v_add_co_u32_e64 v12, s[6:7], s38, v8
	v_addc_co_u32_e64 v13, s[6:7], v6, v9, s[6:7]
	v_lshlrev_b32_e32 v6, 2, v4
	v_mov_b32_e32 v3, 0
	v_add_co_u32_e64 v36, s[6:7], v12, v6
	v_mov_b32_e32 v5, v3
	v_mov_b32_e32 v11, v3
	v_addc_co_u32_e64 v37, s[6:7], 0, v13, s[6:7]
	v_cmp_gt_i64_e64 s[14:15], s[50:51], v[4:5]
	v_cmp_gt_i64_e64 s[6:7], s[50:51], v[10:11]
	s_and_b64 s[38:39], s[14:15], s[6:7]
	v_mad_u64_u32 v[12:13], s[6:7], v4, s50, 0
	v_mov_b32_e32 v14, v13
	v_mad_u64_u32 v[14:15], s[6:7], v4, s51, v[14:15]
	v_mov_b32_e32 v13, v14
	v_lshlrev_b64 v[12:13], 2, v[12:13]
	v_cmp_gt_u64_e64 s[12:13], s[50:51], v[10:11]
	v_lshlrev_b64 v[14:15], 2, v[10:11]
	v_mov_b32_e32 v5, s55
	v_add_co_u32_e64 v11, s[6:7], s54, v12
	v_addc_co_u32_e64 v16, s[6:7], v5, v13, s[6:7]
	v_add_co_u32_e64 v11, s[6:7], v11, v14
	v_addc_co_u32_e64 v16, s[6:7], v16, v15, s[6:7]
	;; [unrolled: 2-line block ×3, first 2 shown]
	v_add_co_u32_e64 v17, s[6:7], v17, v6
	v_lshrrev_b32_e32 v2, 6, v0
	v_addc_co_u32_e64 v5, s[6:7], 0, v5, s[6:7]
	v_subrev_co_u32_e64 v39, s[6:7], s47, v2
	v_subb_co_u32_e64 v40, s[6:7], 0, 0, s[6:7]
	v_mov_b32_e32 v18, s29
	v_add_co_u32_e64 v12, s[6:7], s28, v12
	v_addc_co_u32_e64 v13, s[6:7], v18, v13, s[6:7]
	s_load_dword s16, s[4:5], 0x0
	v_add_co_u32_e64 v12, s[6:7], v12, v14
	v_addc_co_u32_e64 v13, s[6:7], v13, v15, s[6:7]
	v_add_co_u32_e64 v8, s[6:7], s28, v8
	v_addc_co_u32_e64 v9, s[6:7], v18, v9, s[6:7]
	v_add_co_u32_e64 v8, s[6:7], v8, v6
	v_and_b32_e32 v1, 63, v0
	v_cmp_gt_u32_e64 s[2:3], 32, v0
	v_cmp_eq_u32_e64 s[4:5], 0, v0
	v_lshlrev_b32_e32 v34, 2, v0
	s_waitcnt lgkmcnt(0)
	s_cmp_eq_u32 s16, 0
	v_and_b32_e32 v38, 56, v0
	v_addc_co_u32_e64 v9, s[6:7], 0, v9, s[6:7]
	v_and_b32_e32 v0, 31, v0
	s_cselect_b64 s[20:21], -1, 0
	s_cmp_lg_u32 s16, 0
	v_cmp_eq_u32_e64 s[6:7], 63, v1
	v_lshlrev_b32_e32 v1, 2, v0
	s_cselect_b64 s[54:55], -1, 0
	s_add_u32 s24, s24, s8
	v_or_b32_e32 v41, 0x2400, v1
	v_add_u32_e32 v44, 0x23f8, v1
	v_add_u32_e32 v45, 0x23f0, v1
	;; [unrolled: 1-line block ×4, first 2 shown]
	v_cndmask_b32_e64 v1, v16, v5, s[20:21]
	v_lshlrev_b32_e32 v5, 2, v10
	s_addc_u32 s25, s25, s9
	s_and_b64 s[28:29], s[10:11], vcc
	s_and_b64 s[62:63], s[14:15], s[12:13]
	v_lshl_or_b32 v5, v2, 8, v5
	s_mov_b32 s87, s47
	s_add_u32 s47, s40, 8
	v_add_u32_e32 v48, 0x2000, v5
	v_mov_b32_e32 v5, s61
	v_add_co_u32_e32 v10, vcc, s60, v6
	v_add_co_u32_e64 v14, s[8:9], -1, v0
	v_mov_b32_e32 v15, 0x2400
	v_cmp_ne_u32_e64 s[10:11], 0, v0
	v_cmp_lt_u32_e64 s[12:13], 1, v0
	v_cmp_lt_u32_e64 s[14:15], 3, v0
	;; [unrolled: 1-line block ×4, first 2 shown]
	v_cndmask_b32_e64 v0, v11, v17, s[20:21]
	s_addc_u32 s89, s41, 0
	v_addc_co_u32_e32 v11, vcc, 0, v5, vcc
	s_mov_b32 s33, 0
	s_mul_i32 s30, s50, s50
	v_lshl_add_u32 v42, v14, 2, v15
	s_add_u32 s90, s52, -8
	v_and_b32_e32 v5, 0x3e0, v34
	v_add_co_u32_e32 v50, vcc, 4, v39
	v_lshl_or_b32 v52, v2, 2, v15
	v_mov_b32_e32 v14, 32
	v_or_b32_e32 v35, 0x2000, v34
	v_mov_b32_e32 v7, v3
	s_mov_b32 s86, s33
	s_mov_b32 s88, s33
	v_or_b32_e32 v43, 0x2400, v34
	v_cndmask_b32_e64 v9, v13, v9, s[20:21]
	v_cndmask_b32_e64 v8, v12, v8, s[20:21]
	s_addc_u32 s91, s53, -1
	s_lshl_b64 s[52:53], s[50:51], 2
	s_lshl_b64 s[64:65], s[30:31], 2
	v_or_b32_e32 v49, 0x2000, v5
	s_lshl_b64 s[66:67], s[30:31], 4
	v_addc_co_u32_e32 v51, vcc, 0, v40, vcc
	s_mov_b64 s[68:69], 0
	v_mov_b32_e32 v15, 0
	v_pk_mov_b32 v[12:13], s[22:23], s[22:23] op_sel:[0,1]
	v_mov_b32_e32 v53, 1
	s_branch .LBB102_14
.LBB102_13:                             ;   in Loop: Header=BB102_14 Depth=1
	s_or_b64 exec, exec, s[20:21]
	s_barrier
	ds_read_b64 v[18:19], v3 offset:9344
	v_ashrrev_i32_e32 v5, 31, v17
	v_add_co_u32_e32 v12, vcc, v12, v17
	v_addc_co_u32_e32 v13, vcc, v13, v5, vcc
	s_waitcnt lgkmcnt(0)
	v_add_co_u32_e32 v14, vcc, 32, v18
	v_addc_co_u32_e32 v15, vcc, 0, v19, vcc
	v_cmp_le_i64_e32 vcc, s[48:49], v[18:19]
	v_readfirstlane_b32 s68, v18
	v_readfirstlane_b32 s69, v19
	s_barrier
	s_cbranch_vccnz .LBB102_95
.LBB102_14:                             ; =>This Loop Header: Depth=1
                                        ;     Child Loop BB102_18 Depth 2
                                        ;     Child Loop BB102_27 Depth 2
                                        ;       Child Loop BB102_42 Depth 3
                                        ;         Child Loop BB102_54 Depth 4
                                        ;         Child Loop BB102_50 Depth 4
                                        ;     Child Loop BB102_64 Depth 2
                                        ;     Child Loop BB102_73 Depth 2
	;; [unrolled: 1-line block ×3, first 2 shown]
	s_and_saveexec_b64 s[20:21], s[2:3]
	s_cbranch_execz .LBB102_16
; %bb.15:                               ;   in Loop: Header=BB102_14 Depth=1
	ds_write_b32 v43, v3
.LBB102_16:                             ;   in Loop: Header=BB102_14 Depth=1
	s_or_b64 exec, exec, s[20:21]
	s_mov_b32 s72, 0
	s_mov_b64 s[20:21], 0
	v_mov_b32_e32 v5, v34
	s_branch .LBB102_18
.LBB102_17:                             ;   in Loop: Header=BB102_18 Depth=2
	s_or_b64 exec, exec, s[70:71]
	s_add_i32 s72, s72, 2
	v_cmp_eq_u32_e64 s[22:23], 8, s72
	s_or_b64 s[20:21], s[22:23], s[20:21]
	v_add_u32_e32 v5, 0x800, v5
	s_andn2_b64 exec, exec, s[20:21]
	s_cbranch_execz .LBB102_22
.LBB102_18:                             ;   Parent Loop BB102_14 Depth=1
                                        ; =>  This Inner Loop Header: Depth=2
	s_or_b32 s22, s72, 1
	v_cmp_le_u32_e64 s[22:23], s22, 7
	v_cmp_le_u32_e64 s[74:75], s72, 7
	s_and_saveexec_b64 s[70:71], s[74:75]
	s_cbranch_execz .LBB102_20
; %bb.19:                               ;   in Loop: Header=BB102_18 Depth=2
	ds_write_b32 v5, v3
.LBB102_20:                             ;   in Loop: Header=BB102_18 Depth=2
	s_or_b64 exec, exec, s[70:71]
	s_and_saveexec_b64 s[70:71], s[22:23]
	s_cbranch_execz .LBB102_17
; %bb.21:                               ;   in Loop: Header=BB102_18 Depth=2
	ds_write_b32 v5, v3 offset:1024
	s_branch .LBB102_17
.LBB102_22:                             ;   in Loop: Header=BB102_14 Depth=1
	s_or_b64 exec, exec, s[20:21]
	s_and_saveexec_b64 s[20:21], s[4:5]
	s_cbranch_execz .LBB102_24
; %bb.23:                               ;   in Loop: Header=BB102_14 Depth=1
	v_pk_mov_b32 v[16:17], s[48:49], s[48:49] op_sel:[0,1]
	ds_write_b64 v3, v[16:17] offset:9344
.LBB102_24:                             ;   in Loop: Header=BB102_14 Depth=1
	s_or_b64 exec, exec, s[20:21]
	s_andn2_b64 vcc, exec, s[28:29]
	v_pk_mov_b32 v[16:17], s[48:49], s[48:49] op_sel:[0,1]
	s_waitcnt lgkmcnt(0)
	s_barrier
	s_cbranch_vccnz .LBB102_59
; %bb.25:                               ;   in Loop: Header=BB102_14 Depth=1
	s_cmp_lg_u64 s[68:69], 0
	s_cselect_b64 s[70:71], -1, 0
	v_pk_mov_b32 v[16:17], s[48:49], s[48:49] op_sel:[0,1]
	s_mov_b64 s[72:73], s[34:35]
	s_branch .LBB102_27
.LBB102_26:                             ;   in Loop: Header=BB102_27 Depth=2
	s_or_b64 exec, exec, s[22:23]
	s_add_u32 s72, s72, 4
	s_addc_u32 s73, s73, 0
	v_pk_mov_b32 v[18:19], s[56:57], s[56:57] op_sel:[0,1]
	v_cmp_lt_i64_e32 vcc, s[72:73], v[18:19]
	s_cbranch_vccz .LBB102_59
.LBB102_27:                             ;   Parent Loop BB102_14 Depth=1
                                        ; =>  This Loop Header: Depth=2
                                        ;       Child Loop BB102_42 Depth 3
                                        ;         Child Loop BB102_54 Depth 4
                                        ;         Child Loop BB102_50 Depth 4
	v_mov_b32_e32 v5, s73
	v_add_co_u32_e32 v18, vcc, s72, v2
	v_addc_co_u32_e32 v19, vcc, 0, v5, vcc
	v_cmp_gt_i64_e64 s[20:21], s[56:57], v[18:19]
	s_barrier
	s_and_saveexec_b64 s[22:23], s[20:21]
	s_cbranch_execz .LBB102_31
; %bb.28:                               ;   in Loop: Header=BB102_27 Depth=2
	v_mov_b32_e32 v5, 0
	s_and_saveexec_b64 s[74:75], s[62:63]
	s_cbranch_execz .LBB102_30
; %bb.29:                               ;   in Loop: Header=BB102_27 Depth=2
	v_mul_lo_u32 v5, v19, s30
	v_mul_lo_u32 v22, v18, s31
	v_mad_u64_u32 v[20:21], s[76:77], v18, s30, 0
	v_add3_u32 v21, v21, v22, v5
	v_lshlrev_b64 v[20:21], 2, v[20:21]
	v_add_co_u32_e32 v20, vcc, v36, v20
	v_addc_co_u32_e32 v21, vcc, v37, v21, vcc
	global_load_dword v5, v[20:21], off
.LBB102_30:                             ;   in Loop: Header=BB102_27 Depth=2
	s_or_b64 exec, exec, s[74:75]
	s_waitcnt vmcnt(0)
	ds_write_b32 v35, v5
.LBB102_31:                             ;   in Loop: Header=BB102_27 Depth=2
	s_or_b64 exec, exec, s[22:23]
	v_pk_mov_b32 v[20:21], 0, 0
	v_lshlrev_b64 v[18:19], 3, v[18:19]
	s_waitcnt lgkmcnt(0)
	s_barrier
	s_and_saveexec_b64 s[74:75], s[20:21]
	s_cbranch_execz .LBB102_57
; %bb.32:                               ;   in Loop: Header=BB102_27 Depth=2
	v_mov_b32_e32 v5, s37
	v_add_co_u32_e32 v20, vcc, s36, v18
	v_addc_co_u32_e32 v21, vcc, v5, v19, vcc
	global_load_dwordx2 v[22:23], v[20:21], off
	s_and_b64 vcc, exec, s[70:71]
	s_cbranch_vccz .LBB102_34
; %bb.33:                               ;   in Loop: Header=BB102_27 Depth=2
	v_mov_b32_e32 v5, s59
	v_add_co_u32_e32 v20, vcc, s58, v18
	v_addc_co_u32_e32 v21, vcc, v5, v19, vcc
	global_load_dwordx2 v[20:21], v[20:21], off
	s_mov_b64 s[22:23], 0
	s_branch .LBB102_35
.LBB102_34:                             ;   in Loop: Header=BB102_27 Depth=2
	s_mov_b64 s[22:23], -1
                                        ; implicit-def: $vgpr20_vgpr21
.LBB102_35:                             ;   in Loop: Header=BB102_27 Depth=2
	v_mov_b32_e32 v5, s86
	s_waitcnt vmcnt(0)
	v_subrev_co_u32_e32 v22, vcc, s44, v22
	v_subb_co_u32_e32 v23, vcc, v23, v5, vcc
	s_andn2_b64 vcc, exec, s[22:23]
	v_lshlrev_b64 v[22:23], 3, v[22:23]
	s_cbranch_vccnz .LBB102_37
; %bb.36:                               ;   in Loop: Header=BB102_27 Depth=2
	v_mov_b32_e32 v5, s41
	v_add_co_u32_e32 v20, vcc, s40, v22
	v_addc_co_u32_e32 v21, vcc, v5, v23, vcc
	global_load_dwordx2 v[20:21], v[20:21], off
	v_mov_b32_e32 v5, s33
	s_waitcnt vmcnt(0)
	v_subrev_co_u32_e32 v20, vcc, s45, v20
	v_subb_co_u32_e32 v21, vcc, v21, v5, vcc
.LBB102_37:                             ;   in Loop: Header=BB102_27 Depth=2
	v_mov_b32_e32 v5, s89
	v_add_co_u32_e32 v22, vcc, s47, v22
	v_addc_co_u32_e32 v23, vcc, v5, v23, vcc
	global_load_dwordx2 v[22:23], v[22:23], off
	v_mov_b32_e32 v5, s33
	s_waitcnt vmcnt(0)
	v_subrev_co_u32_e32 v22, vcc, s45, v22
	v_subb_co_u32_e32 v23, vcc, v23, v5, vcc
	v_cmp_lt_i64_e32 vcc, v[20:21], v[22:23]
	s_and_saveexec_b64 s[76:77], vcc
	s_cbranch_execz .LBB102_56
; %bb.38:                               ;   in Loop: Header=BB102_27 Depth=2
	v_mad_u64_u32 v[24:25], s[22:23], s52, v20, v[6:7]
	v_mul_lo_u32 v5, s52, v21
	v_mul_lo_u32 v26, s53, v20
	v_add3_u32 v5, v26, v25, v5
	v_pk_mov_b32 v[26:27], s[60:61], s[60:61] op_sel:[0,1]
	v_mul_lo_u32 v28, s51, v24
	v_mul_lo_u32 v5, s50, v5
	v_mad_u64_u32 v[24:25], s[22:23], s50, v24, v[26:27]
	v_add3_u32 v25, v28, v25, v5
	v_mad_u64_u32 v[26:27], s[22:23], s64, v20, v[10:11]
	v_mul_lo_u32 v5, s64, v21
	v_mul_lo_u32 v28, s65, v20
	v_add3_u32 v27, v28, v27, v5
	s_mov_b64 s[78:79], 0
	v_pk_mov_b32 v[28:29], v[20:21], v[20:21] op_sel:[0,1]
	s_branch .LBB102_42
.LBB102_39:                             ;   in Loop: Header=BB102_42 Depth=3
	v_lshlrev_b32_e32 v5, 6, v5
	v_or3_b32 v5, v5, v38, v4
	v_lshlrev_b32_e32 v5, 2, v5
	v_mul_f32_e32 v30, v32, v54
	ds_add_f32 v5, v30
.LBB102_40:                             ;   in Loop: Header=BB102_42 Depth=3
	s_or_b64 exec, exec, s[82:83]
	s_or_b64 s[22:23], s[22:23], exec
.LBB102_41:                             ;   in Loop: Header=BB102_42 Depth=3
	s_or_b64 exec, exec, s[80:81]
	v_add_co_u32_e32 v20, vcc, 1, v20
	v_addc_co_u32_e32 v21, vcc, 0, v21, vcc
	v_cmp_ge_i64_e32 vcc, v[20:21], v[22:23]
	s_xor_b64 s[22:23], s[22:23], -1
	s_or_b64 s[22:23], s[22:23], vcc
	v_mov_b32_e32 v5, s65
	v_add_co_u32_e32 v24, vcc, s64, v24
	v_addc_co_u32_e32 v25, vcc, v25, v5, vcc
	s_and_b64 s[22:23], exec, s[22:23]
	v_add_co_u32_e32 v26, vcc, s64, v26
	s_or_b64 s[78:79], s[22:23], s[78:79]
	v_addc_co_u32_e32 v27, vcc, v27, v5, vcc
	s_andn2_b64 exec, exec, s[78:79]
	s_cbranch_execz .LBB102_55
.LBB102_42:                             ;   Parent Loop BB102_14 Depth=1
                                        ;     Parent Loop BB102_27 Depth=2
                                        ; =>    This Loop Header: Depth=3
                                        ;         Child Loop BB102_54 Depth 4
                                        ;         Child Loop BB102_50 Depth 4
	v_lshlrev_b64 v[30:31], 3, v[20:21]
	v_mov_b32_e32 v5, s43
	v_add_co_u32_e32 v30, vcc, s42, v30
	v_addc_co_u32_e32 v31, vcc, v5, v31, vcc
	global_load_dwordx2 v[30:31], v[30:31], off
	v_mov_b32_e32 v5, s33
	s_waitcnt vmcnt(0)
	v_subrev_co_u32_e32 v30, vcc, s45, v30
	v_subb_co_u32_e32 v31, vcc, v31, v5, vcc
	v_cmp_gt_i64_e64 s[22:23], s[68:69], v[30:31]
	v_cmp_ge_i64_e32 vcc, v[30:31], v[14:15]
	s_or_b64 s[80:81], s[22:23], vcc
                                        ; implicit-def: $sgpr22_sgpr23
	s_and_saveexec_b64 s[82:83], s[80:81]
	s_xor_b64 s[80:81], exec, s[82:83]
	s_cbranch_execz .LBB102_46
; %bb.43:                               ;   in Loop: Header=BB102_42 Depth=3
	s_mov_b64 s[22:23], -1
	s_and_saveexec_b64 s[82:83], vcc
; %bb.44:                               ;   in Loop: Header=BB102_42 Depth=3
	v_cmp_lt_i64_e32 vcc, v[30:31], v[16:17]
	v_cndmask_b32_e32 v17, v17, v31, vcc
	v_cndmask_b32_e32 v16, v16, v30, vcc
	s_xor_b64 s[22:23], exec, -1
	v_pk_mov_b32 v[28:29], v[20:21], v[20:21] op_sel:[0,1]
; %bb.45:                               ;   in Loop: Header=BB102_42 Depth=3
	s_or_b64 exec, exec, s[82:83]
	s_and_b64 s[22:23], s[22:23], exec
                                        ; implicit-def: $vgpr30_vgpr31
.LBB102_46:                             ;   in Loop: Header=BB102_42 Depth=3
	s_andn2_saveexec_b64 s[80:81], s[80:81]
	s_cbranch_execz .LBB102_41
; %bb.47:                               ;   in Loop: Header=BB102_42 Depth=3
	v_subrev_u32_e32 v5, s68, v30
	v_lshlrev_b32_e32 v30, 2, v5
	ds_write_b32 v30, v53 offset:9216
	s_and_saveexec_b64 s[82:83], s[38:39]
	s_cbranch_execz .LBB102_40
; %bb.48:                               ;   in Loop: Header=BB102_42 Depth=3
	s_andn2_b64 vcc, exec, s[54:55]
	s_cbranch_vccnz .LBB102_52
; %bb.49:                               ;   in Loop: Header=BB102_42 Depth=3
	v_mov_b32_e32 v54, 0
	v_mov_b32_e32 v55, v48
	s_mov_b64 s[84:85], s[50:51]
	v_pk_mov_b32 v[30:31], v[24:25], v[24:25] op_sel:[0,1]
.LBB102_50:                             ;   Parent Loop BB102_14 Depth=1
                                        ;     Parent Loop BB102_27 Depth=2
                                        ;       Parent Loop BB102_42 Depth=3
                                        ; =>      This Inner Loop Header: Depth=4
	global_load_dword v56, v[30:31], off
	ds_read_b32 v57, v55
	s_add_u32 s84, s84, -1
	v_add_co_u32_e32 v30, vcc, 4, v30
	s_addc_u32 s85, s85, -1
	v_addc_co_u32_e32 v31, vcc, 0, v31, vcc
	v_add_u32_e32 v55, 32, v55
	s_cmp_lg_u64 s[84:85], 0
	s_waitcnt vmcnt(0) lgkmcnt(0)
	v_fmac_f32_e32 v54, v57, v56
	s_cbranch_scc1 .LBB102_50
; %bb.51:                               ;   in Loop: Header=BB102_42 Depth=3
	s_branch .LBB102_39
.LBB102_52:                             ;   in Loop: Header=BB102_42 Depth=3
                                        ; implicit-def: $vgpr54
	s_cbranch_execz .LBB102_39
; %bb.53:                               ;   in Loop: Header=BB102_42 Depth=3
	v_mov_b32_e32 v54, 0
	v_mov_b32_e32 v55, v49
	v_pk_mov_b32 v[30:31], v[26:27], v[26:27] op_sel:[0,1]
	s_mov_b64 s[84:85], s[50:51]
.LBB102_54:                             ;   Parent Loop BB102_14 Depth=1
                                        ;     Parent Loop BB102_27 Depth=2
                                        ;       Parent Loop BB102_42 Depth=3
                                        ; =>      This Inner Loop Header: Depth=4
	global_load_dword v56, v[30:31], off
	ds_read_b32 v57, v55
	s_add_u32 s84, s84, -1
	v_mov_b32_e32 v58, s53
	v_add_co_u32_e32 v30, vcc, s52, v30
	s_addc_u32 s85, s85, -1
	v_add_u32_e32 v55, 4, v55
	v_addc_co_u32_e32 v31, vcc, v31, v58, vcc
	s_cmp_eq_u64 s[84:85], 0
	s_waitcnt vmcnt(0) lgkmcnt(0)
	v_fmac_f32_e32 v54, v57, v56
	s_cbranch_scc0 .LBB102_54
	s_branch .LBB102_39
.LBB102_55:                             ;   in Loop: Header=BB102_27 Depth=2
	s_or_b64 exec, exec, s[78:79]
	v_pk_mov_b32 v[20:21], v[28:29], v[28:29] op_sel:[0,1]
.LBB102_56:                             ;   in Loop: Header=BB102_27 Depth=2
	s_or_b64 exec, exec, s[76:77]
.LBB102_57:                             ;   in Loop: Header=BB102_27 Depth=2
	s_or_b64 exec, exec, s[74:75]
	s_waitcnt lgkmcnt(0)
	s_barrier
	s_and_saveexec_b64 s[22:23], s[20:21]
	s_cbranch_execz .LBB102_26
; %bb.58:                               ;   in Loop: Header=BB102_27 Depth=2
	v_mov_b32_e32 v5, s59
	v_add_co_u32_e32 v18, vcc, s58, v18
	v_addc_co_u32_e32 v19, vcc, v5, v19, vcc
	global_store_dwordx2 v[18:19], v[20:21], off
	s_branch .LBB102_26
.LBB102_59:                             ;   in Loop: Header=BB102_14 Depth=1
	s_andn2_b64 vcc, exec, s[0:1]
	s_cbranch_vccnz .LBB102_71
; %bb.60:                               ;   in Loop: Header=BB102_14 Depth=1
	s_load_dwordx4 s[20:23], s[24:25], 0x0
	s_waitcnt lgkmcnt(0)
	s_sub_u32 s22, s22, s87
	v_mov_b32_e32 v5, s21
	v_add_co_u32_e32 v22, vcc, s20, v39
	s_subb_u32 s23, s23, 0
	v_addc_co_u32_e32 v23, vcc, v5, v40, vcc
	v_cmp_gt_i64_e32 vcc, s[22:23], v[22:23]
	s_and_saveexec_b64 s[70:71], vcc
	s_cbranch_execz .LBB102_70
; %bb.61:                               ;   in Loop: Header=BB102_14 Depth=1
	v_lshlrev_b64 v[18:19], 3, v[22:23]
	v_mov_b32_e32 v5, s27
	v_add_co_u32_e32 v18, vcc, s26, v18
	v_addc_co_u32_e32 v19, vcc, v5, v19, vcc
	v_mad_u64_u32 v[20:21], s[72:73], s64, v22, v[8:9]
	v_mul_lo_u32 v5, s64, v23
	v_mul_lo_u32 v22, s65, v22
	v_add3_u32 v21, v22, v21, v5
	v_mov_b32_e32 v5, s21
	v_add_co_u32_e32 v22, vcc, s20, v50
	v_addc_co_u32_e32 v23, vcc, v51, v5, vcc
	s_mov_b64 s[72:73], 0
	s_branch .LBB102_64
.LBB102_62:                             ;   in Loop: Header=BB102_64 Depth=2
	s_or_b64 exec, exec, s[76:77]
	s_or_b64 s[20:21], s[20:21], exec
.LBB102_63:                             ;   in Loop: Header=BB102_64 Depth=2
	s_or_b64 exec, exec, s[74:75]
	v_cmp_le_i64_e32 vcc, s[22:23], v[22:23]
	s_xor_b64 s[20:21], s[20:21], -1
	s_or_b64 s[20:21], s[20:21], vcc
	v_add_co_u32_e32 v18, vcc, 32, v18
	v_addc_co_u32_e32 v19, vcc, 0, v19, vcc
	v_mov_b32_e32 v5, s67
	v_add_co_u32_e32 v20, vcc, s66, v20
	v_addc_co_u32_e32 v21, vcc, v21, v5, vcc
	s_and_b64 s[20:21], exec, s[20:21]
	v_add_co_u32_e32 v22, vcc, 4, v22
	s_or_b64 s[72:73], s[20:21], s[72:73]
	v_addc_co_u32_e32 v23, vcc, 0, v23, vcc
	s_andn2_b64 exec, exec, s[72:73]
	s_cbranch_execz .LBB102_69
.LBB102_64:                             ;   Parent Loop BB102_14 Depth=1
                                        ; =>  This Inner Loop Header: Depth=2
	global_load_dwordx2 v[24:25], v[18:19], off
	v_mov_b32_e32 v5, s88
	s_waitcnt vmcnt(0)
	v_subrev_co_u32_e32 v24, vcc, s87, v24
	v_subb_co_u32_e32 v25, vcc, v25, v5, vcc
	v_cmp_lt_i64_e32 vcc, v[24:25], v[14:15]
	v_cmp_gt_i64_e64 s[20:21], s[68:69], v[24:25]
	s_xor_b64 s[74:75], vcc, -1
	s_or_b64 s[74:75], s[20:21], s[74:75]
                                        ; implicit-def: $sgpr20_sgpr21
	s_and_saveexec_b64 s[76:77], s[74:75]
	s_xor_b64 s[74:75], exec, s[76:77]
; %bb.65:                               ;   in Loop: Header=BB102_64 Depth=2
	v_cmp_lt_i64_e64 s[20:21], v[24:25], v[16:17]
	v_cndmask_b32_e64 v5, v16, v24, s[20:21]
	v_cndmask_b32_e64 v24, v17, v25, s[20:21]
	v_cndmask_b32_e32 v17, v24, v17, vcc
	v_cndmask_b32_e32 v16, v5, v16, vcc
	s_and_b64 s[20:21], vcc, exec
                                        ; implicit-def: $vgpr24
; %bb.66:                               ;   in Loop: Header=BB102_64 Depth=2
	s_andn2_saveexec_b64 s[74:75], s[74:75]
	s_cbranch_execz .LBB102_63
; %bb.67:                               ;   in Loop: Header=BB102_64 Depth=2
	v_subrev_u32_e32 v5, s68, v24
	v_lshlrev_b32_e32 v24, 2, v5
	ds_write_b32 v24, v53 offset:9216
	s_and_saveexec_b64 s[76:77], s[62:63]
	s_cbranch_execz .LBB102_62
; %bb.68:                               ;   in Loop: Header=BB102_64 Depth=2
	global_load_dword v24, v[20:21], off
	v_lshlrev_b32_e32 v5, 6, v5
	v_or3_b32 v5, v5, v38, v4
	v_lshlrev_b32_e32 v5, 2, v5
	s_waitcnt vmcnt(0)
	v_mul_f32_e32 v24, v33, v24
	ds_add_f32 v5, v24
	s_branch .LBB102_62
.LBB102_69:                             ;   in Loop: Header=BB102_14 Depth=1
	s_or_b64 exec, exec, s[72:73]
.LBB102_70:                             ;   in Loop: Header=BB102_14 Depth=1
	s_or_b64 exec, exec, s[70:71]
.LBB102_71:                             ;   in Loop: Header=BB102_14 Depth=1
	s_and_saveexec_b64 s[20:21], s[6:7]
	s_cbranch_execz .LBB102_76
; %bb.72:                               ;   in Loop: Header=BB102_14 Depth=1
	s_mov_b64 s[70:71], exec
	s_mov_b64 s[22:23], -1
.LBB102_73:                             ;   Parent Loop BB102_14 Depth=1
                                        ; =>  This Inner Loop Header: Depth=2
	s_ff1_i32_b64 s74, s[70:71]
	v_readlane_b32 s75, v17, s74
	v_readlane_b32 s76, v16, s74
	v_mov_b32_e32 v14, s76
	v_mov_b32_e32 v15, s75
	v_cmp_lt_u64_e32 vcc, s[22:23], v[14:15]
	s_and_b64 s[72:73], vcc, exec
	s_cselect_b32 s23, s23, s75
	s_cselect_b32 s22, s22, s76
	s_lshl_b64 s[72:73], 1, s74
	s_andn2_b64 s[70:71], s[70:71], s[72:73]
	s_cmp_lg_u64 s[70:71], 0
	s_cbranch_scc1 .LBB102_73
; %bb.74:                               ;   in Loop: Header=BB102_14 Depth=1
	v_mbcnt_lo_u32_b32 v5, exec_lo, 0
	v_mbcnt_hi_u32_b32 v5, exec_hi, v5
	v_cmp_eq_u32_e32 vcc, 0, v5
	s_and_saveexec_b64 s[70:71], vcc
	s_xor_b64 s[70:71], exec, s[70:71]
	s_cbranch_execz .LBB102_76
; %bb.75:                               ;   in Loop: Header=BB102_14 Depth=1
	v_pk_mov_b32 v[14:15], s[22:23], s[22:23] op_sel:[0,1]
	ds_min_u64 v3, v[14:15] offset:9344
.LBB102_76:                             ;   in Loop: Header=BB102_14 Depth=1
	s_or_b64 exec, exec, s[20:21]
	s_waitcnt lgkmcnt(0)
	s_barrier
	ds_read_b32 v5, v41
	s_waitcnt lgkmcnt(0)
	s_barrier
	s_and_saveexec_b64 s[20:21], s[10:11]
	s_cbranch_execz .LBB102_78
; %bb.77:                               ;   in Loop: Header=BB102_14 Depth=1
	ds_read_b32 v14, v42
	s_waitcnt lgkmcnt(0)
	v_add_u32_e32 v5, v14, v5
.LBB102_78:                             ;   in Loop: Header=BB102_14 Depth=1
	s_or_b64 exec, exec, s[20:21]
	s_barrier
	ds_write_b32 v41, v5
	s_waitcnt lgkmcnt(0)
	s_barrier
	s_and_saveexec_b64 s[20:21], s[12:13]
	s_cbranch_execz .LBB102_80
; %bb.79:                               ;   in Loop: Header=BB102_14 Depth=1
	ds_read_b32 v14, v44
	s_waitcnt lgkmcnt(0)
	v_add_u32_e32 v5, v14, v5
.LBB102_80:                             ;   in Loop: Header=BB102_14 Depth=1
	s_or_b64 exec, exec, s[20:21]
	s_barrier
	ds_write_b32 v41, v5
	;; [unrolled: 12-line block ×5, first 2 shown]
	s_waitcnt lgkmcnt(0)
	s_barrier
	ds_read_b32 v17, v3 offset:9340
	v_mov_b32_e32 v14, 0
	s_and_saveexec_b64 s[20:21], s[8:9]
	s_cbranch_execz .LBB102_88
; %bb.87:                               ;   in Loop: Header=BB102_14 Depth=1
	ds_read_b32 v14, v42
.LBB102_88:                             ;   in Loop: Header=BB102_14 Depth=1
	s_or_b64 exec, exec, s[20:21]
	s_waitcnt lgkmcnt(0)
	v_cmp_eq_u32_e32 vcc, v5, v14
	s_and_b64 s[22:23], s[8:9], vcc
	s_barrier
	s_and_saveexec_b64 s[20:21], s[22:23]
	s_cbranch_execz .LBB102_90
; %bb.89:                               ;   in Loop: Header=BB102_14 Depth=1
	ds_write_b32 v41, v3
.LBB102_90:                             ;   in Loop: Header=BB102_14 Depth=1
	s_or_b64 exec, exec, s[20:21]
	v_add_co_u32_e32 v18, vcc, -1, v12
	s_add_u32 s68, s46, s68
	v_addc_co_u32_e32 v19, vcc, -1, v13, vcc
	s_addc_u32 s69, 0, s69
	s_mov_b64 s[20:21], 0
	v_mov_b32_e32 v20, v52
	v_mov_b32_e32 v21, v34
	v_pk_mov_b32 v[14:15], v[2:3], v[2:3] op_sel:[0,1]
	s_waitcnt lgkmcnt(0)
	s_barrier
	s_branch .LBB102_92
.LBB102_91:                             ;   in Loop: Header=BB102_92 Depth=2
	s_or_b64 exec, exec, s[22:23]
	v_add_co_u32_e32 v14, vcc, 4, v14
	v_addc_co_u32_e32 v15, vcc, 0, v15, vcc
	v_add_u32_e32 v5, -4, v14
	v_cmp_lt_u32_e32 vcc, 27, v5
	v_add_u32_e32 v21, 0x400, v21
	s_or_b64 s[20:21], vcc, s[20:21]
	v_add_u32_e32 v20, 16, v20
	s_andn2_b64 exec, exec, s[20:21]
	s_cbranch_execz .LBB102_13
.LBB102_92:                             ;   Parent Loop BB102_14 Depth=1
                                        ; =>  This Inner Loop Header: Depth=2
	ds_read_b32 v16, v20
	s_waitcnt lgkmcnt(0)
	v_cmp_ne_u32_e32 vcc, 0, v16
	s_and_saveexec_b64 s[22:23], vcc
	s_cbranch_execz .LBB102_91
; %bb.93:                               ;   in Loop: Header=BB102_92 Depth=2
	v_mov_b32_e32 v23, s69
	v_add_co_u32_e32 v22, vcc, s68, v14
	v_addc_co_u32_e32 v23, vcc, v23, v15, vcc
	v_ashrrev_i32_e32 v5, 31, v16
	v_add_co_u32_e32 v24, vcc, v12, v16
	v_addc_co_u32_e32 v25, vcc, v13, v5, vcc
	v_lshlrev_b64 v[24:25], 3, v[24:25]
	v_mov_b32_e32 v26, s91
	v_add_co_u32_e32 v24, vcc, s90, v24
	v_addc_co_u32_e32 v25, vcc, v26, v25, vcc
	global_store_dwordx2 v[24:25], v[22:23], off
	s_and_b64 exec, exec, s[62:63]
	s_cbranch_execz .LBB102_91
; %bb.94:                               ;   in Loop: Header=BB102_92 Depth=2
	v_add_co_u32_e32 v16, vcc, v18, v16
	v_addc_co_u32_e32 v5, vcc, v19, v5, vcc
	ds_read_b32 v24, v21
	v_mul_lo_u32 v5, v5, s30
	v_mul_lo_u32 v25, v16, s31
	v_mad_u64_u32 v[22:23], s[70:71], v16, s30, 0
	v_add3_u32 v23, v23, v25, v5
	v_lshlrev_b64 v[22:23], 2, v[22:23]
	v_add_co_u32_e32 v22, vcc, v0, v22
	v_addc_co_u32_e32 v23, vcc, v1, v23, vcc
	s_waitcnt lgkmcnt(0)
	global_store_dword v[22:23], v24, off
	s_branch .LBB102_91
.LBB102_95:
	s_endpgm
	.section	.rodata,"a",@progbits
	.p2align	6, 0x0
	.amdhsa_kernel _ZN9rocsparseL38bsrgemm_block_per_row_atomic_multipassILj256ELj32ELj8EllfEEv20rocsparse_direction_T3_S2_PKS2_S4_NS_24const_host_device_scalarIT4_EEPKT2_S4_PKS6_SA_S4_SC_S7_SA_S4_SC_SA_PS2_PS6_PS8_21rocsparse_index_base_SG_SG_SG_bbb
		.amdhsa_group_segment_fixed_size 9352
		.amdhsa_private_segment_fixed_size 0
		.amdhsa_kernarg_size 180
		.amdhsa_user_sgpr_count 6
		.amdhsa_user_sgpr_private_segment_buffer 1
		.amdhsa_user_sgpr_dispatch_ptr 0
		.amdhsa_user_sgpr_queue_ptr 0
		.amdhsa_user_sgpr_kernarg_segment_ptr 1
		.amdhsa_user_sgpr_dispatch_id 0
		.amdhsa_user_sgpr_flat_scratch_init 0
		.amdhsa_user_sgpr_kernarg_preload_length 0
		.amdhsa_user_sgpr_kernarg_preload_offset 0
		.amdhsa_user_sgpr_private_segment_size 0
		.amdhsa_uses_dynamic_stack 0
		.amdhsa_system_sgpr_private_segment_wavefront_offset 0
		.amdhsa_system_sgpr_workgroup_id_x 1
		.amdhsa_system_sgpr_workgroup_id_y 0
		.amdhsa_system_sgpr_workgroup_id_z 0
		.amdhsa_system_sgpr_workgroup_info 0
		.amdhsa_system_vgpr_workitem_id 0
		.amdhsa_next_free_vgpr 59
		.amdhsa_next_free_sgpr 92
		.amdhsa_accum_offset 60
		.amdhsa_reserve_vcc 1
		.amdhsa_reserve_flat_scratch 0
		.amdhsa_float_round_mode_32 0
		.amdhsa_float_round_mode_16_64 0
		.amdhsa_float_denorm_mode_32 3
		.amdhsa_float_denorm_mode_16_64 3
		.amdhsa_dx10_clamp 1
		.amdhsa_ieee_mode 1
		.amdhsa_fp16_overflow 0
		.amdhsa_tg_split 0
		.amdhsa_exception_fp_ieee_invalid_op 0
		.amdhsa_exception_fp_denorm_src 0
		.amdhsa_exception_fp_ieee_div_zero 0
		.amdhsa_exception_fp_ieee_overflow 0
		.amdhsa_exception_fp_ieee_underflow 0
		.amdhsa_exception_fp_ieee_inexact 0
		.amdhsa_exception_int_div_zero 0
	.end_amdhsa_kernel
	.section	.text._ZN9rocsparseL38bsrgemm_block_per_row_atomic_multipassILj256ELj32ELj8EllfEEv20rocsparse_direction_T3_S2_PKS2_S4_NS_24const_host_device_scalarIT4_EEPKT2_S4_PKS6_SA_S4_SC_S7_SA_S4_SC_SA_PS2_PS6_PS8_21rocsparse_index_base_SG_SG_SG_bbb,"axG",@progbits,_ZN9rocsparseL38bsrgemm_block_per_row_atomic_multipassILj256ELj32ELj8EllfEEv20rocsparse_direction_T3_S2_PKS2_S4_NS_24const_host_device_scalarIT4_EEPKT2_S4_PKS6_SA_S4_SC_S7_SA_S4_SC_SA_PS2_PS6_PS8_21rocsparse_index_base_SG_SG_SG_bbb,comdat
.Lfunc_end102:
	.size	_ZN9rocsparseL38bsrgemm_block_per_row_atomic_multipassILj256ELj32ELj8EllfEEv20rocsparse_direction_T3_S2_PKS2_S4_NS_24const_host_device_scalarIT4_EEPKT2_S4_PKS6_SA_S4_SC_S7_SA_S4_SC_SA_PS2_PS6_PS8_21rocsparse_index_base_SG_SG_SG_bbb, .Lfunc_end102-_ZN9rocsparseL38bsrgemm_block_per_row_atomic_multipassILj256ELj32ELj8EllfEEv20rocsparse_direction_T3_S2_PKS2_S4_NS_24const_host_device_scalarIT4_EEPKT2_S4_PKS6_SA_S4_SC_S7_SA_S4_SC_SA_PS2_PS6_PS8_21rocsparse_index_base_SG_SG_SG_bbb
                                        ; -- End function
	.section	.AMDGPU.csdata,"",@progbits
; Kernel info:
; codeLenInByte = 3556
; NumSgprs: 96
; NumVgprs: 59
; NumAgprs: 0
; TotalNumVgprs: 59
; ScratchSize: 0
; MemoryBound: 0
; FloatMode: 240
; IeeeMode: 1
; LDSByteSize: 9352 bytes/workgroup (compile time only)
; SGPRBlocks: 11
; VGPRBlocks: 7
; NumSGPRsForWavesPerEU: 96
; NumVGPRsForWavesPerEU: 59
; AccumOffset: 60
; Occupancy: 7
; WaveLimiterHint : 1
; COMPUTE_PGM_RSRC2:SCRATCH_EN: 0
; COMPUTE_PGM_RSRC2:USER_SGPR: 6
; COMPUTE_PGM_RSRC2:TRAP_HANDLER: 0
; COMPUTE_PGM_RSRC2:TGID_X_EN: 1
; COMPUTE_PGM_RSRC2:TGID_Y_EN: 0
; COMPUTE_PGM_RSRC2:TGID_Z_EN: 0
; COMPUTE_PGM_RSRC2:TIDIG_COMP_CNT: 0
; COMPUTE_PGM_RSRC3_GFX90A:ACCUM_OFFSET: 14
; COMPUTE_PGM_RSRC3_GFX90A:TG_SPLIT: 0
	.section	.text._ZN9rocsparseL31bsrgemm_block_per_row_multipassILj256ELj8ELj16EllfEEv20rocsparse_direction_T3_S2_PKS2_S4_NS_24const_host_device_scalarIT4_EEPKT2_S4_PKS6_SA_S4_SC_S7_SA_S4_SC_SA_PS2_PS6_PS8_21rocsparse_index_base_SG_SG_SG_bbb,"axG",@progbits,_ZN9rocsparseL31bsrgemm_block_per_row_multipassILj256ELj8ELj16EllfEEv20rocsparse_direction_T3_S2_PKS2_S4_NS_24const_host_device_scalarIT4_EEPKT2_S4_PKS6_SA_S4_SC_S7_SA_S4_SC_SA_PS2_PS6_PS8_21rocsparse_index_base_SG_SG_SG_bbb,comdat
	.globl	_ZN9rocsparseL31bsrgemm_block_per_row_multipassILj256ELj8ELj16EllfEEv20rocsparse_direction_T3_S2_PKS2_S4_NS_24const_host_device_scalarIT4_EEPKT2_S4_PKS6_SA_S4_SC_S7_SA_S4_SC_SA_PS2_PS6_PS8_21rocsparse_index_base_SG_SG_SG_bbb ; -- Begin function _ZN9rocsparseL31bsrgemm_block_per_row_multipassILj256ELj8ELj16EllfEEv20rocsparse_direction_T3_S2_PKS2_S4_NS_24const_host_device_scalarIT4_EEPKT2_S4_PKS6_SA_S4_SC_S7_SA_S4_SC_SA_PS2_PS6_PS8_21rocsparse_index_base_SG_SG_SG_bbb
	.p2align	8
	.type	_ZN9rocsparseL31bsrgemm_block_per_row_multipassILj256ELj8ELj16EllfEEv20rocsparse_direction_T3_S2_PKS2_S4_NS_24const_host_device_scalarIT4_EEPKT2_S4_PKS6_SA_S4_SC_S7_SA_S4_SC_SA_PS2_PS6_PS8_21rocsparse_index_base_SG_SG_SG_bbb,@function
_ZN9rocsparseL31bsrgemm_block_per_row_multipassILj256ELj8ELj16EllfEEv20rocsparse_direction_T3_S2_PKS2_S4_NS_24const_host_device_scalarIT4_EEPKT2_S4_PKS6_SA_S4_SC_S7_SA_S4_SC_SA_PS2_PS6_PS8_21rocsparse_index_base_SG_SG_SG_bbb: ; @_ZN9rocsparseL31bsrgemm_block_per_row_multipassILj256ELj8ELj16EllfEEv20rocsparse_direction_T3_S2_PKS2_S4_NS_24const_host_device_scalarIT4_EEPKT2_S4_PKS6_SA_S4_SC_S7_SA_S4_SC_SA_PS2_PS6_PS8_21rocsparse_index_base_SG_SG_SG_bbb
; %bb.0:
	s_load_dword s7, s[4:5], 0xb0
	s_load_dwordx4 s[36:39], s[4:5], 0xa0
	s_load_dwordx2 s[0:1], s[4:5], 0x28
	s_load_dwordx2 s[10:11], s[4:5], 0x60
	s_waitcnt lgkmcnt(0)
	s_bitcmp1_b32 s7, 0
	s_cselect_b64 s[8:9], -1, 0
	s_bitcmp1_b32 s7, 16
	s_cselect_b64 s[12:13], -1, 0
	s_xor_b64 s[2:3], s[8:9], -1
	s_or_b64 s[2:3], s[2:3], s[12:13]
	s_and_b64 vcc, exec, s[2:3]
	s_cbranch_vccnz .LBB103_2
; %bb.1:
	s_load_dword s0, s[0:1], 0x0
	s_waitcnt lgkmcnt(0)
	v_mov_b32_e32 v9, s0
	s_branch .LBB103_3
.LBB103_2:
	v_mov_b32_e32 v1, s0
	v_cndmask_b32_e64 v9, 0, v1, s[8:9]
.LBB103_3:
	s_load_dwordx2 s[2:3], s[4:5], 0x20
	s_bitcmp1_b32 s7, 8
	s_cselect_b64 s[0:1], -1, 0
	s_xor_b64 s[14:15], s[0:1], -1
	s_or_b64 s[12:13], s[14:15], s[12:13]
	s_mov_b32 s7, 0
	s_and_b64 vcc, exec, s[12:13]
	s_cbranch_vccnz .LBB103_5
; %bb.4:
	s_load_dword s10, s[10:11], 0x0
	s_waitcnt lgkmcnt(0)
	v_mov_b32_e32 v32, s10
	s_load_dwordx2 s[10:11], s[4:5], 0x30
	s_cmp_eq_u64 s[2:3], 0
	s_mov_b64 s[14:15], 0
	s_cbranch_scc0 .LBB103_6
	s_branch .LBB103_7
.LBB103_5:
	v_mov_b32_e32 v1, s10
	v_cndmask_b32_e64 v32, 0, v1, s[0:1]
	s_load_dwordx2 s[10:11], s[4:5], 0x30
	s_waitcnt lgkmcnt(0)
	s_cmp_eq_u64 s[2:3], 0
	s_mov_b64 s[14:15], 0
	s_cbranch_scc1 .LBB103_7
.LBB103_6:
	s_load_dwordx2 s[12:13], s[4:5], 0x18
	s_waitcnt lgkmcnt(0)
	s_load_dwordx2 s[12:13], s[12:13], 0x0
	s_waitcnt lgkmcnt(0)
	s_lshl_b64 s[12:13], s[12:13], 3
	s_add_u32 s12, s2, s12
	s_addc_u32 s13, s3, s13
	s_lshl_b64 s[2:3], s[6:7], 3
	s_add_u32 s2, s12, s2
	s_addc_u32 s3, s13, s3
	s_load_dwordx2 s[6:7], s[2:3], 0x0
.LBB103_7:
	v_cndmask_b32_e64 v1, 0, 1, s[8:9]
	v_cmp_ne_u32_e64 s[2:3], 1, v1
	s_andn2_b64 vcc, exec, s[8:9]
	s_cbranch_vccz .LBB103_10
; %bb.8:
	s_and_b64 vcc, exec, s[2:3]
	s_mov_b64 s[34:35], 0
	s_cbranch_vccz .LBB103_11
.LBB103_9:
	s_load_dwordx4 s[40:43], s[4:5], 0x8
	s_waitcnt lgkmcnt(0)
	v_cmp_lt_i64_e64 s[2:3], s[40:41], 1
	s_and_b64 vcc, exec, s[2:3]
	s_cbranch_vccz .LBB103_12
	s_branch .LBB103_99
.LBB103_10:
	s_waitcnt lgkmcnt(0)
	s_lshl_b64 s[12:13], s[6:7], 3
	s_add_u32 s12, s10, s12
	s_addc_u32 s13, s11, s13
	s_load_dwordx2 s[12:13], s[12:13], 0x0
	s_waitcnt lgkmcnt(0)
	s_sub_u32 s14, s12, s36
	s_subb_u32 s15, s13, 0
	s_and_b64 vcc, exec, s[2:3]
	s_mov_b64 s[34:35], 0
	s_cbranch_vccnz .LBB103_9
.LBB103_11:
	s_waitcnt lgkmcnt(0)
	s_lshl_b64 s[2:3], s[6:7], 3
	s_add_u32 s2, s10, s2
	s_addc_u32 s3, s11, s3
	s_load_dwordx2 s[2:3], s[2:3], 0x8
	s_waitcnt lgkmcnt(0)
	s_sub_u32 s34, s2, s36
	s_subb_u32 s35, s3, 0
	s_load_dwordx4 s[40:43], s[4:5], 0x8
	s_waitcnt lgkmcnt(0)
	v_cmp_lt_i64_e64 s[2:3], s[40:41], 1
	s_and_b64 vcc, exec, s[2:3]
	s_cbranch_vccnz .LBB103_99
.LBB103_12:
	v_and_b32_e32 v2, 15, v0
	v_pk_mov_b32 v[4:5], s[34:35], s[34:35] op_sel:[0,1]
	v_mad_u64_u32 v[6:7], s[10:11], v2, s42, 0
	v_cmp_lt_i64_e32 vcc, s[14:15], v[4:5]
	v_mov_b32_e32 v5, 0
	v_mov_b32_e32 v4, v7
	v_lshrrev_b32_e32 v10, 4, v0
	v_mad_u64_u32 v[12:13], s[10:11], v2, s43, v[4:5]
	s_load_dwordx8 s[24:31], s[4:5], 0x68
	s_load_dwordx2 s[48:49], s[4:5], 0x98
	s_load_dwordx4 s[44:47], s[4:5], 0x88
	s_load_dwordx2 s[54:55], s[4:5], 0x58
	s_load_dwordx8 s[16:23], s[4:5], 0x38
	s_lshl_b64 s[12:13], s[6:7], 3
	v_mov_b32_e32 v7, v12
	v_mad_u64_u32 v[12:13], s[10:11], v10, s42, 0
	s_waitcnt lgkmcnt(0)
	s_add_u32 s2, s30, s12
	v_mov_b32_e32 v4, v13
	s_addc_u32 s3, s31, s13
	v_mov_b32_e32 v3, v5
	v_mad_u64_u32 v[14:15], s[10:11], v10, s43, v[4:5]
	v_lshlrev_b64 v[6:7], 2, v[6:7]
	s_load_dwordx2 s[2:3], s[2:3], 0x0
	v_mov_b32_e32 v11, v5
	s_load_dword s30, s[4:5], 0x0
	v_cmp_gt_i64_e64 s[4:5], s[42:43], v[2:3]
	v_mov_b32_e32 v1, s29
	v_add_co_u32_e64 v3, s[10:11], s28, v6
	v_mov_b32_e32 v13, v14
	v_addc_co_u32_e64 v4, s[10:11], v1, v7, s[10:11]
	v_lshlrev_b64 v[14:15], 2, v[10:11]
	v_add_co_u32_e64 v8, s[10:11], v3, v14
	v_cmp_gt_u64_e64 s[6:7], s[42:43], v[10:11]
	v_addc_co_u32_e64 v11, s[10:11], v4, v15, s[10:11]
	v_lshlrev_b64 v[12:13], 2, v[12:13]
	v_add_co_u32_e64 v3, s[10:11], s28, v12
	s_waitcnt lgkmcnt(0)
	s_sub_u32 s56, s2, s38
	v_addc_co_u32_e64 v1, s[10:11], v1, v13, s[10:11]
	v_lshlrev_b32_e32 v4, 2, v2
	s_subb_u32 s57, s3, 0
	v_add_co_u32_e64 v16, s[10:11], v3, v4
	s_cmp_eq_u32 s30, 0
	v_addc_co_u32_e64 v1, s[10:11], 0, v1, s[10:11]
	s_cselect_b64 s[10:11], -1, 0
	s_cmp_lg_u32 s30, 0
	s_mul_i32 s30, s42, s43
	s_mul_hi_u32 s31, s42, s42
	s_cselect_b64 s[28:29], -1, 0
	s_add_i32 s31, s31, s30
	s_add_i32 s31, s31, s30
	s_add_u32 s24, s24, s12
	s_addc_u32 s25, s25, s13
	v_mov_b32_e32 v17, s47
	v_add_co_u32_e64 v6, s[12:13], s46, v6
	v_addc_co_u32_e64 v7, s[12:13], v17, v7, s[12:13]
	v_add_co_u32_e64 v33, s[12:13], v6, v14
	v_addc_co_u32_e64 v34, s[12:13], v7, v15, s[12:13]
	;; [unrolled: 2-line block ×4, first 2 shown]
	s_and_b64 s[8:9], s[8:9], vcc
	s_and_b64 s[12:13], s[4:5], s[6:7]
	s_add_u32 s74, s20, 8
	s_mul_i32 s30, s42, s42
	s_addc_u32 s75, s21, 0
	s_add_u32 s76, s44, -8
	s_mul_i32 s4, s14, s31
	s_mul_hi_u32 s5, s14, s30
	v_and_b32_e32 v3, 0xf0, v0
	s_addc_u32 s77, s45, -1
	s_add_i32 s4, s5, s4
	s_mul_i32 s5, s15, s30
	v_or_b32_e32 v6, v3, v2
	s_add_i32 s5, s4, s5
	s_mul_i32 s4, s14, s30
	v_lshlrev_b32_e32 v38, 2, v6
	v_cndmask_b32_e64 v7, v11, v1, s[10:11]
	v_cndmask_b32_e64 v6, v8, v16, s[10:11]
	;; [unrolled: 1-line block ×4, first 2 shown]
	s_lshl_b64 s[10:11], s[42:43], 2
	s_lshl_b64 s[46:47], s[30:31], 2
	;; [unrolled: 1-line block ×3, first 2 shown]
	s_add_u32 s4, s18, s4
	v_lshlrev_b32_e32 v12, 2, v10
	s_addc_u32 s5, s19, s5
	v_mov_b32_e32 v11, s5
	v_add_co_u32_e32 v10, vcc, s4, v12
	s_mul_i32 s4, s14, s43
	s_mul_hi_u32 s5, s14, s42
	s_add_i32 s4, s5, s4
	s_mul_i32 s5, s15, s42
	s_add_i32 s5, s4, s5
	s_mul_i32 s4, s14, s42
	v_addc_co_u32_e32 v11, vcc, 0, v11, vcc
	s_lshl_b64 s[4:5], s[4:5], 2
	v_mov_b32_e32 v13, s5
	v_add_co_u32_e32 v14, vcc, s4, v12
	v_addc_co_u32_e32 v12, vcc, 0, v13, vcc
	s_mov_b32 s33, 0
	v_mul_lo_u32 v15, s42, v12
	v_pk_mov_b32 v[12:13], s[18:19], s[18:19] op_sel:[0,1]
	s_mov_b32 s50, s39
	s_mov_b32 s51, s33
	v_mad_u64_u32 v[12:13], s[4:5], s42, v14, v[12:13]
	s_lshl_b64 s[4:5], s[50:51], 3
	s_sub_u32 s51, s26, s4
	v_mul_lo_u32 v16, s43, v14
	s_subb_u32 s78, s27, s5
	v_add3_u32 v13, v16, v13, v15
	v_mov_b32_e32 v15, s55
	v_add_co_u32_e32 v14, vcc, s54, v4
	s_sub_u32 s39, 1, s39
	v_cmp_gt_u32_e64 s[2:3], 8, v0
	v_lshlrev_b32_e32 v37, 2, v0
	s_mov_b64 s[52:53], 8
	v_addc_co_u32_e32 v15, vcc, 0, v15, vcc
	s_subb_u32 s79, 0, 0
	s_mov_b64 s[26:27], 0
	v_pk_mov_b32 v[18:19], s[56:57], s[56:57] op_sel:[0,1]
	v_pk_mov_b32 v[16:17], s[54:55], s[54:55] op_sel:[0,1]
	v_mov_b32_e32 v39, 1
	s_branch .LBB103_15
.LBB103_13:                             ;   in Loop: Header=BB103_15 Depth=1
	s_or_b64 exec, exec, s[4:5]
.LBB103_14:                             ;   in Loop: Header=BB103_15 Depth=1
	v_pk_mov_b32 v[18:19], s[40:41], s[40:41] op_sel:[0,1]
	v_cmp_lt_i64_e32 vcc, s[18:19], v[18:19]
	s_and_b64 vcc, vcc, exec
	s_cselect_b32 s26, s18, s40
	s_cselect_b32 s27, s19, s41
	s_add_u32 s52, s26, 8
	s_addc_u32 s53, s27, 0
	v_pk_mov_b32 v[18:19], v[20:21], v[20:21] op_sel:[0,1]
	s_waitcnt lgkmcnt(0)
	s_barrier
	s_barrier
	s_cbranch_vccz .LBB103_99
.LBB103_15:                             ; =>This Loop Header: Depth=1
                                        ;     Child Loop BB103_19 Depth 2
                                        ;     Child Loop BB103_25 Depth 2
                                        ;       Child Loop BB103_30 Depth 3
                                        ;         Child Loop BB103_42 Depth 4
                                        ;         Child Loop BB103_38 Depth 4
                                        ;     Child Loop BB103_54 Depth 2
	s_and_saveexec_b64 s[4:5], s[2:3]
	s_cbranch_execz .LBB103_17
; %bb.16:                               ;   in Loop: Header=BB103_15 Depth=1
	ds_write_b8 v0, v5 offset:8192
.LBB103_17:                             ;   in Loop: Header=BB103_15 Depth=1
	s_or_b64 exec, exec, s[4:5]
	s_mov_b32 s54, 0
	s_mov_b64 s[4:5], 0
	v_mov_b32_e32 v20, v37
	s_branch .LBB103_19
.LBB103_18:                             ;   in Loop: Header=BB103_19 Depth=2
	s_or_b64 exec, exec, s[18:19]
	s_add_i32 s54, s54, 2
	v_cmp_eq_u32_e64 s[6:7], 8, s54
	s_or_b64 s[4:5], s[6:7], s[4:5]
	v_add_u32_e32 v20, 0x800, v20
	s_andn2_b64 exec, exec, s[4:5]
	s_cbranch_execz .LBB103_23
.LBB103_19:                             ;   Parent Loop BB103_15 Depth=1
                                        ; =>  This Inner Loop Header: Depth=2
	s_or_b32 s6, s54, 1
	v_cmp_le_u32_e64 s[6:7], s6, 7
	v_cmp_le_u32_e64 s[56:57], s54, 7
	s_and_saveexec_b64 s[18:19], s[56:57]
	s_cbranch_execz .LBB103_21
; %bb.20:                               ;   in Loop: Header=BB103_19 Depth=2
	ds_write_b32 v20, v5
.LBB103_21:                             ;   in Loop: Header=BB103_19 Depth=2
	s_or_b64 exec, exec, s[18:19]
	s_and_saveexec_b64 s[18:19], s[6:7]
	s_cbranch_execz .LBB103_18
; %bb.22:                               ;   in Loop: Header=BB103_19 Depth=2
	ds_write_b32 v20, v5 offset:1024
	s_branch .LBB103_18
.LBB103_23:                             ;   in Loop: Header=BB103_15 Depth=1
	s_or_b64 exec, exec, s[4:5]
	s_andn2_b64 vcc, exec, s[8:9]
	s_mov_b64 s[18:19], s[40:41]
	s_waitcnt lgkmcnt(0)
	s_barrier
	s_cbranch_vccnz .LBB103_51
; %bb.24:                               ;   in Loop: Header=BB103_15 Depth=1
	s_cmp_lg_u64 s[26:27], 0
	s_cselect_b64 s[54:55], -1, 0
	v_pk_mov_b32 v[20:21], v[12:13], v[12:13] op_sel:[0,1]
	v_pk_mov_b32 v[22:23], v[10:11], v[10:11] op_sel:[0,1]
	s_mov_b64 s[60:61], s[40:41]
	s_mov_b64 s[56:57], s[14:15]
.LBB103_25:                             ;   Parent Loop BB103_15 Depth=1
                                        ; =>  This Loop Header: Depth=2
                                        ;       Child Loop BB103_30 Depth 3
                                        ;         Child Loop BB103_42 Depth 4
                                        ;         Child Loop BB103_38 Depth 4
	s_lshl_b64 s[58:59], s[56:57], 3
	s_add_u32 s4, s16, s58
	s_addc_u32 s5, s17, s59
	s_load_dwordx2 s[4:5], s[4:5], 0x0
	s_waitcnt lgkmcnt(0)
	s_sub_u32 s4, s4, s36
	s_subb_u32 s5, s5, 0
	s_and_b64 vcc, exec, s[54:55]
	s_cbranch_vccz .LBB103_50
; %bb.26:                               ;   in Loop: Header=BB103_25 Depth=2
	s_add_u32 s6, s48, s58
	s_addc_u32 s7, s49, s59
	global_load_dwordx2 v[24:25], v5, s[6:7]
	s_waitcnt vmcnt(0)
	v_readfirstlane_b32 s62, v24
	v_readfirstlane_b32 s63, v25
	s_cbranch_execnz .LBB103_28
.LBB103_27:                             ;   in Loop: Header=BB103_25 Depth=2
	s_lshl_b64 s[6:7], s[4:5], 3
	s_add_u32 s6, s20, s6
	s_addc_u32 s7, s21, s7
	s_load_dwordx2 s[6:7], s[6:7], 0x0
	s_waitcnt lgkmcnt(0)
	s_sub_u32 s62, s6, s37
	s_subb_u32 s63, s7, 0
.LBB103_28:                             ;   in Loop: Header=BB103_25 Depth=2
	s_lshl_b64 s[4:5], s[4:5], 3
	s_add_u32 s4, s74, s4
	s_addc_u32 s5, s75, s5
	s_load_dwordx2 s[4:5], s[4:5], 0x0
	s_waitcnt lgkmcnt(0)
	s_sub_u32 s64, s4, s37
	s_subb_u32 s65, s5, 0
	v_pk_mov_b32 v[24:25], s[64:65], s[64:65] op_sel:[0,1]
	v_cmp_ge_i64_e32 vcc, s[62:63], v[24:25]
	s_cbranch_vccnz .LBB103_47
; %bb.29:                               ;   in Loop: Header=BB103_25 Depth=2
	s_mul_i32 s4, s11, s62
	s_mul_i32 s5, s10, s63
	v_mov_b32_e32 v26, s62
	s_add_i32 s6, s5, s4
	v_mad_u64_u32 v[24:25], s[4:5], s10, v26, v[4:5]
	v_add_u32_e32 v25, s6, v25
	v_mul_lo_u32 v27, s42, v25
	v_mul_lo_u32 v28, s43, v24
	v_mad_u64_u32 v[24:25], s[4:5], s42, v24, v[16:17]
	s_mul_i32 s4, s47, s62
	s_mul_i32 s5, s46, s63
	v_add3_u32 v25, v28, v25, v27
	s_add_i32 s6, s5, s4
	v_mad_u64_u32 v[26:27], s[4:5], s46, v26, v[14:15]
	v_add_u32_e32 v27, s6, v27
	s_mov_b64 s[66:67], s[62:63]
.LBB103_30:                             ;   Parent Loop BB103_15 Depth=1
                                        ;     Parent Loop BB103_25 Depth=2
                                        ; =>    This Loop Header: Depth=3
                                        ;         Child Loop BB103_42 Depth 4
                                        ;         Child Loop BB103_38 Depth 4
	s_lshl_b64 s[4:5], s[62:63], 3
	s_add_u32 s4, s22, s4
	s_addc_u32 s5, s23, s5
	s_load_dwordx2 s[4:5], s[4:5], 0x0
	v_pk_mov_b32 v[28:29], s[26:27], s[26:27] op_sel:[0,1]
	v_pk_mov_b32 v[30:31], s[52:53], s[52:53] op_sel:[0,1]
	s_mov_b64 s[72:73], -1
                                        ; implicit-def: $sgpr18_sgpr19
                                        ; implicit-def: $sgpr70_sgpr71
	s_waitcnt lgkmcnt(0)
	s_sub_u32 s68, s4, s37
	s_subb_u32 s69, s5, 0
	v_cmp_ge_i64_e32 vcc, s[68:69], v[28:29]
	v_cmp_lt_i64_e64 s[6:7], s[68:69], v[30:31]
	s_and_b64 s[6:7], vcc, s[6:7]
	v_cmp_ge_i64_e64 s[4:5], s[68:69], v[30:31]
	s_andn2_b64 vcc, exec, s[6:7]
                                        ; implicit-def: $sgpr6_sgpr7
	s_cbranch_vccz .LBB103_34
; %bb.31:                               ;   in Loop: Header=BB103_30 Depth=3
	s_mov_b64 s[70:71], -1
	s_andn2_b64 vcc, exec, s[4:5]
	s_mov_b64 s[6:7], s[66:67]
	s_mov_b64 s[18:19], s[60:61]
	s_cbranch_vccnz .LBB103_33
; %bb.32:                               ;   in Loop: Header=BB103_30 Depth=3
	v_pk_mov_b32 v[28:29], s[60:61], s[60:61] op_sel:[0,1]
	v_cmp_lt_i64_e32 vcc, s[68:69], v[28:29]
	s_and_b64 s[4:5], vcc, exec
	s_cselect_b32 s19, s69, s61
	s_cselect_b32 s18, s68, s60
	s_mov_b64 s[70:71], 0
	s_mov_b64 s[6:7], s[62:63]
.LBB103_33:                             ;   in Loop: Header=BB103_30 Depth=3
	s_mov_b64 s[72:73], 0
.LBB103_34:                             ;   in Loop: Header=BB103_30 Depth=3
	s_andn2_b64 vcc, exec, s[72:73]
	s_cbranch_vccnz .LBB103_45
; %bb.35:                               ;   in Loop: Header=BB103_30 Depth=3
	s_sub_i32 s18, s68, s26
	v_mov_b32_e32 v28, s18
	ds_write_b8 v28, v39 offset:8192
	s_and_saveexec_b64 s[4:5], s[12:13]
	s_cbranch_execz .LBB103_44
; %bb.36:                               ;   in Loop: Header=BB103_30 Depth=3
	s_andn2_b64 vcc, exec, s[28:29]
	s_cbranch_vccnz .LBB103_40
; %bb.37:                               ;   in Loop: Header=BB103_30 Depth=3
	v_mov_b32_e32 v40, 0
	v_pk_mov_b32 v[28:29], v[22:23], v[22:23] op_sel:[0,1]
	s_mov_b64 s[6:7], s[42:43]
	v_pk_mov_b32 v[30:31], v[24:25], v[24:25] op_sel:[0,1]
.LBB103_38:                             ;   Parent Loop BB103_15 Depth=1
                                        ;     Parent Loop BB103_25 Depth=2
                                        ;       Parent Loop BB103_30 Depth=3
                                        ; =>      This Inner Loop Header: Depth=4
	global_load_dword v41, v[28:29], off
	global_load_dword v42, v[30:31], off
	v_add_co_u32_e32 v30, vcc, 4, v30
	v_addc_co_u32_e32 v31, vcc, 0, v31, vcc
	s_add_u32 s6, s6, -1
	v_mov_b32_e32 v43, s11
	v_add_co_u32_e32 v28, vcc, s10, v28
	s_addc_u32 s7, s7, -1
	v_addc_co_u32_e32 v29, vcc, v29, v43, vcc
	s_cmp_lg_u64 s[6:7], 0
	s_waitcnt vmcnt(0)
	v_fmac_f32_e32 v40, v41, v42
	s_cbranch_scc1 .LBB103_38
; %bb.39:                               ;   in Loop: Header=BB103_30 Depth=3
	s_branch .LBB103_43
.LBB103_40:                             ;   in Loop: Header=BB103_30 Depth=3
                                        ; implicit-def: $vgpr40
	s_cbranch_execz .LBB103_43
; %bb.41:                               ;   in Loop: Header=BB103_30 Depth=3
	v_mov_b32_e32 v40, 0
	v_pk_mov_b32 v[28:29], v[26:27], v[26:27] op_sel:[0,1]
	s_mov_b64 s[6:7], s[42:43]
	v_pk_mov_b32 v[30:31], v[20:21], v[20:21] op_sel:[0,1]
.LBB103_42:                             ;   Parent Loop BB103_15 Depth=1
                                        ;     Parent Loop BB103_25 Depth=2
                                        ;       Parent Loop BB103_30 Depth=3
                                        ; =>      This Inner Loop Header: Depth=4
	global_load_dword v41, v[30:31], off
	global_load_dword v42, v[28:29], off
	v_add_co_u32_e32 v30, vcc, 4, v30
	v_addc_co_u32_e32 v31, vcc, 0, v31, vcc
	s_add_u32 s6, s6, -1
	v_mov_b32_e32 v43, s11
	v_add_co_u32_e32 v28, vcc, s10, v28
	s_addc_u32 s7, s7, -1
	v_addc_co_u32_e32 v29, vcc, v29, v43, vcc
	s_cmp_eq_u64 s[6:7], 0
	s_waitcnt vmcnt(0)
	v_fmac_f32_e32 v40, v41, v42
	s_cbranch_scc0 .LBB103_42
.LBB103_43:                             ;   in Loop: Header=BB103_30 Depth=3
	s_lshl_b32 s6, s18, 8
	v_or3_b32 v28, s6, v3, v2
	v_lshlrev_b32_e32 v28, 2, v28
	ds_read_b32 v29, v28
	s_waitcnt lgkmcnt(0)
	v_fmac_f32_e32 v29, v9, v40
	ds_write_b32 v28, v29
.LBB103_44:                             ;   in Loop: Header=BB103_30 Depth=3
	s_or_b64 exec, exec, s[4:5]
	s_mov_b64 s[70:71], -1
	s_mov_b64 s[6:7], s[66:67]
	s_mov_b64 s[18:19], s[60:61]
	s_waitcnt lgkmcnt(0)
	s_barrier
.LBB103_45:                             ;   in Loop: Header=BB103_30 Depth=3
	s_add_u32 s62, s62, 1
	s_addc_u32 s63, s63, 0
	v_pk_mov_b32 v[28:29], s[64:65], s[64:65] op_sel:[0,1]
	v_cmp_lt_i64_e32 vcc, s[62:63], v[28:29]
	s_and_b64 s[4:5], s[70:71], vcc
	v_mov_b32_e32 v28, s47
	v_add_co_u32_e32 v24, vcc, s46, v24
	v_addc_co_u32_e32 v25, vcc, v25, v28, vcc
	v_add_co_u32_e32 v26, vcc, s46, v26
	v_addc_co_u32_e32 v27, vcc, v27, v28, vcc
	s_and_b64 vcc, exec, s[4:5]
	s_cbranch_vccz .LBB103_48
; %bb.46:                               ;   in Loop: Header=BB103_30 Depth=3
	s_mov_b64 s[66:67], s[6:7]
	s_mov_b64 s[60:61], s[18:19]
	s_branch .LBB103_30
.LBB103_47:                             ;   in Loop: Header=BB103_25 Depth=2
	s_mov_b64 s[6:7], s[62:63]
	s_mov_b64 s[18:19], s[60:61]
.LBB103_48:                             ;   in Loop: Header=BB103_25 Depth=2
	s_add_u32 s4, s48, s58
	s_addc_u32 s5, s49, s59
	v_pk_mov_b32 v[24:25], s[6:7], s[6:7] op_sel:[0,1]
	global_store_dwordx2 v5, v[24:25], s[4:5]
	v_mov_b32_e32 v24, s47
	v_add_co_u32_e32 v22, vcc, s46, v22
	v_addc_co_u32_e32 v23, vcc, v23, v24, vcc
	s_add_u32 s56, s56, 1
	v_add_co_u32_e32 v20, vcc, s46, v20
	s_addc_u32 s57, s57, 0
	v_addc_co_u32_e32 v21, vcc, v21, v24, vcc
	v_pk_mov_b32 v[24:25], s[34:35], s[34:35] op_sel:[0,1]
	v_cmp_lt_i64_e32 vcc, s[56:57], v[24:25]
	s_cbranch_vccz .LBB103_51
; %bb.49:                               ;   in Loop: Header=BB103_25 Depth=2
	s_mov_b64 s[60:61], s[18:19]
	s_branch .LBB103_25
.LBB103_50:                             ;   in Loop: Header=BB103_25 Depth=2
                                        ; implicit-def: $sgpr62_sgpr63
	s_branch .LBB103_27
.LBB103_51:                             ;   in Loop: Header=BB103_15 Depth=1
	s_andn2_b64 vcc, exec, s[0:1]
	s_cbranch_vccnz .LBB103_63
; %bb.52:                               ;   in Loop: Header=BB103_15 Depth=1
	s_load_dwordx4 s[4:7], s[24:25], 0x0
	s_waitcnt lgkmcnt(0)
	v_pk_mov_b32 v[20:21], s[6:7], s[6:7] op_sel:[0,1]
	v_cmp_ge_i64_e32 vcc, s[4:5], v[20:21]
	s_cbranch_vccnz .LBB103_63
; %bb.53:                               ;   in Loop: Header=BB103_15 Depth=1
	s_sub_u32 s6, s6, s50
	s_subb_u32 s7, s7, 0
	s_sub_u32 s56, s4, s50
	s_subb_u32 s57, s5, 0
	s_lshl_b64 s[54:55], s[4:5], 3
	s_add_u32 s54, s51, s54
	s_mul_i32 s58, s47, s56
	s_mul_i32 s57, s46, s57
	s_addc_u32 s55, s78, s55
	s_add_i32 s58, s57, s58
	v_mov_b32_e32 v20, s56
	v_mad_u64_u32 v[20:21], s[56:57], s46, v20, v[6:7]
	s_add_u32 s4, s39, s4
	v_add_u32_e32 v21, s58, v21
	s_addc_u32 s5, s79, s5
.LBB103_54:                             ;   Parent Loop BB103_15 Depth=1
                                        ; =>  This Inner Loop Header: Depth=2
	s_load_dwordx2 s[56:57], s[54:55], 0x0
	v_pk_mov_b32 v[22:23], s[26:27], s[26:27] op_sel:[0,1]
	v_pk_mov_b32 v[24:25], s[52:53], s[52:53] op_sel:[0,1]
	s_mov_b64 s[62:63], -1
	s_waitcnt lgkmcnt(0)
	s_sub_u32 s60, s56, s50
	s_subb_u32 s61, s57, 0
	v_cmp_ge_i64_e32 vcc, s[60:61], v[22:23]
	v_cmp_lt_i64_e64 s[58:59], s[60:61], v[24:25]
	s_and_b64 s[56:57], vcc, s[58:59]
	s_andn2_b64 vcc, exec, s[56:57]
                                        ; implicit-def: $sgpr56_sgpr57
	s_cbranch_vccz .LBB103_56
; %bb.55:                               ;   in Loop: Header=BB103_54 Depth=2
	v_pk_mov_b32 v[22:23], s[18:19], s[18:19] op_sel:[0,1]
	v_cmp_lt_i64_e32 vcc, s[60:61], v[22:23]
	s_and_b64 s[56:57], vcc, exec
	s_cselect_b32 s62, s60, s18
	s_cselect_b32 s61, s61, s19
	s_and_b64 s[56:57], s[58:59], exec
	s_cselect_b32 s57, s19, s61
	s_cselect_b32 s56, s18, s62
	s_mov_b64 s[62:63], 0
.LBB103_56:                             ;   in Loop: Header=BB103_54 Depth=2
	s_andn2_b64 vcc, exec, s[62:63]
	s_cbranch_vccnz .LBB103_60
; %bb.57:                               ;   in Loop: Header=BB103_54 Depth=2
	s_sub_i32 s58, s60, s26
	v_mov_b32_e32 v22, s58
	ds_write_b8 v22, v39 offset:8192
	s_and_saveexec_b64 s[56:57], s[12:13]
	s_cbranch_execz .LBB103_59
; %bb.58:                               ;   in Loop: Header=BB103_54 Depth=2
	global_load_dword v22, v[20:21], off
	s_lshl_b32 s58, s58, 8
	v_or3_b32 v23, s58, v3, v2
	v_lshlrev_b32_e32 v23, 2, v23
	ds_read_b32 v24, v23
	s_waitcnt vmcnt(0) lgkmcnt(0)
	v_fmac_f32_e32 v24, v32, v22
	ds_write_b32 v23, v24
.LBB103_59:                             ;   in Loop: Header=BB103_54 Depth=2
	s_or_b64 exec, exec, s[56:57]
	s_mov_b64 s[58:59], -1
	s_mov_b64 s[56:57], s[18:19]
	s_waitcnt lgkmcnt(0)
	s_barrier
.LBB103_60:                             ;   in Loop: Header=BB103_54 Depth=2
	v_pk_mov_b32 v[22:23], s[6:7], s[6:7] op_sel:[0,1]
	v_cmp_lt_i64_e32 vcc, s[4:5], v[22:23]
	s_and_b64 s[18:19], s[58:59], vcc
	s_add_u32 s54, s54, 8
	s_addc_u32 s55, s55, 0
	v_mov_b32_e32 v22, s47
	v_add_co_u32_e32 v20, vcc, s46, v20
	v_addc_co_u32_e32 v21, vcc, v21, v22, vcc
	s_add_u32 s4, s4, 1
	s_addc_u32 s5, s5, 0
	s_and_b64 vcc, exec, s[18:19]
	s_cbranch_vccz .LBB103_62
; %bb.61:                               ;   in Loop: Header=BB103_54 Depth=2
	s_mov_b64 s[18:19], s[56:57]
	s_branch .LBB103_54
.LBB103_62:                             ;   in Loop: Header=BB103_15 Depth=1
	s_mov_b64 s[18:19], s[56:57]
.LBB103_63:                             ;   in Loop: Header=BB103_15 Depth=1
	s_barrier
	ds_read_u8 v20, v5 offset:8192
	s_add_u32 s6, s26, s38
	s_addc_u32 s7, s27, 0
	s_mov_b32 s26, 0
	s_waitcnt lgkmcnt(0)
	v_cmp_eq_u32_e32 vcc, 0, v20
	s_cbranch_vccnz .LBB103_67
; %bb.64:                               ;   in Loop: Header=BB103_15 Depth=1
	v_lshlrev_b64 v[20:21], 3, v[18:19]
	v_mov_b32_e32 v22, s45
	v_add_co_u32_e32 v20, vcc, s44, v20
	v_addc_co_u32_e32 v21, vcc, v22, v21, vcc
	v_pk_mov_b32 v[22:23], s[6:7], s[6:7] op_sel:[0,1]
	global_store_dwordx2 v[20:21], v[22:23], off
	s_and_saveexec_b64 s[4:5], s[12:13]
	s_cbranch_execz .LBB103_66
; %bb.65:                               ;   in Loop: Header=BB103_15 Depth=1
	v_mul_lo_u32 v22, v19, s30
	v_mul_lo_u32 v23, v18, s31
	v_mad_u64_u32 v[20:21], s[26:27], v18, s30, 0
	v_add3_u32 v21, v21, v23, v22
	ds_read_b32 v22, v37
	v_lshlrev_b64 v[20:21], 2, v[20:21]
	v_add_co_u32_e32 v20, vcc, v8, v20
	v_addc_co_u32_e32 v21, vcc, v1, v21, vcc
	s_waitcnt lgkmcnt(0)
	global_store_dword v[20:21], v22, off
.LBB103_66:                             ;   in Loop: Header=BB103_15 Depth=1
	s_or_b64 exec, exec, s[4:5]
	s_mov_b32 s26, 1
.LBB103_67:                             ;   in Loop: Header=BB103_15 Depth=1
	ds_read_u8 v20, v5 offset:8193
	v_add_co_u32_e64 v23, s[4:5], -1, v18
	v_addc_co_u32_e64 v22, s[4:5], -1, v19, s[4:5]
	s_waitcnt lgkmcnt(0)
	v_cmp_eq_u32_e32 vcc, 0, v20
	s_cbranch_vccz .LBB103_73
; %bb.68:                               ;   in Loop: Header=BB103_15 Depth=1
	ds_read_u8 v20, v5 offset:8194
	s_waitcnt lgkmcnt(0)
	v_cmp_eq_u32_e32 vcc, 0, v20
	s_cbranch_vccz .LBB103_76
.LBB103_69:                             ;   in Loop: Header=BB103_15 Depth=1
	ds_read_u8 v20, v5 offset:8195
	s_waitcnt lgkmcnt(0)
	v_cmp_eq_u32_e32 vcc, 0, v20
	s_cbranch_vccz .LBB103_79
.LBB103_70:                             ;   in Loop: Header=BB103_15 Depth=1
	ds_read_u8 v20, v5 offset:8196
	s_waitcnt lgkmcnt(0)
	v_cmp_eq_u32_e32 vcc, 0, v20
	s_cbranch_vccz .LBB103_82
.LBB103_71:                             ;   in Loop: Header=BB103_15 Depth=1
	ds_read_u8 v20, v5 offset:8197
	s_waitcnt lgkmcnt(0)
	v_cmp_eq_u32_e32 vcc, 0, v20
	s_cbranch_vccz .LBB103_85
.LBB103_72:                             ;   in Loop: Header=BB103_15 Depth=1
	ds_read_u8 v20, v5 offset:8198
	s_waitcnt lgkmcnt(0)
	v_cmp_eq_u32_e32 vcc, 0, v20
	s_cbranch_vccz .LBB103_88
	s_branch .LBB103_91
.LBB103_73:                             ;   in Loop: Header=BB103_15 Depth=1
	s_add_i32 s26, s26, 1
	v_add_co_u32_e32 v20, vcc, s26, v18
	v_addc_co_u32_e32 v21, vcc, 0, v19, vcc
	s_add_u32 s4, s6, 1
	v_lshlrev_b64 v[20:21], 3, v[20:21]
	s_addc_u32 s5, s7, 0
	v_mov_b32_e32 v24, s77
	v_add_co_u32_e32 v20, vcc, s76, v20
	v_addc_co_u32_e32 v21, vcc, v24, v21, vcc
	v_pk_mov_b32 v[24:25], s[4:5], s[4:5] op_sel:[0,1]
	global_store_dwordx2 v[20:21], v[24:25], off
	s_and_saveexec_b64 s[4:5], s[12:13]
	s_cbranch_execz .LBB103_75
; %bb.74:                               ;   in Loop: Header=BB103_15 Depth=1
	v_mov_b32_e32 v20, s33
	v_add_co_u32_e32 v21, vcc, s26, v23
	v_addc_co_u32_e32 v20, vcc, v22, v20, vcc
	v_mul_lo_u32 v24, v20, s30
	v_mul_lo_u32 v25, v21, s31
	v_mad_u64_u32 v[20:21], s[52:53], v21, s30, 0
	v_add3_u32 v21, v21, v25, v24
	ds_read_b32 v24, v38 offset:1024
	v_lshlrev_b64 v[20:21], 2, v[20:21]
	v_add_co_u32_e32 v20, vcc, v8, v20
	v_addc_co_u32_e32 v21, vcc, v1, v21, vcc
	s_waitcnt lgkmcnt(0)
	global_store_dword v[20:21], v24, off
.LBB103_75:                             ;   in Loop: Header=BB103_15 Depth=1
	s_or_b64 exec, exec, s[4:5]
	ds_read_u8 v20, v5 offset:8194
	s_waitcnt lgkmcnt(0)
	v_cmp_eq_u32_e32 vcc, 0, v20
	s_cbranch_vccnz .LBB103_69
.LBB103_76:                             ;   in Loop: Header=BB103_15 Depth=1
	s_add_i32 s26, s26, 1
	v_add_co_u32_e32 v20, vcc, s26, v18
	v_addc_co_u32_e32 v21, vcc, 0, v19, vcc
	s_add_u32 s4, s6, 2
	v_lshlrev_b64 v[20:21], 3, v[20:21]
	s_addc_u32 s5, s7, 0
	v_mov_b32_e32 v24, s77
	v_add_co_u32_e32 v20, vcc, s76, v20
	v_addc_co_u32_e32 v21, vcc, v24, v21, vcc
	v_pk_mov_b32 v[24:25], s[4:5], s[4:5] op_sel:[0,1]
	global_store_dwordx2 v[20:21], v[24:25], off
	s_and_saveexec_b64 s[4:5], s[12:13]
	s_cbranch_execz .LBB103_78
; %bb.77:                               ;   in Loop: Header=BB103_15 Depth=1
	v_mov_b32_e32 v20, s33
	v_add_co_u32_e32 v21, vcc, s26, v23
	v_addc_co_u32_e32 v20, vcc, v22, v20, vcc
	v_mul_lo_u32 v24, v20, s30
	v_mul_lo_u32 v25, v21, s31
	v_mad_u64_u32 v[20:21], s[52:53], v21, s30, 0
	v_add3_u32 v21, v21, v25, v24
	ds_read_b32 v24, v38 offset:2048
	v_lshlrev_b64 v[20:21], 2, v[20:21]
	v_add_co_u32_e32 v20, vcc, v8, v20
	v_addc_co_u32_e32 v21, vcc, v1, v21, vcc
	s_waitcnt lgkmcnt(0)
	global_store_dword v[20:21], v24, off
.LBB103_78:                             ;   in Loop: Header=BB103_15 Depth=1
	s_or_b64 exec, exec, s[4:5]
	ds_read_u8 v20, v5 offset:8195
	s_waitcnt lgkmcnt(0)
	v_cmp_eq_u32_e32 vcc, 0, v20
	s_cbranch_vccnz .LBB103_70
.LBB103_79:                             ;   in Loop: Header=BB103_15 Depth=1
	s_add_i32 s26, s26, 1
	v_add_co_u32_e32 v20, vcc, s26, v18
	v_addc_co_u32_e32 v21, vcc, 0, v19, vcc
	s_add_u32 s4, s6, 3
	v_lshlrev_b64 v[20:21], 3, v[20:21]
	s_addc_u32 s5, s7, 0
	v_mov_b32_e32 v24, s77
	v_add_co_u32_e32 v20, vcc, s76, v20
	v_addc_co_u32_e32 v21, vcc, v24, v21, vcc
	v_pk_mov_b32 v[24:25], s[4:5], s[4:5] op_sel:[0,1]
	global_store_dwordx2 v[20:21], v[24:25], off
	s_and_saveexec_b64 s[4:5], s[12:13]
	s_cbranch_execz .LBB103_81
; %bb.80:                               ;   in Loop: Header=BB103_15 Depth=1
	v_mov_b32_e32 v20, s33
	v_add_co_u32_e32 v21, vcc, s26, v23
	v_addc_co_u32_e32 v20, vcc, v22, v20, vcc
	v_mul_lo_u32 v24, v20, s30
	v_mul_lo_u32 v25, v21, s31
	v_mad_u64_u32 v[20:21], s[52:53], v21, s30, 0
	v_add3_u32 v21, v21, v25, v24
	ds_read_b32 v24, v38 offset:3072
	v_lshlrev_b64 v[20:21], 2, v[20:21]
	v_add_co_u32_e32 v20, vcc, v8, v20
	v_addc_co_u32_e32 v21, vcc, v1, v21, vcc
	s_waitcnt lgkmcnt(0)
	global_store_dword v[20:21], v24, off
.LBB103_81:                             ;   in Loop: Header=BB103_15 Depth=1
	s_or_b64 exec, exec, s[4:5]
	ds_read_u8 v20, v5 offset:8196
	s_waitcnt lgkmcnt(0)
	v_cmp_eq_u32_e32 vcc, 0, v20
	s_cbranch_vccnz .LBB103_71
.LBB103_82:                             ;   in Loop: Header=BB103_15 Depth=1
	s_add_i32 s26, s26, 1
	v_add_co_u32_e32 v20, vcc, s26, v18
	v_addc_co_u32_e32 v21, vcc, 0, v19, vcc
	s_add_u32 s4, s6, 4
	v_lshlrev_b64 v[20:21], 3, v[20:21]
	s_addc_u32 s5, s7, 0
	v_mov_b32_e32 v24, s77
	v_add_co_u32_e32 v20, vcc, s76, v20
	v_addc_co_u32_e32 v21, vcc, v24, v21, vcc
	v_pk_mov_b32 v[24:25], s[4:5], s[4:5] op_sel:[0,1]
	global_store_dwordx2 v[20:21], v[24:25], off
	s_and_saveexec_b64 s[4:5], s[12:13]
	s_cbranch_execz .LBB103_84
; %bb.83:                               ;   in Loop: Header=BB103_15 Depth=1
	v_mov_b32_e32 v20, s33
	v_add_co_u32_e32 v21, vcc, s26, v23
	v_addc_co_u32_e32 v20, vcc, v22, v20, vcc
	v_mul_lo_u32 v24, v20, s30
	v_mul_lo_u32 v25, v21, s31
	v_mad_u64_u32 v[20:21], s[52:53], v21, s30, 0
	v_add3_u32 v21, v21, v25, v24
	ds_read_b32 v24, v37 offset:4096
	v_lshlrev_b64 v[20:21], 2, v[20:21]
	v_add_co_u32_e32 v20, vcc, v8, v20
	v_addc_co_u32_e32 v21, vcc, v1, v21, vcc
	s_waitcnt lgkmcnt(0)
	global_store_dword v[20:21], v24, off
.LBB103_84:                             ;   in Loop: Header=BB103_15 Depth=1
	s_or_b64 exec, exec, s[4:5]
	ds_read_u8 v20, v5 offset:8197
	s_waitcnt lgkmcnt(0)
	v_cmp_eq_u32_e32 vcc, 0, v20
	s_cbranch_vccnz .LBB103_72
.LBB103_85:                             ;   in Loop: Header=BB103_15 Depth=1
	s_add_i32 s26, s26, 1
	v_add_co_u32_e32 v20, vcc, s26, v18
	v_addc_co_u32_e32 v21, vcc, 0, v19, vcc
	s_add_u32 s4, s6, 5
	v_lshlrev_b64 v[20:21], 3, v[20:21]
	s_addc_u32 s5, s7, 0
	v_mov_b32_e32 v24, s77
	v_add_co_u32_e32 v20, vcc, s76, v20
	v_addc_co_u32_e32 v21, vcc, v24, v21, vcc
	v_pk_mov_b32 v[24:25], s[4:5], s[4:5] op_sel:[0,1]
	global_store_dwordx2 v[20:21], v[24:25], off
	s_and_saveexec_b64 s[4:5], s[12:13]
	s_cbranch_execz .LBB103_87
; %bb.86:                               ;   in Loop: Header=BB103_15 Depth=1
	v_mov_b32_e32 v20, s33
	v_add_co_u32_e32 v21, vcc, s26, v23
	v_addc_co_u32_e32 v20, vcc, v22, v20, vcc
	v_mul_lo_u32 v24, v20, s30
	v_mul_lo_u32 v25, v21, s31
	v_mad_u64_u32 v[20:21], s[52:53], v21, s30, 0
	v_add3_u32 v21, v21, v25, v24
	ds_read_b32 v24, v38 offset:5120
	v_lshlrev_b64 v[20:21], 2, v[20:21]
	v_add_co_u32_e32 v20, vcc, v8, v20
	v_addc_co_u32_e32 v21, vcc, v1, v21, vcc
	s_waitcnt lgkmcnt(0)
	global_store_dword v[20:21], v24, off
.LBB103_87:                             ;   in Loop: Header=BB103_15 Depth=1
	s_or_b64 exec, exec, s[4:5]
	ds_read_u8 v20, v5 offset:8198
	s_waitcnt lgkmcnt(0)
	v_cmp_eq_u32_e32 vcc, 0, v20
	s_cbranch_vccnz .LBB103_91
.LBB103_88:                             ;   in Loop: Header=BB103_15 Depth=1
	s_add_i32 s26, s26, 1
	v_add_co_u32_e32 v20, vcc, s26, v18
	v_addc_co_u32_e32 v21, vcc, 0, v19, vcc
	s_add_u32 s4, s6, 6
	v_lshlrev_b64 v[20:21], 3, v[20:21]
	s_addc_u32 s5, s7, 0
	v_mov_b32_e32 v24, s77
	v_add_co_u32_e32 v20, vcc, s76, v20
	v_addc_co_u32_e32 v21, vcc, v24, v21, vcc
	v_pk_mov_b32 v[24:25], s[4:5], s[4:5] op_sel:[0,1]
	global_store_dwordx2 v[20:21], v[24:25], off
	s_and_saveexec_b64 s[4:5], s[12:13]
	s_cbranch_execz .LBB103_90
; %bb.89:                               ;   in Loop: Header=BB103_15 Depth=1
	v_mov_b32_e32 v20, s33
	v_add_co_u32_e32 v21, vcc, s26, v23
	v_addc_co_u32_e32 v20, vcc, v22, v20, vcc
	v_mul_lo_u32 v24, v20, s30
	v_mul_lo_u32 v25, v21, s31
	v_mad_u64_u32 v[20:21], s[52:53], v21, s30, 0
	v_add3_u32 v21, v21, v25, v24
	ds_read_b32 v24, v38 offset:6144
	v_lshlrev_b64 v[20:21], 2, v[20:21]
	v_add_co_u32_e32 v20, vcc, v8, v20
	v_addc_co_u32_e32 v21, vcc, v1, v21, vcc
	s_waitcnt lgkmcnt(0)
	global_store_dword v[20:21], v24, off
.LBB103_90:                             ;   in Loop: Header=BB103_15 Depth=1
	s_or_b64 exec, exec, s[4:5]
.LBB103_91:                             ;   in Loop: Header=BB103_15 Depth=1
	ds_read_u8 v20, v5 offset:8199
	s_waitcnt lgkmcnt(0)
	v_readfirstlane_b32 s4, v20
	s_bitcmp1_b32 s4, 0
	s_cselect_b64 s[4:5], -1, 0
	s_and_b64 vcc, exec, s[4:5]
	s_cbranch_vccnz .LBB103_93
; %bb.92:                               ;   in Loop: Header=BB103_15 Depth=1
	v_add_co_u32_e32 v20, vcc, s26, v18
	v_addc_co_u32_e32 v21, vcc, 0, v19, vcc
	s_cbranch_execnz .LBB103_14
	s_branch .LBB103_94
.LBB103_93:                             ;   in Loop: Header=BB103_15 Depth=1
                                        ; implicit-def: $vgpr20_vgpr21
.LBB103_94:                             ;   in Loop: Header=BB103_15 Depth=1
	s_add_i32 s26, s26, 1
	v_add_co_u32_e32 v20, vcc, s26, v18
	v_addc_co_u32_e32 v21, vcc, 0, v19, vcc
	s_add_u32 s4, s6, 7
	v_lshlrev_b64 v[18:19], 3, v[20:21]
	s_addc_u32 s5, s7, 0
	v_mov_b32_e32 v24, s77
	v_add_co_u32_e32 v18, vcc, s76, v18
	v_addc_co_u32_e32 v19, vcc, v24, v19, vcc
	v_pk_mov_b32 v[24:25], s[4:5], s[4:5] op_sel:[0,1]
	global_store_dwordx2 v[18:19], v[24:25], off
	s_and_saveexec_b64 s[4:5], s[12:13]
	s_cbranch_execz .LBB103_13
; %bb.95:                               ;   in Loop: Header=BB103_15 Depth=1
	v_mov_b32_e32 v18, s33
	v_add_co_u32_e32 v19, vcc, s26, v23
	v_addc_co_u32_e32 v18, vcc, v22, v18, vcc
	v_mul_lo_u32 v22, v18, s30
	v_mul_lo_u32 v23, v19, s31
	v_mad_u64_u32 v[18:19], s[6:7], v19, s30, 0
	v_add3_u32 v19, v19, v23, v22
	ds_read_b32 v22, v38 offset:7168
	s_andn2_b64 vcc, exec, s[28:29]
	v_lshlrev_b64 v[18:19], 2, v[18:19]
	s_cbranch_vccnz .LBB103_97
; %bb.96:                               ;   in Loop: Header=BB103_15 Depth=1
	v_add_co_u32_e32 v24, vcc, v33, v18
	v_addc_co_u32_e32 v25, vcc, v34, v19, vcc
	s_waitcnt lgkmcnt(0)
	global_store_dword v[24:25], v22, off
	s_cbranch_execnz .LBB103_13
	s_branch .LBB103_98
.LBB103_97:                             ;   in Loop: Header=BB103_15 Depth=1
.LBB103_98:                             ;   in Loop: Header=BB103_15 Depth=1
	v_add_co_u32_e32 v18, vcc, v35, v18
	v_addc_co_u32_e32 v19, vcc, v36, v19, vcc
	s_waitcnt lgkmcnt(0)
	global_store_dword v[18:19], v22, off
	s_branch .LBB103_13
.LBB103_99:
	s_endpgm
	.section	.rodata,"a",@progbits
	.p2align	6, 0x0
	.amdhsa_kernel _ZN9rocsparseL31bsrgemm_block_per_row_multipassILj256ELj8ELj16EllfEEv20rocsparse_direction_T3_S2_PKS2_S4_NS_24const_host_device_scalarIT4_EEPKT2_S4_PKS6_SA_S4_SC_S7_SA_S4_SC_SA_PS2_PS6_PS8_21rocsparse_index_base_SG_SG_SG_bbb
		.amdhsa_group_segment_fixed_size 8200
		.amdhsa_private_segment_fixed_size 0
		.amdhsa_kernarg_size 180
		.amdhsa_user_sgpr_count 6
		.amdhsa_user_sgpr_private_segment_buffer 1
		.amdhsa_user_sgpr_dispatch_ptr 0
		.amdhsa_user_sgpr_queue_ptr 0
		.amdhsa_user_sgpr_kernarg_segment_ptr 1
		.amdhsa_user_sgpr_dispatch_id 0
		.amdhsa_user_sgpr_flat_scratch_init 0
		.amdhsa_user_sgpr_kernarg_preload_length 0
		.amdhsa_user_sgpr_kernarg_preload_offset 0
		.amdhsa_user_sgpr_private_segment_size 0
		.amdhsa_uses_dynamic_stack 0
		.amdhsa_system_sgpr_private_segment_wavefront_offset 0
		.amdhsa_system_sgpr_workgroup_id_x 1
		.amdhsa_system_sgpr_workgroup_id_y 0
		.amdhsa_system_sgpr_workgroup_id_z 0
		.amdhsa_system_sgpr_workgroup_info 0
		.amdhsa_system_vgpr_workitem_id 0
		.amdhsa_next_free_vgpr 44
		.amdhsa_next_free_sgpr 80
		.amdhsa_accum_offset 44
		.amdhsa_reserve_vcc 1
		.amdhsa_reserve_flat_scratch 0
		.amdhsa_float_round_mode_32 0
		.amdhsa_float_round_mode_16_64 0
		.amdhsa_float_denorm_mode_32 3
		.amdhsa_float_denorm_mode_16_64 3
		.amdhsa_dx10_clamp 1
		.amdhsa_ieee_mode 1
		.amdhsa_fp16_overflow 0
		.amdhsa_tg_split 0
		.amdhsa_exception_fp_ieee_invalid_op 0
		.amdhsa_exception_fp_denorm_src 0
		.amdhsa_exception_fp_ieee_div_zero 0
		.amdhsa_exception_fp_ieee_overflow 0
		.amdhsa_exception_fp_ieee_underflow 0
		.amdhsa_exception_fp_ieee_inexact 0
		.amdhsa_exception_int_div_zero 0
	.end_amdhsa_kernel
	.section	.text._ZN9rocsparseL31bsrgemm_block_per_row_multipassILj256ELj8ELj16EllfEEv20rocsparse_direction_T3_S2_PKS2_S4_NS_24const_host_device_scalarIT4_EEPKT2_S4_PKS6_SA_S4_SC_S7_SA_S4_SC_SA_PS2_PS6_PS8_21rocsparse_index_base_SG_SG_SG_bbb,"axG",@progbits,_ZN9rocsparseL31bsrgemm_block_per_row_multipassILj256ELj8ELj16EllfEEv20rocsparse_direction_T3_S2_PKS2_S4_NS_24const_host_device_scalarIT4_EEPKT2_S4_PKS6_SA_S4_SC_S7_SA_S4_SC_SA_PS2_PS6_PS8_21rocsparse_index_base_SG_SG_SG_bbb,comdat
.Lfunc_end103:
	.size	_ZN9rocsparseL31bsrgemm_block_per_row_multipassILj256ELj8ELj16EllfEEv20rocsparse_direction_T3_S2_PKS2_S4_NS_24const_host_device_scalarIT4_EEPKT2_S4_PKS6_SA_S4_SC_S7_SA_S4_SC_SA_PS2_PS6_PS8_21rocsparse_index_base_SG_SG_SG_bbb, .Lfunc_end103-_ZN9rocsparseL31bsrgemm_block_per_row_multipassILj256ELj8ELj16EllfEEv20rocsparse_direction_T3_S2_PKS2_S4_NS_24const_host_device_scalarIT4_EEPKT2_S4_PKS6_SA_S4_SC_S7_SA_S4_SC_SA_PS2_PS6_PS8_21rocsparse_index_base_SG_SG_SG_bbb
                                        ; -- End function
	.section	.AMDGPU.csdata,"",@progbits
; Kernel info:
; codeLenInByte = 4084
; NumSgprs: 84
; NumVgprs: 44
; NumAgprs: 0
; TotalNumVgprs: 44
; ScratchSize: 0
; MemoryBound: 1
; FloatMode: 240
; IeeeMode: 1
; LDSByteSize: 8200 bytes/workgroup (compile time only)
; SGPRBlocks: 10
; VGPRBlocks: 5
; NumSGPRsForWavesPerEU: 84
; NumVGPRsForWavesPerEU: 44
; AccumOffset: 44
; Occupancy: 7
; WaveLimiterHint : 1
; COMPUTE_PGM_RSRC2:SCRATCH_EN: 0
; COMPUTE_PGM_RSRC2:USER_SGPR: 6
; COMPUTE_PGM_RSRC2:TRAP_HANDLER: 0
; COMPUTE_PGM_RSRC2:TGID_X_EN: 1
; COMPUTE_PGM_RSRC2:TGID_Y_EN: 0
; COMPUTE_PGM_RSRC2:TGID_Z_EN: 0
; COMPUTE_PGM_RSRC2:TIDIG_COMP_CNT: 0
; COMPUTE_PGM_RSRC3_GFX90A:ACCUM_OFFSET: 10
; COMPUTE_PGM_RSRC3_GFX90A:TG_SPLIT: 0
	.section	.text._ZN9rocsparseL31bsrgemm_block_per_row_multipassILj256ELj2ELj32EllfEEv20rocsparse_direction_T3_S2_PKS2_S4_NS_24const_host_device_scalarIT4_EEPKT2_S4_PKS6_SA_S4_SC_S7_SA_S4_SC_SA_PS2_PS6_PS8_21rocsparse_index_base_SG_SG_SG_bbb,"axG",@progbits,_ZN9rocsparseL31bsrgemm_block_per_row_multipassILj256ELj2ELj32EllfEEv20rocsparse_direction_T3_S2_PKS2_S4_NS_24const_host_device_scalarIT4_EEPKT2_S4_PKS6_SA_S4_SC_S7_SA_S4_SC_SA_PS2_PS6_PS8_21rocsparse_index_base_SG_SG_SG_bbb,comdat
	.globl	_ZN9rocsparseL31bsrgemm_block_per_row_multipassILj256ELj2ELj32EllfEEv20rocsparse_direction_T3_S2_PKS2_S4_NS_24const_host_device_scalarIT4_EEPKT2_S4_PKS6_SA_S4_SC_S7_SA_S4_SC_SA_PS2_PS6_PS8_21rocsparse_index_base_SG_SG_SG_bbb ; -- Begin function _ZN9rocsparseL31bsrgemm_block_per_row_multipassILj256ELj2ELj32EllfEEv20rocsparse_direction_T3_S2_PKS2_S4_NS_24const_host_device_scalarIT4_EEPKT2_S4_PKS6_SA_S4_SC_S7_SA_S4_SC_SA_PS2_PS6_PS8_21rocsparse_index_base_SG_SG_SG_bbb
	.p2align	8
	.type	_ZN9rocsparseL31bsrgemm_block_per_row_multipassILj256ELj2ELj32EllfEEv20rocsparse_direction_T3_S2_PKS2_S4_NS_24const_host_device_scalarIT4_EEPKT2_S4_PKS6_SA_S4_SC_S7_SA_S4_SC_SA_PS2_PS6_PS8_21rocsparse_index_base_SG_SG_SG_bbb,@function
_ZN9rocsparseL31bsrgemm_block_per_row_multipassILj256ELj2ELj32EllfEEv20rocsparse_direction_T3_S2_PKS2_S4_NS_24const_host_device_scalarIT4_EEPKT2_S4_PKS6_SA_S4_SC_S7_SA_S4_SC_SA_PS2_PS6_PS8_21rocsparse_index_base_SG_SG_SG_bbb: ; @_ZN9rocsparseL31bsrgemm_block_per_row_multipassILj256ELj2ELj32EllfEEv20rocsparse_direction_T3_S2_PKS2_S4_NS_24const_host_device_scalarIT4_EEPKT2_S4_PKS6_SA_S4_SC_S7_SA_S4_SC_SA_PS2_PS6_PS8_21rocsparse_index_base_SG_SG_SG_bbb
; %bb.0:
	s_load_dword s7, s[4:5], 0xb0
	s_load_dwordx4 s[28:31], s[4:5], 0xa0
	s_load_dwordx2 s[0:1], s[4:5], 0x28
	s_load_dwordx2 s[10:11], s[4:5], 0x60
	s_waitcnt lgkmcnt(0)
	s_bitcmp1_b32 s7, 0
	s_cselect_b64 s[8:9], -1, 0
	s_bitcmp1_b32 s7, 16
	s_cselect_b64 s[12:13], -1, 0
	s_xor_b64 s[2:3], s[8:9], -1
	s_or_b64 s[2:3], s[2:3], s[12:13]
	s_and_b64 vcc, exec, s[2:3]
	s_cbranch_vccnz .LBB104_2
; %bb.1:
	s_load_dword s0, s[0:1], 0x0
	s_waitcnt lgkmcnt(0)
	v_mov_b32_e32 v1, s0
	s_branch .LBB104_3
.LBB104_2:
	v_mov_b32_e32 v1, s0
	v_cndmask_b32_e64 v1, 0, v1, s[8:9]
.LBB104_3:
	s_load_dwordx2 s[2:3], s[4:5], 0x20
	s_bitcmp1_b32 s7, 8
	s_cselect_b64 s[0:1], -1, 0
	s_xor_b64 s[14:15], s[0:1], -1
	s_or_b64 s[12:13], s[14:15], s[12:13]
	s_mov_b32 s7, 0
	s_and_b64 vcc, exec, s[12:13]
	s_cbranch_vccnz .LBB104_5
; %bb.4:
	s_load_dword s10, s[10:11], 0x0
	s_waitcnt lgkmcnt(0)
	v_mov_b32_e32 v60, s10
	s_load_dwordx2 s[10:11], s[4:5], 0x30
	s_cmp_eq_u64 s[2:3], 0
	s_mov_b64 s[34:35], 0
	s_cbranch_scc0 .LBB104_6
	s_branch .LBB104_7
.LBB104_5:
	v_mov_b32_e32 v2, s10
	v_cndmask_b32_e64 v60, 0, v2, s[0:1]
	s_load_dwordx2 s[10:11], s[4:5], 0x30
	s_waitcnt lgkmcnt(0)
	s_cmp_eq_u64 s[2:3], 0
	s_mov_b64 s[34:35], 0
	s_cbranch_scc1 .LBB104_7
.LBB104_6:
	s_load_dwordx2 s[12:13], s[4:5], 0x18
	s_waitcnt lgkmcnt(0)
	s_load_dwordx2 s[12:13], s[12:13], 0x0
	s_waitcnt lgkmcnt(0)
	s_lshl_b64 s[12:13], s[12:13], 3
	s_add_u32 s12, s2, s12
	s_addc_u32 s13, s3, s13
	s_lshl_b64 s[2:3], s[6:7], 3
	s_add_u32 s2, s12, s2
	s_addc_u32 s3, s13, s3
	s_load_dwordx2 s[6:7], s[2:3], 0x0
.LBB104_7:
	v_cndmask_b32_e64 v2, 0, 1, s[8:9]
	v_cmp_ne_u32_e64 s[2:3], 1, v2
	s_andn2_b64 vcc, exec, s[8:9]
	s_cbranch_vccz .LBB104_10
; %bb.8:
	s_and_b64 vcc, exec, s[2:3]
	s_mov_b64 s[44:45], 0
	s_cbranch_vccz .LBB104_11
.LBB104_9:
	s_load_dwordx4 s[36:39], s[4:5], 0x8
	s_waitcnt lgkmcnt(0)
	v_cmp_lt_i64_e64 s[2:3], s[36:37], 1
	s_and_b64 vcc, exec, s[2:3]
	s_cbranch_vccz .LBB104_12
	s_branch .LBB104_118
.LBB104_10:
	s_waitcnt lgkmcnt(0)
	s_lshl_b64 s[12:13], s[6:7], 3
	s_add_u32 s12, s10, s12
	s_addc_u32 s13, s11, s13
	s_load_dwordx2 s[12:13], s[12:13], 0x0
	s_waitcnt lgkmcnt(0)
	s_sub_u32 s34, s12, s28
	s_subb_u32 s35, s13, 0
	s_and_b64 vcc, exec, s[2:3]
	s_mov_b64 s[44:45], 0
	s_cbranch_vccnz .LBB104_9
.LBB104_11:
	s_waitcnt lgkmcnt(0)
	s_lshl_b64 s[2:3], s[6:7], 3
	s_add_u32 s2, s10, s2
	s_addc_u32 s3, s11, s3
	s_load_dwordx2 s[2:3], s[2:3], 0x8
	s_waitcnt lgkmcnt(0)
	s_sub_u32 s44, s2, s28
	s_subb_u32 s45, s3, 0
	s_load_dwordx4 s[36:39], s[4:5], 0x8
	s_waitcnt lgkmcnt(0)
	v_cmp_lt_i64_e64 s[2:3], s[36:37], 1
	s_and_b64 vcc, exec, s[2:3]
	s_cbranch_vccnz .LBB104_118
.LBB104_12:
	s_load_dwordx8 s[12:19], s[4:5], 0x68
	s_load_dwordx2 s[46:47], s[4:5], 0x98
	s_load_dwordx4 s[40:43], s[4:5], 0x88
	s_load_dwordx2 s[48:49], s[4:5], 0x58
	s_load_dwordx8 s[20:27], s[4:5], 0x38
	s_lshl_b64 s[10:11], s[6:7], 3
	s_waitcnt lgkmcnt(0)
	s_add_u32 s2, s18, s10
	s_addc_u32 s3, s19, s11
	s_load_dwordx2 s[2:3], s[2:3], 0x0
	v_lshrrev_b32_e32 v14, 3, v0
	s_load_dword s18, s[4:5], 0x0
	v_pk_mov_b32 v[4:5], s[44:45], s[44:45] op_sel:[0,1]
	v_cmp_lt_i64_e32 vcc, s[34:35], v[4:5]
	s_waitcnt lgkmcnt(0)
	s_sub_u32 s66, s2, s30
	s_subb_u32 s67, s3, 0
	s_cmp_eq_u32 s18, 0
	s_cselect_b64 s[4:5], -1, 0
	s_cmp_lg_u32 s18, 0
	s_mul_i32 s18, s38, s39
	s_mul_hi_u32 s33, s38, s38
	v_mad_u64_u32 v[4:5], s[54:55], v14, s38, 0
	v_mov_b32_e32 v3, 0
	s_cselect_b64 s[50:51], -1, 0
	s_add_i32 s33, s33, s18
	v_mov_b32_e32 v6, v5
	v_mov_b32_e32 v15, v3
	s_add_i32 s53, s33, s18
	v_mad_u64_u32 v[6:7], s[54:55], v14, s39, v[6:7]
	v_mov_b32_e32 v5, v6
	s_add_u32 s12, s12, s10
	v_lshlrev_b64 v[6:7], 2, v[14:15]
	s_addc_u32 s13, s13, s11
	v_mov_b32_e32 v8, s43
	v_add_co_u32_e64 v62, s[10:11], s42, v6
	v_addc_co_u32_e64 v63, s[10:11], v8, v7, s[10:11]
	v_lshlrev_b64 v[4:5], 2, v[4:5]
	v_and_b32_e32 v2, 7, v0
	v_add_co_u32_e64 v64, s[10:11], s42, v4
	v_addc_co_u32_e64 v65, s[10:11], v8, v5, s[10:11]
	s_and_b64 s[42:43], s[8:9], vcc
	v_mad_u64_u32 v[4:5], s[8:9], v2, s38, 0
	v_mov_b32_e32 v6, v5
	v_mad_u64_u32 v[6:7], s[8:9], v2, s39, v[6:7]
	v_or_b32_e32 v12, 8, v2
	v_mov_b32_e32 v5, v6
	v_mad_u64_u32 v[6:7], s[8:9], v12, s38, 0
	v_mov_b32_e32 v8, v7
	v_cmp_gt_u64_e64 s[6:7], s[38:39], v[14:15]
	v_cmp_gt_i64_e32 vcc, s[38:39], v[2:3]
	v_mov_b32_e32 v13, v3
	v_mad_u64_u32 v[8:9], s[8:9], v12, s39, v[8:9]
	v_or_b32_e32 v16, 16, v2
	s_and_b64 s[54:55], vcc, s[6:7]
	v_cmp_gt_i64_e32 vcc, s[38:39], v[12:13]
	v_mov_b32_e32 v7, v8
	v_mov_b32_e32 v17, v3
	v_mad_u64_u32 v[8:9], s[8:9], v16, s38, 0
	s_and_b64 s[56:57], vcc, s[6:7]
	v_cmp_gt_i64_e32 vcc, s[38:39], v[16:17]
	v_mov_b32_e32 v10, v9
	v_or_b32_e32 v18, 24, v2
	v_mov_b32_e32 v19, v3
	s_and_b64 s[58:59], vcc, s[6:7]
	v_mad_u64_u32 v[10:11], s[8:9], v16, s39, v[10:11]
	v_cmp_gt_i64_e32 vcc, s[38:39], v[18:19]
	v_mov_b32_e32 v9, v10
	s_and_b64 s[60:61], vcc, s[6:7]
	v_mad_u64_u32 v[10:11], s[6:7], v18, s38, 0
	v_mov_b32_e32 v20, v11
	s_add_u32 s33, s24, 8
	s_mul_i32 s52, s38, s38
	v_mad_u64_u32 v[20:21], s[6:7], v18, s39, v[20:21]
	s_addc_u32 s86, s25, 0
	s_add_u32 s87, s40, -8
	s_mul_i32 s6, s34, s53
	s_mul_hi_u32 s7, s34, s52
	s_addc_u32 s88, s41, -1
	s_add_i32 s6, s7, s6
	s_mul_i32 s7, s35, s52
	s_add_i32 s7, s6, s7
	s_mul_i32 s6, s34, s52
	s_lshl_b64 s[62:63], s[38:39], 2
	s_lshl_b64 s[64:65], s[52:53], 2
	;; [unrolled: 1-line block ×3, first 2 shown]
	v_lshlrev_b32_e32 v61, 5, v14
	s_add_u32 s6, s22, s6
	v_or_b32_e32 v12, v61, v12
	v_lshlrev_b32_e32 v14, 2, v14
	s_addc_u32 s7, s23, s7
	v_lshlrev_b32_e32 v67, 2, v12
	v_or_b32_e32 v12, v61, v16
	v_mov_b32_e32 v17, s7
	v_add_co_u32_e32 v16, vcc, s6, v14
	s_mul_i32 s6, s34, s39
	s_mul_hi_u32 s7, s34, s38
	s_add_i32 s6, s7, s6
	s_mul_i32 s7, s35, s38
	s_add_i32 s7, s6, s7
	s_mul_i32 s6, s34, s38
	v_addc_co_u32_e32 v17, vcc, 0, v17, vcc
	s_lshl_b64 s[6:7], s[6:7], 2
	v_mov_b32_e32 v11, v20
	v_lshlrev_b32_e32 v68, 2, v12
	v_or_b32_e32 v12, v61, v18
	v_mov_b32_e32 v18, s7
	v_add_co_u32_e32 v20, vcc, s6, v14
	v_addc_co_u32_e32 v18, vcc, 0, v18, vcc
	v_lshlrev_b32_e32 v69, 2, v12
	v_lshlrev_b32_e32 v12, 2, v2
	v_mul_lo_u32 v21, s38, v18
	v_pk_mov_b32 v[18:19], s[22:23], s[22:23] op_sel:[0,1]
	v_mul_lo_u32 v22, s39, v20
	v_mad_u64_u32 v[18:19], s[6:7], s38, v20, v[18:19]
	v_mov_b32_e32 v33, s49
	v_add_co_u32_e32 v20, vcc, s48, v12
	v_add3_u32 v19, v22, v19, v21
	v_addc_co_u32_e32 v21, vcc, 0, v33, vcc
	v_or_b32_e32 v22, 32, v12
	s_mov_b32 s19, 0
	s_mov_b32 s18, s31
	v_add_co_u32_e32 v24, vcc, s48, v22
	v_addc_co_u32_e32 v25, vcc, 0, v33, vcc
	v_or_b32_e32 v26, 64, v12
	s_lshl_b64 s[6:7], s[18:19], 3
	v_add_co_u32_e32 v28, vcc, s48, v26
	s_sub_u32 s19, s14, s6
	v_addc_co_u32_e32 v29, vcc, 0, v33, vcc
	v_or_b32_e32 v30, 0x60, v12
	s_subb_u32 s89, s15, s7
	v_or_b32_e32 v13, v61, v2
	v_add_co_u32_e32 v32, vcc, s48, v30
	s_sub_u32 s31, 1, s31
	v_cmp_gt_u32_e64 s[2:3], 2, v0
	v_lshlrev_b32_e32 v66, 2, v13
	v_lshlrev_b32_e32 v70, 2, v0
	v_mov_b32_e32 v13, v3
	v_mov_b32_e32 v23, v3
	;; [unrolled: 1-line block ×4, first 2 shown]
	v_addc_co_u32_e32 v33, vcc, 0, v33, vcc
	s_subb_u32 s90, 0, 0
	s_mov_b64 s[22:23], 2
	s_mov_b64 s[14:15], 0
	v_pk_mov_b32 v[34:35], s[66:67], s[66:67] op_sel:[0,1]
	v_mov_b32_e32 v71, 1
	s_branch .LBB104_15
.LBB104_13:                             ;   in Loop: Header=BB104_15 Depth=1
	s_or_b64 exec, exec, s[6:7]
.LBB104_14:                             ;   in Loop: Header=BB104_15 Depth=1
	v_pk_mov_b32 v[34:35], s[36:37], s[36:37] op_sel:[0,1]
	v_cmp_lt_i64_e32 vcc, s[76:77], v[34:35]
	s_and_b64 vcc, vcc, exec
	s_cselect_b32 s14, s76, s36
	s_cselect_b32 s15, s77, s37
	s_add_u32 s22, s14, 2
	s_addc_u32 s23, s15, 0
	v_pk_mov_b32 v[34:35], v[36:37], v[36:37] op_sel:[0,1]
	s_waitcnt lgkmcnt(0)
	s_barrier
	s_barrier
	s_cbranch_vccz .LBB104_118
.LBB104_15:                             ; =>This Loop Header: Depth=1
                                        ;     Child Loop BB104_19 Depth 2
                                        ;     Child Loop BB104_25 Depth 2
                                        ;       Child Loop BB104_30 Depth 3
                                        ;         Child Loop BB104_45 Depth 4
                                        ;         Child Loop BB104_41 Depth 4
	;; [unrolled: 1-line block ×8, first 2 shown]
                                        ;     Child Loop BB104_83 Depth 2
	s_and_saveexec_b64 s[6:7], s[2:3]
	s_cbranch_execz .LBB104_17
; %bb.16:                               ;   in Loop: Header=BB104_15 Depth=1
	ds_write_b8 v0, v3 offset:8192
.LBB104_17:                             ;   in Loop: Header=BB104_15 Depth=1
	s_or_b64 exec, exec, s[6:7]
	s_mov_b32 s66, 0
	s_mov_b64 s[6:7], 0
	v_mov_b32_e32 v36, v70
	s_branch .LBB104_19
.LBB104_18:                             ;   in Loop: Header=BB104_19 Depth=2
	s_or_b64 exec, exec, s[10:11]
	s_add_i32 s66, s66, 2
	v_cmp_eq_u32_e64 s[8:9], 8, s66
	s_or_b64 s[6:7], s[8:9], s[6:7]
	v_add_u32_e32 v36, 0x800, v36
	s_andn2_b64 exec, exec, s[6:7]
	s_cbranch_execz .LBB104_23
.LBB104_19:                             ;   Parent Loop BB104_15 Depth=1
                                        ; =>  This Inner Loop Header: Depth=2
	s_or_b32 s8, s66, 1
	v_cmp_le_u32_e64 s[8:9], s8, 7
	v_cmp_le_u32_e64 s[68:69], s66, 7
	s_and_saveexec_b64 s[10:11], s[68:69]
	s_cbranch_execz .LBB104_21
; %bb.20:                               ;   in Loop: Header=BB104_19 Depth=2
	ds_write_b32 v36, v3
.LBB104_21:                             ;   in Loop: Header=BB104_19 Depth=2
	s_or_b64 exec, exec, s[10:11]
	s_and_saveexec_b64 s[10:11], s[8:9]
	s_cbranch_execz .LBB104_18
; %bb.22:                               ;   in Loop: Header=BB104_19 Depth=2
	ds_write_b32 v36, v3 offset:1024
	s_branch .LBB104_18
.LBB104_23:                             ;   in Loop: Header=BB104_15 Depth=1
	s_or_b64 exec, exec, s[6:7]
	s_andn2_b64 vcc, exec, s[42:43]
	s_mov_b64 s[76:77], s[36:37]
	s_waitcnt lgkmcnt(0)
	s_barrier
	s_cbranch_vccnz .LBB104_78
; %bb.24:                               ;   in Loop: Header=BB104_15 Depth=1
	s_cmp_lg_u64 s[14:15], 0
	s_cselect_b64 s[10:11], -1, 0
	v_pk_mov_b32 v[36:37], v[18:19], v[18:19] op_sel:[0,1]
	v_pk_mov_b32 v[38:39], v[16:17], v[16:17] op_sel:[0,1]
	s_mov_b64 s[72:73], s[36:37]
	s_mov_b64 s[66:67], s[34:35]
.LBB104_25:                             ;   Parent Loop BB104_15 Depth=1
                                        ; =>  This Loop Header: Depth=2
                                        ;       Child Loop BB104_30 Depth 3
                                        ;         Child Loop BB104_45 Depth 4
                                        ;         Child Loop BB104_41 Depth 4
	;; [unrolled: 1-line block ×8, first 2 shown]
	s_lshl_b64 s[68:69], s[66:67], 3
	s_add_u32 s6, s20, s68
	s_addc_u32 s7, s21, s69
	s_load_dwordx2 s[6:7], s[6:7], 0x0
	s_waitcnt lgkmcnt(0)
	s_sub_u32 s6, s6, s28
	s_subb_u32 s7, s7, 0
	s_and_b64 vcc, exec, s[10:11]
	s_cbranch_vccz .LBB104_77
; %bb.26:                               ;   in Loop: Header=BB104_25 Depth=2
	s_add_u32 s8, s46, s68
	s_addc_u32 s9, s47, s69
	global_load_dwordx2 v[40:41], v3, s[8:9]
	s_waitcnt vmcnt(0)
	v_readfirstlane_b32 s70, v40
	v_readfirstlane_b32 s71, v41
	s_cbranch_execnz .LBB104_28
.LBB104_27:                             ;   in Loop: Header=BB104_25 Depth=2
	s_lshl_b64 s[8:9], s[6:7], 3
	s_add_u32 s8, s24, s8
	s_addc_u32 s9, s25, s9
	s_load_dwordx2 s[8:9], s[8:9], 0x0
	s_waitcnt lgkmcnt(0)
	s_sub_u32 s70, s8, s29
	s_subb_u32 s71, s9, 0
.LBB104_28:                             ;   in Loop: Header=BB104_25 Depth=2
	s_lshl_b64 s[6:7], s[6:7], 3
	s_add_u32 s6, s33, s6
	s_addc_u32 s7, s86, s7
	s_load_dwordx2 s[6:7], s[6:7], 0x0
	s_waitcnt lgkmcnt(0)
	s_sub_u32 s74, s6, s29
	s_subb_u32 s75, s7, 0
	v_pk_mov_b32 v[40:41], s[74:75], s[74:75] op_sel:[0,1]
	v_cmp_ge_i64_e32 vcc, s[70:71], v[40:41]
	s_cbranch_vccnz .LBB104_74
; %bb.29:                               ;   in Loop: Header=BB104_25 Depth=2
	v_mov_b32_e32 v56, s70
	v_mad_u64_u32 v[40:41], s[6:7], s62, v56, v[12:13]
	s_mul_i32 s6, s63, s70
	s_mul_i32 s7, s62, s71
	s_add_i32 s8, s7, s6
	v_add_u32_e32 v41, s8, v41
	v_pk_mov_b32 v[52:53], s[48:49], s[48:49] op_sel:[0,1]
	v_mul_lo_u32 v42, s38, v41
	v_mul_lo_u32 v43, s39, v40
	v_mad_u64_u32 v[40:41], s[6:7], s38, v40, v[52:53]
	v_add3_u32 v41, v43, v41, v42
	v_mad_u64_u32 v[42:43], s[6:7], s64, v56, v[20:21]
	s_mul_i32 s6, s65, s70
	s_mul_i32 s7, s64, s71
	s_add_i32 s9, s7, s6
	v_mad_u64_u32 v[44:45], s[6:7], s62, v56, v[22:23]
	v_mad_u64_u32 v[48:49], s[6:7], s62, v56, v[26:27]
	;; [unrolled: 1-line block ×3, first 2 shown]
	v_add_u32_e32 v45, s8, v45
	v_add_u32_e32 v49, s8, v49
	;; [unrolled: 1-line block ×3, first 2 shown]
	v_mul_lo_u32 v46, s38, v45
	v_mul_lo_u32 v47, s39, v44
	v_mad_u64_u32 v[44:45], s[6:7], s38, v44, v[52:53]
	v_mul_lo_u32 v50, s38, v49
	v_mul_lo_u32 v51, s39, v48
	v_mad_u64_u32 v[48:49], s[6:7], s38, v48, v[52:53]
	;; [unrolled: 3-line block ×3, first 2 shown]
	v_add3_u32 v45, v47, v45, v46
	v_mad_u64_u32 v[46:47], s[6:7], s64, v56, v[24:25]
	v_add3_u32 v49, v51, v49, v50
	v_mad_u64_u32 v[50:51], s[6:7], s64, v56, v[28:29]
	;; [unrolled: 2-line block ×3, first 2 shown]
	v_add_u32_e32 v43, s9, v43
	v_add_u32_e32 v47, s9, v47
	;; [unrolled: 1-line block ×4, first 2 shown]
	s_mov_b64 s[78:79], s[70:71]
.LBB104_30:                             ;   Parent Loop BB104_15 Depth=1
                                        ;     Parent Loop BB104_25 Depth=2
                                        ; =>    This Loop Header: Depth=3
                                        ;         Child Loop BB104_45 Depth 4
                                        ;         Child Loop BB104_41 Depth 4
	;; [unrolled: 1-line block ×8, first 2 shown]
	s_lshl_b64 s[6:7], s[70:71], 3
	s_add_u32 s6, s26, s6
	s_addc_u32 s7, s27, s7
	s_load_dwordx2 s[6:7], s[6:7], 0x0
	v_pk_mov_b32 v[56:57], s[14:15], s[14:15] op_sel:[0,1]
	v_pk_mov_b32 v[58:59], s[22:23], s[22:23] op_sel:[0,1]
	s_mov_b64 s[84:85], -1
                                        ; implicit-def: $sgpr76_sgpr77
                                        ; implicit-def: $sgpr82_sgpr83
	s_waitcnt lgkmcnt(0)
	s_sub_u32 s80, s6, s29
	s_subb_u32 s81, s7, 0
	v_cmp_ge_i64_e32 vcc, s[80:81], v[56:57]
	v_cmp_lt_i64_e64 s[8:9], s[80:81], v[58:59]
	s_and_b64 s[8:9], vcc, s[8:9]
	v_cmp_ge_i64_e64 s[6:7], s[80:81], v[58:59]
	s_andn2_b64 vcc, exec, s[8:9]
                                        ; implicit-def: $sgpr8_sgpr9
	s_cbranch_vccz .LBB104_34
; %bb.31:                               ;   in Loop: Header=BB104_30 Depth=3
	s_mov_b64 s[82:83], -1
	s_andn2_b64 vcc, exec, s[6:7]
	s_mov_b64 s[8:9], s[78:79]
	s_mov_b64 s[76:77], s[72:73]
	s_cbranch_vccnz .LBB104_33
; %bb.32:                               ;   in Loop: Header=BB104_30 Depth=3
	v_pk_mov_b32 v[56:57], s[72:73], s[72:73] op_sel:[0,1]
	v_cmp_lt_i64_e32 vcc, s[80:81], v[56:57]
	s_and_b64 s[6:7], vcc, exec
	s_cselect_b32 s77, s81, s73
	s_cselect_b32 s76, s80, s72
	s_mov_b64 s[82:83], 0
	s_mov_b64 s[8:9], s[70:71]
.LBB104_33:                             ;   in Loop: Header=BB104_30 Depth=3
	s_mov_b64 s[84:85], 0
.LBB104_34:                             ;   in Loop: Header=BB104_30 Depth=3
	s_andn2_b64 vcc, exec, s[84:85]
	s_cbranch_vccnz .LBB104_72
; %bb.35:                               ;   in Loop: Header=BB104_30 Depth=3
	s_sub_i32 s6, s80, s14
	v_mov_b32_e32 v56, s6
	v_lshl_add_u32 v72, s6, 10, v61
	ds_write_b8 v56, v71 offset:8192
	s_and_saveexec_b64 s[6:7], s[54:55]
	s_cbranch_execnz .LBB104_39
; %bb.36:                               ;   in Loop: Header=BB104_30 Depth=3
	s_or_b64 exec, exec, s[6:7]
	s_and_saveexec_b64 s[6:7], s[56:57]
	s_cbranch_execnz .LBB104_47
.LBB104_37:                             ;   in Loop: Header=BB104_30 Depth=3
	s_or_b64 exec, exec, s[6:7]
	s_and_saveexec_b64 s[6:7], s[58:59]
	s_cbranch_execnz .LBB104_55
.LBB104_38:                             ;   in Loop: Header=BB104_30 Depth=3
	s_or_b64 exec, exec, s[6:7]
	s_and_saveexec_b64 s[6:7], s[60:61]
	s_cbranch_execnz .LBB104_63
	s_branch .LBB104_71
.LBB104_39:                             ;   in Loop: Header=BB104_30 Depth=3
	s_andn2_b64 vcc, exec, s[50:51]
	s_cbranch_vccnz .LBB104_43
; %bb.40:                               ;   in Loop: Header=BB104_30 Depth=3
	v_mov_b32_e32 v73, 0
	v_pk_mov_b32 v[56:57], v[38:39], v[38:39] op_sel:[0,1]
	s_mov_b64 s[8:9], s[38:39]
	v_pk_mov_b32 v[58:59], v[40:41], v[40:41] op_sel:[0,1]
.LBB104_41:                             ;   Parent Loop BB104_15 Depth=1
                                        ;     Parent Loop BB104_25 Depth=2
                                        ;       Parent Loop BB104_30 Depth=3
                                        ; =>      This Inner Loop Header: Depth=4
	global_load_dword v74, v[56:57], off
	global_load_dword v75, v[58:59], off
	v_add_co_u32_e32 v58, vcc, 4, v58
	v_addc_co_u32_e32 v59, vcc, 0, v59, vcc
	s_add_u32 s8, s8, -1
	v_mov_b32_e32 v76, s63
	v_add_co_u32_e32 v56, vcc, s62, v56
	s_addc_u32 s9, s9, -1
	v_addc_co_u32_e32 v57, vcc, v57, v76, vcc
	s_cmp_lg_u64 s[8:9], 0
	s_waitcnt vmcnt(0)
	v_fmac_f32_e32 v73, v74, v75
	s_cbranch_scc1 .LBB104_41
; %bb.42:                               ;   in Loop: Header=BB104_30 Depth=3
	s_branch .LBB104_46
.LBB104_43:                             ;   in Loop: Header=BB104_30 Depth=3
                                        ; implicit-def: $vgpr73
	s_cbranch_execz .LBB104_46
; %bb.44:                               ;   in Loop: Header=BB104_30 Depth=3
	v_mov_b32_e32 v73, 0
	v_pk_mov_b32 v[56:57], v[42:43], v[42:43] op_sel:[0,1]
	s_mov_b64 s[8:9], s[38:39]
	v_pk_mov_b32 v[58:59], v[36:37], v[36:37] op_sel:[0,1]
.LBB104_45:                             ;   Parent Loop BB104_15 Depth=1
                                        ;     Parent Loop BB104_25 Depth=2
                                        ;       Parent Loop BB104_30 Depth=3
                                        ; =>      This Inner Loop Header: Depth=4
	global_load_dword v74, v[58:59], off
	global_load_dword v75, v[56:57], off
	v_add_co_u32_e32 v58, vcc, 4, v58
	v_addc_co_u32_e32 v59, vcc, 0, v59, vcc
	s_add_u32 s8, s8, -1
	v_mov_b32_e32 v76, s63
	v_add_co_u32_e32 v56, vcc, s62, v56
	s_addc_u32 s9, s9, -1
	v_addc_co_u32_e32 v57, vcc, v57, v76, vcc
	s_cmp_eq_u64 s[8:9], 0
	s_waitcnt vmcnt(0)
	v_fmac_f32_e32 v73, v74, v75
	s_cbranch_scc0 .LBB104_45
.LBB104_46:                             ;   in Loop: Header=BB104_30 Depth=3
	v_or_b32_e32 v56, v72, v2
	v_lshlrev_b32_e32 v56, 2, v56
	ds_read_b32 v57, v56
	s_waitcnt lgkmcnt(0)
	v_fmac_f32_e32 v57, v1, v73
	ds_write_b32 v56, v57
	s_or_b64 exec, exec, s[6:7]
	s_and_saveexec_b64 s[6:7], s[56:57]
	s_cbranch_execz .LBB104_37
.LBB104_47:                             ;   in Loop: Header=BB104_30 Depth=3
	s_andn2_b64 vcc, exec, s[50:51]
	s_cbranch_vccnz .LBB104_51
; %bb.48:                               ;   in Loop: Header=BB104_30 Depth=3
	v_mov_b32_e32 v73, 0
	v_pk_mov_b32 v[56:57], v[38:39], v[38:39] op_sel:[0,1]
	s_mov_b64 s[8:9], s[38:39]
	v_pk_mov_b32 v[58:59], v[44:45], v[44:45] op_sel:[0,1]
.LBB104_49:                             ;   Parent Loop BB104_15 Depth=1
                                        ;     Parent Loop BB104_25 Depth=2
                                        ;       Parent Loop BB104_30 Depth=3
                                        ; =>      This Inner Loop Header: Depth=4
	global_load_dword v74, v[56:57], off
	global_load_dword v75, v[58:59], off
	v_add_co_u32_e32 v58, vcc, 4, v58
	v_addc_co_u32_e32 v59, vcc, 0, v59, vcc
	s_add_u32 s8, s8, -1
	v_mov_b32_e32 v76, s63
	v_add_co_u32_e32 v56, vcc, s62, v56
	s_addc_u32 s9, s9, -1
	v_addc_co_u32_e32 v57, vcc, v57, v76, vcc
	s_cmp_eq_u64 s[8:9], 0
	s_waitcnt vmcnt(0)
	v_fmac_f32_e32 v73, v74, v75
	s_cbranch_scc0 .LBB104_49
; %bb.50:                               ;   in Loop: Header=BB104_30 Depth=3
	s_branch .LBB104_54
.LBB104_51:                             ;   in Loop: Header=BB104_30 Depth=3
                                        ; implicit-def: $vgpr73
	s_cbranch_execz .LBB104_54
; %bb.52:                               ;   in Loop: Header=BB104_30 Depth=3
	v_mov_b32_e32 v73, 0
	v_pk_mov_b32 v[56:57], v[46:47], v[46:47] op_sel:[0,1]
	s_mov_b64 s[8:9], s[38:39]
	v_pk_mov_b32 v[58:59], v[36:37], v[36:37] op_sel:[0,1]
.LBB104_53:                             ;   Parent Loop BB104_15 Depth=1
                                        ;     Parent Loop BB104_25 Depth=2
                                        ;       Parent Loop BB104_30 Depth=3
                                        ; =>      This Inner Loop Header: Depth=4
	global_load_dword v74, v[58:59], off
	global_load_dword v75, v[56:57], off
	v_add_co_u32_e32 v58, vcc, 4, v58
	v_addc_co_u32_e32 v59, vcc, 0, v59, vcc
	s_add_u32 s8, s8, -1
	v_mov_b32_e32 v76, s63
	v_add_co_u32_e32 v56, vcc, s62, v56
	s_addc_u32 s9, s9, -1
	v_addc_co_u32_e32 v57, vcc, v57, v76, vcc
	s_cmp_eq_u64 s[8:9], 0
	s_waitcnt vmcnt(0)
	v_fmac_f32_e32 v73, v74, v75
	s_cbranch_scc0 .LBB104_53
.LBB104_54:                             ;   in Loop: Header=BB104_30 Depth=3
	v_add_lshl_u32 v56, v72, v2, 2
	ds_read_b32 v57, v56 offset:32
	s_waitcnt lgkmcnt(0)
	v_fmac_f32_e32 v57, v1, v73
	ds_write_b32 v56, v57 offset:32
	s_or_b64 exec, exec, s[6:7]
	s_and_saveexec_b64 s[6:7], s[58:59]
	s_cbranch_execz .LBB104_38
.LBB104_55:                             ;   in Loop: Header=BB104_30 Depth=3
	s_andn2_b64 vcc, exec, s[50:51]
	s_cbranch_vccnz .LBB104_59
; %bb.56:                               ;   in Loop: Header=BB104_30 Depth=3
	v_mov_b32_e32 v73, 0
	v_pk_mov_b32 v[56:57], v[38:39], v[38:39] op_sel:[0,1]
	s_mov_b64 s[8:9], s[38:39]
	v_pk_mov_b32 v[58:59], v[48:49], v[48:49] op_sel:[0,1]
.LBB104_57:                             ;   Parent Loop BB104_15 Depth=1
                                        ;     Parent Loop BB104_25 Depth=2
                                        ;       Parent Loop BB104_30 Depth=3
                                        ; =>      This Inner Loop Header: Depth=4
	global_load_dword v74, v[56:57], off
	global_load_dword v75, v[58:59], off
	v_add_co_u32_e32 v58, vcc, 4, v58
	v_addc_co_u32_e32 v59, vcc, 0, v59, vcc
	s_add_u32 s8, s8, -1
	v_mov_b32_e32 v76, s63
	v_add_co_u32_e32 v56, vcc, s62, v56
	s_addc_u32 s9, s9, -1
	v_addc_co_u32_e32 v57, vcc, v57, v76, vcc
	s_cmp_eq_u64 s[8:9], 0
	s_waitcnt vmcnt(0)
	v_fmac_f32_e32 v73, v74, v75
	s_cbranch_scc0 .LBB104_57
; %bb.58:                               ;   in Loop: Header=BB104_30 Depth=3
	s_branch .LBB104_62
.LBB104_59:                             ;   in Loop: Header=BB104_30 Depth=3
                                        ; implicit-def: $vgpr73
	s_cbranch_execz .LBB104_62
; %bb.60:                               ;   in Loop: Header=BB104_30 Depth=3
	v_mov_b32_e32 v73, 0
	v_pk_mov_b32 v[56:57], v[50:51], v[50:51] op_sel:[0,1]
	s_mov_b64 s[8:9], s[38:39]
	v_pk_mov_b32 v[58:59], v[36:37], v[36:37] op_sel:[0,1]
.LBB104_61:                             ;   Parent Loop BB104_15 Depth=1
                                        ;     Parent Loop BB104_25 Depth=2
                                        ;       Parent Loop BB104_30 Depth=3
                                        ; =>      This Inner Loop Header: Depth=4
	global_load_dword v74, v[58:59], off
	global_load_dword v75, v[56:57], off
	v_add_co_u32_e32 v58, vcc, 4, v58
	v_addc_co_u32_e32 v59, vcc, 0, v59, vcc
	s_add_u32 s8, s8, -1
	v_mov_b32_e32 v76, s63
	v_add_co_u32_e32 v56, vcc, s62, v56
	s_addc_u32 s9, s9, -1
	v_addc_co_u32_e32 v57, vcc, v57, v76, vcc
	s_cmp_eq_u64 s[8:9], 0
	s_waitcnt vmcnt(0)
	v_fmac_f32_e32 v73, v74, v75
	s_cbranch_scc0 .LBB104_61
.LBB104_62:                             ;   in Loop: Header=BB104_30 Depth=3
	v_add_lshl_u32 v56, v72, v2, 2
	ds_read_b32 v57, v56 offset:64
	s_waitcnt lgkmcnt(0)
	v_fmac_f32_e32 v57, v1, v73
	ds_write_b32 v56, v57 offset:64
	s_or_b64 exec, exec, s[6:7]
	s_and_saveexec_b64 s[6:7], s[60:61]
	s_cbranch_execz .LBB104_71
.LBB104_63:                             ;   in Loop: Header=BB104_30 Depth=3
	s_andn2_b64 vcc, exec, s[50:51]
	s_cbranch_vccnz .LBB104_67
; %bb.64:                               ;   in Loop: Header=BB104_30 Depth=3
	v_mov_b32_e32 v73, 0
	v_pk_mov_b32 v[56:57], v[38:39], v[38:39] op_sel:[0,1]
	s_mov_b64 s[8:9], s[38:39]
	v_pk_mov_b32 v[58:59], v[52:53], v[52:53] op_sel:[0,1]
.LBB104_65:                             ;   Parent Loop BB104_15 Depth=1
                                        ;     Parent Loop BB104_25 Depth=2
                                        ;       Parent Loop BB104_30 Depth=3
                                        ; =>      This Inner Loop Header: Depth=4
	global_load_dword v74, v[56:57], off
	global_load_dword v75, v[58:59], off
	v_add_co_u32_e32 v58, vcc, 4, v58
	v_addc_co_u32_e32 v59, vcc, 0, v59, vcc
	s_add_u32 s8, s8, -1
	v_mov_b32_e32 v76, s63
	v_add_co_u32_e32 v56, vcc, s62, v56
	s_addc_u32 s9, s9, -1
	v_addc_co_u32_e32 v57, vcc, v57, v76, vcc
	s_cmp_eq_u64 s[8:9], 0
	s_waitcnt vmcnt(0)
	v_fmac_f32_e32 v73, v74, v75
	s_cbranch_scc0 .LBB104_65
; %bb.66:                               ;   in Loop: Header=BB104_30 Depth=3
	s_branch .LBB104_70
.LBB104_67:                             ;   in Loop: Header=BB104_30 Depth=3
                                        ; implicit-def: $vgpr73
	s_cbranch_execz .LBB104_70
; %bb.68:                               ;   in Loop: Header=BB104_30 Depth=3
	v_mov_b32_e32 v73, 0
	v_pk_mov_b32 v[56:57], v[54:55], v[54:55] op_sel:[0,1]
	s_mov_b64 s[8:9], s[38:39]
	v_pk_mov_b32 v[58:59], v[36:37], v[36:37] op_sel:[0,1]
.LBB104_69:                             ;   Parent Loop BB104_15 Depth=1
                                        ;     Parent Loop BB104_25 Depth=2
                                        ;       Parent Loop BB104_30 Depth=3
                                        ; =>      This Inner Loop Header: Depth=4
	global_load_dword v74, v[58:59], off
	global_load_dword v75, v[56:57], off
	v_add_co_u32_e32 v58, vcc, 4, v58
	v_addc_co_u32_e32 v59, vcc, 0, v59, vcc
	s_add_u32 s8, s8, -1
	v_mov_b32_e32 v76, s63
	v_add_co_u32_e32 v56, vcc, s62, v56
	s_addc_u32 s9, s9, -1
	v_addc_co_u32_e32 v57, vcc, v57, v76, vcc
	s_cmp_eq_u64 s[8:9], 0
	s_waitcnt vmcnt(0)
	v_fmac_f32_e32 v73, v74, v75
	s_cbranch_scc0 .LBB104_69
.LBB104_70:                             ;   in Loop: Header=BB104_30 Depth=3
	v_add_lshl_u32 v56, v72, v2, 2
	ds_read_b32 v57, v56 offset:96
	s_waitcnt lgkmcnt(0)
	v_fmac_f32_e32 v57, v1, v73
	ds_write_b32 v56, v57 offset:96
.LBB104_71:                             ;   in Loop: Header=BB104_30 Depth=3
	s_or_b64 exec, exec, s[6:7]
	s_mov_b64 s[82:83], -1
	s_mov_b64 s[8:9], s[78:79]
	s_mov_b64 s[76:77], s[72:73]
	s_waitcnt lgkmcnt(0)
	s_barrier
.LBB104_72:                             ;   in Loop: Header=BB104_30 Depth=3
	s_add_u32 s70, s70, 1
	s_addc_u32 s71, s71, 0
	v_pk_mov_b32 v[56:57], s[74:75], s[74:75] op_sel:[0,1]
	v_cmp_lt_i64_e32 vcc, s[70:71], v[56:57]
	s_and_b64 s[6:7], s[82:83], vcc
	v_mov_b32_e32 v56, s65
	v_add_co_u32_e32 v40, vcc, s64, v40
	v_addc_co_u32_e32 v41, vcc, v41, v56, vcc
	v_add_co_u32_e32 v42, vcc, s64, v42
	v_addc_co_u32_e32 v43, vcc, v43, v56, vcc
	;; [unrolled: 2-line block ×8, first 2 shown]
	s_and_b64 vcc, exec, s[6:7]
	s_cbranch_vccz .LBB104_75
; %bb.73:                               ;   in Loop: Header=BB104_30 Depth=3
	s_mov_b64 s[78:79], s[8:9]
	s_mov_b64 s[72:73], s[76:77]
	s_branch .LBB104_30
.LBB104_74:                             ;   in Loop: Header=BB104_25 Depth=2
	s_mov_b64 s[8:9], s[70:71]
	s_mov_b64 s[76:77], s[72:73]
.LBB104_75:                             ;   in Loop: Header=BB104_25 Depth=2
	s_add_u32 s6, s46, s68
	s_addc_u32 s7, s47, s69
	v_pk_mov_b32 v[40:41], s[8:9], s[8:9] op_sel:[0,1]
	global_store_dwordx2 v3, v[40:41], s[6:7]
	v_mov_b32_e32 v40, s65
	v_add_co_u32_e32 v38, vcc, s64, v38
	v_addc_co_u32_e32 v39, vcc, v39, v40, vcc
	s_add_u32 s66, s66, 1
	v_add_co_u32_e32 v36, vcc, s64, v36
	s_addc_u32 s67, s67, 0
	v_addc_co_u32_e32 v37, vcc, v37, v40, vcc
	v_pk_mov_b32 v[40:41], s[44:45], s[44:45] op_sel:[0,1]
	v_cmp_lt_i64_e32 vcc, s[66:67], v[40:41]
	s_cbranch_vccz .LBB104_78
; %bb.76:                               ;   in Loop: Header=BB104_25 Depth=2
	s_mov_b64 s[72:73], s[76:77]
	s_branch .LBB104_25
.LBB104_77:                             ;   in Loop: Header=BB104_25 Depth=2
                                        ; implicit-def: $sgpr70_sgpr71
	s_branch .LBB104_27
.LBB104_78:                             ;   in Loop: Header=BB104_15 Depth=1
	s_andn2_b64 vcc, exec, s[0:1]
	s_cbranch_vccnz .LBB104_94
; %bb.79:                               ;   in Loop: Header=BB104_15 Depth=1
	s_load_dwordx4 s[8:11], s[12:13], 0x0
	s_waitcnt lgkmcnt(0)
	v_pk_mov_b32 v[36:37], s[10:11], s[10:11] op_sel:[0,1]
	v_cmp_ge_i64_e32 vcc, s[8:9], v[36:37]
	s_cbranch_vccnz .LBB104_94
; %bb.80:                               ;   in Loop: Header=BB104_15 Depth=1
	s_sub_u32 s6, s10, s18
	s_subb_u32 s7, s11, 0
	s_sub_u32 s68, s8, s18
	v_mov_b32_e32 v44, s68
	s_subb_u32 s69, s9, 0
	s_lshl_b64 s[10:11], s[8:9], 3
	v_mad_u64_u32 v[36:37], s[66:67], s62, v44, v[14:15]
	s_add_u32 s10, s19, s10
	s_mul_i32 s66, s63, s68
	s_mul_i32 s67, s62, s69
	s_addc_u32 s11, s89, s11
	s_add_i32 s68, s67, s66
	v_add_u32_e32 v37, s68, v37
	v_mul_lo_u32 v38, s38, v37
	v_mul_lo_u32 v39, s39, v36
	v_mad_u64_u32 v[36:37], s[66:67], s38, v36, v[12:13]
	v_add3_u32 v37, v39, v37, v38
	v_mad_u64_u32 v[38:39], s[66:67], s62, v44, v[12:13]
	v_add_u32_e32 v39, s68, v39
	v_mul_lo_u32 v40, s38, v39
	v_mul_lo_u32 v41, s39, v38
	v_mad_u64_u32 v[38:39], s[66:67], s38, v38, v[14:15]
	v_add3_u32 v39, v41, v39, v40
	v_mad_u64_u32 v[40:41], s[66:67], s62, v44, v[22:23]
	;; [unrolled: 6-line block ×4, first 2 shown]
	v_add_u32_e32 v45, s68, v45
	v_mul_lo_u32 v46, s38, v45
	v_mul_lo_u32 v47, s39, v44
	v_mad_u64_u32 v[44:45], s[66:67], s38, v44, v[14:15]
	s_add_u32 s8, s31, s8
	v_add3_u32 v45, v47, v45, v46
	s_addc_u32 s9, s90, s9
	s_mov_b64 s[66:67], s[16:17]
	s_branch .LBB104_83
.LBB104_81:                             ;   in Loop: Header=BB104_83 Depth=2
	s_or_b64 exec, exec, s[68:69]
	s_mov_b64 s[70:71], -1
	s_mov_b64 s[68:69], s[76:77]
	s_waitcnt lgkmcnt(0)
	s_barrier
.LBB104_82:                             ;   in Loop: Header=BB104_83 Depth=2
	v_pk_mov_b32 v[46:47], s[6:7], s[6:7] op_sel:[0,1]
	v_cmp_lt_i64_e32 vcc, s[8:9], v[46:47]
	s_and_b64 s[70:71], s[70:71], vcc
	s_add_u32 s10, s10, 8
	s_addc_u32 s11, s11, 0
	s_add_u32 s66, s66, s64
	s_addc_u32 s67, s67, s65
	;; [unrolled: 2-line block ×3, first 2 shown]
	s_mov_b64 s[76:77], s[68:69]
	s_and_b64 vcc, exec, s[70:71]
	s_cbranch_vccz .LBB104_94
.LBB104_83:                             ;   Parent Loop BB104_15 Depth=1
                                        ; =>  This Inner Loop Header: Depth=2
	s_load_dwordx2 s[68:69], s[10:11], 0x0
	v_pk_mov_b32 v[46:47], s[14:15], s[14:15] op_sel:[0,1]
	v_pk_mov_b32 v[48:49], s[22:23], s[22:23] op_sel:[0,1]
	s_mov_b64 s[74:75], -1
	s_waitcnt lgkmcnt(0)
	s_sub_u32 s72, s68, s18
	s_subb_u32 s73, s69, 0
	v_cmp_ge_i64_e32 vcc, s[72:73], v[46:47]
	v_cmp_lt_i64_e64 s[70:71], s[72:73], v[48:49]
	s_and_b64 s[68:69], vcc, s[70:71]
	s_andn2_b64 vcc, exec, s[68:69]
                                        ; implicit-def: $sgpr68_sgpr69
	s_cbranch_vccz .LBB104_85
; %bb.84:                               ;   in Loop: Header=BB104_83 Depth=2
	v_pk_mov_b32 v[46:47], s[76:77], s[76:77] op_sel:[0,1]
	v_cmp_lt_i64_e32 vcc, s[72:73], v[46:47]
	s_and_b64 s[68:69], vcc, exec
	s_cselect_b32 s74, s72, s76
	s_cselect_b32 s73, s73, s77
	s_and_b64 s[68:69], s[70:71], exec
	s_cselect_b32 s69, s77, s73
	s_cselect_b32 s68, s76, s74
	s_mov_b64 s[74:75], 0
.LBB104_85:                             ;   in Loop: Header=BB104_83 Depth=2
	s_andn2_b64 vcc, exec, s[74:75]
	s_cbranch_vccnz .LBB104_82
; %bb.86:                               ;   in Loop: Header=BB104_83 Depth=2
	s_sub_i32 s68, s72, s14
	v_mov_b32_e32 v46, s68
	ds_write_b8 v46, v71 offset:8192
	v_lshl_add_u32 v46, s68, 10, v61
	s_and_saveexec_b64 s[68:69], s[54:55]
	s_cbranch_execnz .LBB104_90
; %bb.87:                               ;   in Loop: Header=BB104_83 Depth=2
	s_or_b64 exec, exec, s[68:69]
	v_add_lshl_u32 v46, v46, v2, 2
	s_and_saveexec_b64 s[68:69], s[56:57]
	s_cbranch_execnz .LBB104_91
.LBB104_88:                             ;   in Loop: Header=BB104_83 Depth=2
	s_or_b64 exec, exec, s[68:69]
	s_and_saveexec_b64 s[68:69], s[58:59]
	s_cbranch_execnz .LBB104_92
.LBB104_89:                             ;   in Loop: Header=BB104_83 Depth=2
	s_or_b64 exec, exec, s[68:69]
	s_and_saveexec_b64 s[68:69], s[60:61]
	s_cbranch_execz .LBB104_81
	s_branch .LBB104_93
.LBB104_90:                             ;   in Loop: Header=BB104_83 Depth=2
	v_cndmask_b32_e64 v48, v38, v36, s[4:5]
	v_cndmask_b32_e64 v47, v39, v37, s[4:5]
	v_mov_b32_e32 v49, s67
	v_add_co_u32_e32 v48, vcc, s66, v48
	v_addc_co_u32_e32 v49, vcc, v49, v47, vcc
	global_load_dword v47, v[48:49], off
	v_or_b32_e32 v48, v46, v2
	v_lshlrev_b32_e32 v48, 2, v48
	ds_read_b32 v49, v48
	s_waitcnt vmcnt(0) lgkmcnt(0)
	v_fmac_f32_e32 v49, v60, v47
	ds_write_b32 v48, v49
	s_or_b64 exec, exec, s[68:69]
	v_add_lshl_u32 v46, v46, v2, 2
	s_and_saveexec_b64 s[68:69], s[56:57]
	s_cbranch_execz .LBB104_88
.LBB104_91:                             ;   in Loop: Header=BB104_83 Depth=2
	v_mov_b32_e32 v47, s67
	v_add_co_u32_e32 v48, vcc, s66, v36
	v_addc_co_u32_e32 v49, vcc, v47, v37, vcc
	v_add_co_u32_e32 v48, vcc, 32, v48
	v_addc_co_u32_e32 v49, vcc, 0, v49, vcc
	;; [unrolled: 2-line block ×3, first 2 shown]
	v_cndmask_b32_e64 v49, v47, v49, s[4:5]
	v_cndmask_b32_e64 v48, v50, v48, s[4:5]
	global_load_dword v47, v[48:49], off
	ds_read_b32 v48, v46 offset:32
	s_waitcnt vmcnt(0) lgkmcnt(0)
	v_fmac_f32_e32 v48, v60, v47
	ds_write_b32 v46, v48 offset:32
	s_or_b64 exec, exec, s[68:69]
	s_and_saveexec_b64 s[68:69], s[58:59]
	s_cbranch_execz .LBB104_89
.LBB104_92:                             ;   in Loop: Header=BB104_83 Depth=2
	v_mov_b32_e32 v47, s67
	v_add_co_u32_e32 v48, vcc, s66, v36
	v_addc_co_u32_e32 v49, vcc, v47, v37, vcc
	v_add_co_u32_e32 v48, vcc, 64, v48
	v_addc_co_u32_e32 v49, vcc, 0, v49, vcc
	;; [unrolled: 2-line block ×3, first 2 shown]
	v_cndmask_b32_e64 v49, v47, v49, s[4:5]
	v_cndmask_b32_e64 v48, v50, v48, s[4:5]
	global_load_dword v47, v[48:49], off
	ds_read_b32 v48, v46 offset:64
	s_waitcnt vmcnt(0) lgkmcnt(0)
	v_fmac_f32_e32 v48, v60, v47
	ds_write_b32 v46, v48 offset:64
	s_or_b64 exec, exec, s[68:69]
	s_and_saveexec_b64 s[68:69], s[60:61]
	s_cbranch_execz .LBB104_81
.LBB104_93:                             ;   in Loop: Header=BB104_83 Depth=2
	v_mov_b32_e32 v47, s67
	v_add_co_u32_e32 v48, vcc, s66, v36
	v_addc_co_u32_e32 v49, vcc, v47, v37, vcc
	v_add_co_u32_e32 v48, vcc, 0x60, v48
	v_addc_co_u32_e32 v49, vcc, 0, v49, vcc
	;; [unrolled: 2-line block ×3, first 2 shown]
	v_cndmask_b32_e64 v49, v47, v49, s[4:5]
	v_cndmask_b32_e64 v48, v50, v48, s[4:5]
	global_load_dword v47, v[48:49], off
	ds_read_b32 v48, v46 offset:96
	s_waitcnt vmcnt(0) lgkmcnt(0)
	v_fmac_f32_e32 v48, v60, v47
	ds_write_b32 v46, v48 offset:96
	s_branch .LBB104_81
.LBB104_94:                             ;   in Loop: Header=BB104_15 Depth=1
	s_barrier
	ds_read_u8 v36, v3 offset:8192
	s_add_u32 s6, s14, s30
	s_addc_u32 s7, s15, 0
	s_mov_b32 s10, 0
	s_waitcnt lgkmcnt(0)
	v_cmp_eq_u32_e32 vcc, 0, v36
	s_cbranch_vccnz .LBB104_101
; %bb.95:                               ;   in Loop: Header=BB104_15 Depth=1
	v_lshlrev_b64 v[36:37], 3, v[34:35]
	v_mov_b32_e32 v38, s41
	v_add_co_u32_e32 v36, vcc, s40, v36
	v_addc_co_u32_e32 v37, vcc, v38, v37, vcc
	v_pk_mov_b32 v[38:39], s[6:7], s[6:7] op_sel:[0,1]
	global_store_dwordx2 v[36:37], v[38:39], off
	v_mul_lo_u32 v38, v35, s52
	v_mul_lo_u32 v39, v34, s53
	v_mad_u64_u32 v[36:37], s[8:9], v34, s52, 0
	v_add3_u32 v37, v37, v39, v38
	v_lshlrev_b64 v[38:39], 2, v[36:37]
	v_add_co_u32_e32 v36, vcc, v62, v38
	v_addc_co_u32_e32 v37, vcc, v63, v39, vcc
	v_add_co_u32_e32 v38, vcc, v64, v38
	v_addc_co_u32_e32 v39, vcc, v65, v39, vcc
	s_and_saveexec_b64 s[8:9], s[54:55]
	s_cbranch_execnz .LBB104_108
; %bb.96:                               ;   in Loop: Header=BB104_15 Depth=1
	s_or_b64 exec, exec, s[8:9]
	s_and_saveexec_b64 s[8:9], s[56:57]
	s_cbranch_execnz .LBB104_109
.LBB104_97:                             ;   in Loop: Header=BB104_15 Depth=1
	s_or_b64 exec, exec, s[8:9]
	s_and_saveexec_b64 s[8:9], s[58:59]
	s_cbranch_execnz .LBB104_110
.LBB104_98:                             ;   in Loop: Header=BB104_15 Depth=1
	s_or_b64 exec, exec, s[8:9]
	s_and_saveexec_b64 s[8:9], s[60:61]
	s_cbranch_execz .LBB104_100
.LBB104_99:                             ;   in Loop: Header=BB104_15 Depth=1
	v_lshlrev_b32_e32 v41, 2, v2
	v_add_co_u32_e32 v38, vcc, v38, v41
	v_addc_co_u32_e32 v39, vcc, 0, v39, vcc
	ds_read_b32 v40, v66 offset:96
	v_add_co_u32_e32 v41, vcc, 0x60, v38
	v_addc_co_u32_e32 v42, vcc, 0, v39, vcc
	v_lshlrev_b64 v[38:39], 2, v[10:11]
	v_add_co_u32_e32 v36, vcc, v36, v38
	v_addc_co_u32_e32 v37, vcc, v37, v39, vcc
	v_cndmask_b32_e64 v37, v37, v42, s[4:5]
	v_cndmask_b32_e64 v36, v36, v41, s[4:5]
	s_waitcnt lgkmcnt(0)
	global_store_dword v[36:37], v40, off
.LBB104_100:                            ;   in Loop: Header=BB104_15 Depth=1
	s_or_b64 exec, exec, s[8:9]
	s_mov_b32 s10, 1
.LBB104_101:                            ;   in Loop: Header=BB104_15 Depth=1
	ds_read_u8 v36, v3 offset:8193
	s_waitcnt lgkmcnt(0)
	v_readfirstlane_b32 s8, v36
	s_bitcmp1_b32 s8, 0
	s_cselect_b64 s[8:9], -1, 0
	s_and_b64 vcc, exec, s[8:9]
	s_cbranch_vccnz .LBB104_103
; %bb.102:                              ;   in Loop: Header=BB104_15 Depth=1
	v_add_co_u32_e32 v36, vcc, s10, v34
	v_addc_co_u32_e32 v37, vcc, 0, v35, vcc
	s_cbranch_execnz .LBB104_14
	s_branch .LBB104_104
.LBB104_103:                            ;   in Loop: Header=BB104_15 Depth=1
                                        ; implicit-def: $vgpr36_vgpr37
.LBB104_104:                            ;   in Loop: Header=BB104_15 Depth=1
	s_add_i32 s8, s10, 1
	v_add_co_u32_e32 v36, vcc, s8, v34
	v_addc_co_u32_e32 v37, vcc, 0, v35, vcc
	v_add_co_u32_e32 v40, vcc, -1, v36
	v_addc_co_u32_e32 v41, vcc, -1, v37, vcc
	s_add_u32 s6, s6, 1
	v_lshlrev_b64 v[34:35], 3, v[36:37]
	s_addc_u32 s7, s7, 0
	v_mov_b32_e32 v38, s88
	v_add_co_u32_e32 v34, vcc, s87, v34
	v_addc_co_u32_e32 v35, vcc, v38, v35, vcc
	v_pk_mov_b32 v[38:39], s[6:7], s[6:7] op_sel:[0,1]
	global_store_dwordx2 v[34:35], v[38:39], off
	v_mul_lo_u32 v38, v41, s52
	v_mul_lo_u32 v39, v40, s53
	v_mad_u64_u32 v[34:35], s[6:7], v40, s52, 0
	v_add3_u32 v35, v35, v39, v38
	v_lshlrev_b64 v[34:35], 2, v[34:35]
	v_add_co_u32_e32 v38, vcc, v62, v34
	v_addc_co_u32_e32 v39, vcc, v63, v35, vcc
	v_add_co_u32_e32 v34, vcc, v64, v34
	v_addc_co_u32_e32 v35, vcc, v65, v35, vcc
	s_and_saveexec_b64 s[6:7], s[54:55]
	s_cbranch_execnz .LBB104_111
; %bb.105:                              ;   in Loop: Header=BB104_15 Depth=1
	s_or_b64 exec, exec, s[6:7]
	s_and_saveexec_b64 s[6:7], s[56:57]
	s_cbranch_execnz .LBB104_112
.LBB104_106:                            ;   in Loop: Header=BB104_15 Depth=1
	s_or_b64 exec, exec, s[6:7]
	s_and_saveexec_b64 s[6:7], s[58:59]
	s_cbranch_execnz .LBB104_113
.LBB104_107:                            ;   in Loop: Header=BB104_15 Depth=1
	s_or_b64 exec, exec, s[6:7]
	s_and_saveexec_b64 s[6:7], s[60:61]
	s_cbranch_execz .LBB104_13
	s_branch .LBB104_114
.LBB104_108:                            ;   in Loop: Header=BB104_15 Depth=1
	v_lshlrev_b64 v[40:41], 2, v[4:5]
	ds_read_b32 v42, v66
	v_add_co_u32_e32 v40, vcc, v36, v40
	v_addc_co_u32_e32 v41, vcc, v37, v41, vcc
	v_lshlrev_b32_e32 v43, 2, v2
	v_add_co_u32_e32 v43, vcc, v38, v43
	v_addc_co_u32_e32 v44, vcc, 0, v39, vcc
	v_cndmask_b32_e64 v41, v41, v44, s[4:5]
	v_cndmask_b32_e64 v40, v40, v43, s[4:5]
	s_waitcnt lgkmcnt(0)
	global_store_dword v[40:41], v42, off
	s_or_b64 exec, exec, s[8:9]
	s_and_saveexec_b64 s[8:9], s[56:57]
	s_cbranch_execz .LBB104_97
.LBB104_109:                            ;   in Loop: Header=BB104_15 Depth=1
	v_lshlrev_b32_e32 v40, 2, v2
	v_add_co_u32_e32 v40, vcc, v38, v40
	v_addc_co_u32_e32 v41, vcc, 0, v39, vcc
	ds_read_b32 v42, v66 offset:32
	v_add_co_u32_e32 v43, vcc, 32, v40
	v_addc_co_u32_e32 v44, vcc, 0, v41, vcc
	v_lshlrev_b64 v[40:41], 2, v[6:7]
	v_add_co_u32_e32 v40, vcc, v36, v40
	v_addc_co_u32_e32 v41, vcc, v37, v41, vcc
	v_cndmask_b32_e64 v41, v41, v44, s[4:5]
	v_cndmask_b32_e64 v40, v40, v43, s[4:5]
	s_waitcnt lgkmcnt(0)
	global_store_dword v[40:41], v42, off
	s_or_b64 exec, exec, s[8:9]
	s_and_saveexec_b64 s[8:9], s[58:59]
	s_cbranch_execz .LBB104_98
.LBB104_110:                            ;   in Loop: Header=BB104_15 Depth=1
	v_lshlrev_b32_e32 v40, 2, v2
	v_add_co_u32_e32 v40, vcc, v38, v40
	v_addc_co_u32_e32 v41, vcc, 0, v39, vcc
	ds_read_b32 v42, v66 offset:64
	v_add_co_u32_e32 v43, vcc, 64, v40
	v_addc_co_u32_e32 v44, vcc, 0, v41, vcc
	v_lshlrev_b64 v[40:41], 2, v[8:9]
	v_add_co_u32_e32 v40, vcc, v36, v40
	v_addc_co_u32_e32 v41, vcc, v37, v41, vcc
	v_cndmask_b32_e64 v41, v41, v44, s[4:5]
	v_cndmask_b32_e64 v40, v40, v43, s[4:5]
	s_waitcnt lgkmcnt(0)
	global_store_dword v[40:41], v42, off
	s_or_b64 exec, exec, s[8:9]
	s_and_saveexec_b64 s[8:9], s[60:61]
	s_cbranch_execnz .LBB104_99
	s_branch .LBB104_100
.LBB104_111:                            ;   in Loop: Header=BB104_15 Depth=1
	v_lshlrev_b32_e32 v40, 2, v2
	ds_read_b32 v42, v66 offset:4096
	v_add_co_u32_e32 v43, vcc, v34, v40
	v_addc_co_u32_e32 v44, vcc, 0, v35, vcc
	v_lshlrev_b64 v[40:41], 2, v[4:5]
	v_add_co_u32_e32 v40, vcc, v38, v40
	v_addc_co_u32_e32 v41, vcc, v39, v41, vcc
	v_cndmask_b32_e64 v41, v41, v44, s[4:5]
	v_cndmask_b32_e64 v40, v40, v43, s[4:5]
	s_waitcnt lgkmcnt(0)
	global_store_dword v[40:41], v42, off
	s_or_b64 exec, exec, s[6:7]
	s_and_saveexec_b64 s[6:7], s[56:57]
	s_cbranch_execz .LBB104_106
.LBB104_112:                            ;   in Loop: Header=BB104_15 Depth=1
	v_lshlrev_b32_e32 v40, 2, v2
	v_add_co_u32_e32 v40, vcc, v34, v40
	v_addc_co_u32_e32 v41, vcc, 0, v35, vcc
	ds_read_b32 v42, v67 offset:4096
	v_add_co_u32_e32 v43, vcc, 32, v40
	v_addc_co_u32_e32 v44, vcc, 0, v41, vcc
	v_lshlrev_b64 v[40:41], 2, v[6:7]
	v_add_co_u32_e32 v40, vcc, v38, v40
	v_addc_co_u32_e32 v41, vcc, v39, v41, vcc
	v_cndmask_b32_e64 v41, v41, v44, s[4:5]
	v_cndmask_b32_e64 v40, v40, v43, s[4:5]
	s_waitcnt lgkmcnt(0)
	global_store_dword v[40:41], v42, off
	s_or_b64 exec, exec, s[6:7]
	s_and_saveexec_b64 s[6:7], s[58:59]
	s_cbranch_execz .LBB104_107
.LBB104_113:                            ;   in Loop: Header=BB104_15 Depth=1
	v_lshlrev_b32_e32 v40, 2, v2
	v_add_co_u32_e32 v40, vcc, v34, v40
	v_addc_co_u32_e32 v41, vcc, 0, v35, vcc
	ds_read_b32 v42, v68 offset:4096
	v_add_co_u32_e32 v43, vcc, 64, v40
	v_addc_co_u32_e32 v44, vcc, 0, v41, vcc
	v_lshlrev_b64 v[40:41], 2, v[8:9]
	v_add_co_u32_e32 v40, vcc, v38, v40
	v_addc_co_u32_e32 v41, vcc, v39, v41, vcc
	v_cndmask_b32_e64 v41, v41, v44, s[4:5]
	v_cndmask_b32_e64 v40, v40, v43, s[4:5]
	s_waitcnt lgkmcnt(0)
	global_store_dword v[40:41], v42, off
	s_or_b64 exec, exec, s[6:7]
	s_and_saveexec_b64 s[6:7], s[60:61]
	s_cbranch_execz .LBB104_13
.LBB104_114:                            ;   in Loop: Header=BB104_15 Depth=1
	ds_read_b32 v40, v69 offset:4096
	s_andn2_b64 vcc, exec, s[50:51]
	s_cbranch_vccnz .LBB104_116
; %bb.115:                              ;   in Loop: Header=BB104_15 Depth=1
	v_lshlrev_b64 v[42:43], 2, v[10:11]
	v_add_co_u32_e32 v38, vcc, v38, v42
	v_addc_co_u32_e32 v39, vcc, v39, v43, vcc
	s_waitcnt lgkmcnt(0)
	global_store_dword v[38:39], v40, off
	s_cbranch_execnz .LBB104_13
	s_branch .LBB104_117
.LBB104_116:                            ;   in Loop: Header=BB104_15 Depth=1
.LBB104_117:                            ;   in Loop: Header=BB104_15 Depth=1
	v_lshlrev_b32_e32 v38, 2, v2
	v_add_co_u32_e32 v34, vcc, v34, v38
	v_addc_co_u32_e32 v35, vcc, 0, v35, vcc
	s_waitcnt lgkmcnt(0)
	global_store_dword v[34:35], v40, off offset:96
	s_branch .LBB104_13
.LBB104_118:
	s_endpgm
	.section	.rodata,"a",@progbits
	.p2align	6, 0x0
	.amdhsa_kernel _ZN9rocsparseL31bsrgemm_block_per_row_multipassILj256ELj2ELj32EllfEEv20rocsparse_direction_T3_S2_PKS2_S4_NS_24const_host_device_scalarIT4_EEPKT2_S4_PKS6_SA_S4_SC_S7_SA_S4_SC_SA_PS2_PS6_PS8_21rocsparse_index_base_SG_SG_SG_bbb
		.amdhsa_group_segment_fixed_size 8196
		.amdhsa_private_segment_fixed_size 0
		.amdhsa_kernarg_size 180
		.amdhsa_user_sgpr_count 6
		.amdhsa_user_sgpr_private_segment_buffer 1
		.amdhsa_user_sgpr_dispatch_ptr 0
		.amdhsa_user_sgpr_queue_ptr 0
		.amdhsa_user_sgpr_kernarg_segment_ptr 1
		.amdhsa_user_sgpr_dispatch_id 0
		.amdhsa_user_sgpr_flat_scratch_init 0
		.amdhsa_user_sgpr_kernarg_preload_length 0
		.amdhsa_user_sgpr_kernarg_preload_offset 0
		.amdhsa_user_sgpr_private_segment_size 0
		.amdhsa_uses_dynamic_stack 0
		.amdhsa_system_sgpr_private_segment_wavefront_offset 0
		.amdhsa_system_sgpr_workgroup_id_x 1
		.amdhsa_system_sgpr_workgroup_id_y 0
		.amdhsa_system_sgpr_workgroup_id_z 0
		.amdhsa_system_sgpr_workgroup_info 0
		.amdhsa_system_vgpr_workitem_id 0
		.amdhsa_next_free_vgpr 77
		.amdhsa_next_free_sgpr 91
		.amdhsa_accum_offset 80
		.amdhsa_reserve_vcc 1
		.amdhsa_reserve_flat_scratch 0
		.amdhsa_float_round_mode_32 0
		.amdhsa_float_round_mode_16_64 0
		.amdhsa_float_denorm_mode_32 3
		.amdhsa_float_denorm_mode_16_64 3
		.amdhsa_dx10_clamp 1
		.amdhsa_ieee_mode 1
		.amdhsa_fp16_overflow 0
		.amdhsa_tg_split 0
		.amdhsa_exception_fp_ieee_invalid_op 0
		.amdhsa_exception_fp_denorm_src 0
		.amdhsa_exception_fp_ieee_div_zero 0
		.amdhsa_exception_fp_ieee_overflow 0
		.amdhsa_exception_fp_ieee_underflow 0
		.amdhsa_exception_fp_ieee_inexact 0
		.amdhsa_exception_int_div_zero 0
	.end_amdhsa_kernel
	.section	.text._ZN9rocsparseL31bsrgemm_block_per_row_multipassILj256ELj2ELj32EllfEEv20rocsparse_direction_T3_S2_PKS2_S4_NS_24const_host_device_scalarIT4_EEPKT2_S4_PKS6_SA_S4_SC_S7_SA_S4_SC_SA_PS2_PS6_PS8_21rocsparse_index_base_SG_SG_SG_bbb,"axG",@progbits,_ZN9rocsparseL31bsrgemm_block_per_row_multipassILj256ELj2ELj32EllfEEv20rocsparse_direction_T3_S2_PKS2_S4_NS_24const_host_device_scalarIT4_EEPKT2_S4_PKS6_SA_S4_SC_S7_SA_S4_SC_SA_PS2_PS6_PS8_21rocsparse_index_base_SG_SG_SG_bbb,comdat
.Lfunc_end104:
	.size	_ZN9rocsparseL31bsrgemm_block_per_row_multipassILj256ELj2ELj32EllfEEv20rocsparse_direction_T3_S2_PKS2_S4_NS_24const_host_device_scalarIT4_EEPKT2_S4_PKS6_SA_S4_SC_S7_SA_S4_SC_SA_PS2_PS6_PS8_21rocsparse_index_base_SG_SG_SG_bbb, .Lfunc_end104-_ZN9rocsparseL31bsrgemm_block_per_row_multipassILj256ELj2ELj32EllfEEv20rocsparse_direction_T3_S2_PKS2_S4_NS_24const_host_device_scalarIT4_EEPKT2_S4_PKS6_SA_S4_SC_S7_SA_S4_SC_SA_PS2_PS6_PS8_21rocsparse_index_base_SG_SG_SG_bbb
                                        ; -- End function
	.section	.AMDGPU.csdata,"",@progbits
; Kernel info:
; codeLenInByte = 5156
; NumSgprs: 95
; NumVgprs: 77
; NumAgprs: 0
; TotalNumVgprs: 77
; ScratchSize: 0
; MemoryBound: 1
; FloatMode: 240
; IeeeMode: 1
; LDSByteSize: 8196 bytes/workgroup (compile time only)
; SGPRBlocks: 11
; VGPRBlocks: 9
; NumSGPRsForWavesPerEU: 95
; NumVGPRsForWavesPerEU: 77
; AccumOffset: 80
; Occupancy: 6
; WaveLimiterHint : 1
; COMPUTE_PGM_RSRC2:SCRATCH_EN: 0
; COMPUTE_PGM_RSRC2:USER_SGPR: 6
; COMPUTE_PGM_RSRC2:TRAP_HANDLER: 0
; COMPUTE_PGM_RSRC2:TGID_X_EN: 1
; COMPUTE_PGM_RSRC2:TGID_Y_EN: 0
; COMPUTE_PGM_RSRC2:TGID_Z_EN: 0
; COMPUTE_PGM_RSRC2:TIDIG_COMP_CNT: 0
; COMPUTE_PGM_RSRC3_GFX90A:ACCUM_OFFSET: 19
; COMPUTE_PGM_RSRC3_GFX90A:TG_SPLIT: 0
	.section	.text._ZN9rocsparseL26bsrgemm_group_reduce_part2ILj256ELj8ELj2EdllEEvT4_PKT3_PS1_Pi,"axG",@progbits,_ZN9rocsparseL26bsrgemm_group_reduce_part2ILj256ELj8ELj2EdllEEvT4_PKT3_PS1_Pi,comdat
	.globl	_ZN9rocsparseL26bsrgemm_group_reduce_part2ILj256ELj8ELj2EdllEEvT4_PKT3_PS1_Pi ; -- Begin function _ZN9rocsparseL26bsrgemm_group_reduce_part2ILj256ELj8ELj2EdllEEvT4_PKT3_PS1_Pi
	.p2align	8
	.type	_ZN9rocsparseL26bsrgemm_group_reduce_part2ILj256ELj8ELj2EdllEEvT4_PKT3_PS1_Pi,@function
_ZN9rocsparseL26bsrgemm_group_reduce_part2ILj256ELj8ELj2EdllEEvT4_PKT3_PS1_Pi: ; @_ZN9rocsparseL26bsrgemm_group_reduce_part2ILj256ELj8ELj2EdllEEvT4_PKT3_PS1_Pi
; %bb.0:
	s_load_dwordx2 s[10:11], s[4:5], 0x0
	s_load_dwordx2 s[8:9], s[4:5], 0x10
	s_mov_b32 s1, 0
	s_mov_b32 s2, s1
	;; [unrolled: 1-line block ×3, first 2 shown]
	v_lshl_or_b32 v2, s6, 8, v0
	s_mov_b32 s0, s1
	v_pk_mov_b32 v[6:7], s[2:3], s[2:3] op_sel:[0,1]
	v_mov_b32_e32 v3, 0
	v_lshlrev_b32_e32 v1, 6, v0
	v_pk_mov_b32 v[4:5], s[0:1], s[0:1] op_sel:[0,1]
	s_waitcnt lgkmcnt(0)
	v_cmp_gt_i64_e32 vcc, s[10:11], v[2:3]
	ds_write_b128 v1, v[4:7]
	ds_write_b128 v1, v[4:7] offset:16
	ds_write_b128 v1, v[4:7] offset:32
	;; [unrolled: 1-line block ×3, first 2 shown]
	s_waitcnt lgkmcnt(0)
	s_and_saveexec_b64 s[2:3], vcc
	s_cbranch_execz .LBB105_31
; %bb.1:
	s_load_dword s0, s[4:5], 0x20
	s_load_dwordx2 s[12:13], s[4:5], 0x18
	s_load_dwordx2 s[14:15], s[4:5], 0x8
	v_lshlrev_b64 v[4:5], 2, v[2:3]
	s_mov_b64 s[16:17], 0x80
	s_waitcnt lgkmcnt(0)
	s_lshl_b32 s0, s0, 8
	v_mov_b32_e32 v6, s13
	v_add_co_u32_e32 v4, vcc, s12, v4
	v_addc_co_u32_e32 v5, vcc, v6, v5, vcc
	v_lshlrev_b64 v[6:7], 3, v[2:3]
	s_lshl_b64 s[4:5], s[0:1], 2
	v_mov_b32_e32 v8, s15
	v_add_co_u32_e32 v6, vcc, s14, v6
	s_lshl_b64 s[12:13], s[0:1], 3
	v_addc_co_u32_e32 v7, vcc, v8, v7, vcc
	s_mov_b64 s[14:15], 0
	s_mov_b64 s[18:19], 0x100
	;; [unrolled: 1-line block ×3, first 2 shown]
	v_mov_b32_e32 v12, 7
	v_mov_b32_e32 v13, 6
	;; [unrolled: 1-line block ×10, first 2 shown]
	v_pk_mov_b32 v[8:9], v[2:3], v[2:3] op_sel:[0,1]
	s_branch .LBB105_3
.LBB105_2:                              ;   in Loop: Header=BB105_3 Depth=1
	s_or_b64 exec, exec, s[22:23]
	v_add_co_u32_e32 v8, vcc, s0, v8
	v_addc_co_u32_e32 v9, vcc, v9, v19, vcc
	v_add_co_u32_e32 v4, vcc, s4, v4
	v_addc_co_u32_e32 v5, vcc, v5, v20, vcc
	v_cmp_le_i64_e32 vcc, s[10:11], v[8:9]
	s_or_b64 s[14:15], vcc, s[14:15]
	v_add_co_u32_e32 v6, vcc, s12, v6
	v_addc_co_u32_e32 v7, vcc, v7, v21, vcc
	s_andn2_b64 exec, exec, s[14:15]
	s_cbranch_execz .LBB105_31
.LBB105_3:                              ; =>This Inner Loop Header: Depth=1
	global_load_dwordx4 v[22:25], v[6:7], off
	s_waitcnt vmcnt(0)
	v_sub_co_u32_e32 v10, vcc, v24, v22
	v_subb_co_u32_e32 v11, vcc, v25, v23, vcc
	v_cmp_lt_i64_e32 vcc, 8, v[10:11]
	s_and_saveexec_b64 s[22:23], vcc
	s_xor_b64 s[22:23], exec, s[22:23]
	s_cbranch_execz .LBB105_29
; %bb.4:                                ;   in Loop: Header=BB105_3 Depth=1
	v_cmp_lt_u64_e32 vcc, 16, v[10:11]
	s_and_saveexec_b64 s[24:25], vcc
	s_xor_b64 s[24:25], exec, s[24:25]
	s_cbranch_execz .LBB105_26
; %bb.5:                                ;   in Loop: Header=BB105_3 Depth=1
	v_cmp_lt_u64_e32 vcc, 32, v[10:11]
	;; [unrolled: 5-line block ×6, first 2 shown]
	s_and_saveexec_b64 s[36:37], vcc
	s_xor_b64 s[36:37], exec, s[36:37]
	s_cbranch_execz .LBB105_11
; %bb.10:                               ;   in Loop: Header=BB105_3 Depth=1
	ds_read_b64 v[10:11], v1 offset:56
	global_store_dword v[4:5], v12, off
	s_waitcnt lgkmcnt(0)
	v_add_co_u32_e32 v10, vcc, 1, v10
	v_addc_co_u32_e32 v11, vcc, 0, v11, vcc
	ds_write_b64 v1, v[10:11] offset:56
.LBB105_11:                             ;   in Loop: Header=BB105_3 Depth=1
	s_andn2_saveexec_b64 s[36:37], s[36:37]
	s_cbranch_execz .LBB105_13
; %bb.12:                               ;   in Loop: Header=BB105_3 Depth=1
	ds_read_b64 v[10:11], v1 offset:48
	global_store_dword v[4:5], v13, off
	s_waitcnt lgkmcnt(0)
	v_add_co_u32_e32 v10, vcc, 1, v10
	v_addc_co_u32_e32 v11, vcc, 0, v11, vcc
	ds_write_b64 v1, v[10:11] offset:48
.LBB105_13:                             ;   in Loop: Header=BB105_3 Depth=1
	s_or_b64 exec, exec, s[36:37]
.LBB105_14:                             ;   in Loop: Header=BB105_3 Depth=1
	s_andn2_saveexec_b64 s[34:35], s[34:35]
	s_cbranch_execz .LBB105_16
; %bb.15:                               ;   in Loop: Header=BB105_3 Depth=1
	ds_read_b64 v[10:11], v1 offset:40
	global_store_dword v[4:5], v14, off
	s_waitcnt lgkmcnt(0)
	v_add_co_u32_e32 v10, vcc, 1, v10
	v_addc_co_u32_e32 v11, vcc, 0, v11, vcc
	ds_write_b64 v1, v[10:11] offset:40
.LBB105_16:                             ;   in Loop: Header=BB105_3 Depth=1
	s_or_b64 exec, exec, s[34:35]
.LBB105_17:                             ;   in Loop: Header=BB105_3 Depth=1
	s_andn2_saveexec_b64 s[30:31], s[30:31]
	s_cbranch_execz .LBB105_19
; %bb.18:                               ;   in Loop: Header=BB105_3 Depth=1
	ds_read_b64 v[10:11], v1 offset:32
	global_store_dword v[4:5], v15, off
	s_waitcnt lgkmcnt(0)
	v_add_co_u32_e32 v10, vcc, 1, v10
	v_addc_co_u32_e32 v11, vcc, 0, v11, vcc
	ds_write_b64 v1, v[10:11] offset:32
.LBB105_19:                             ;   in Loop: Header=BB105_3 Depth=1
	s_or_b64 exec, exec, s[30:31]
.LBB105_20:                             ;   in Loop: Header=BB105_3 Depth=1
	s_andn2_saveexec_b64 s[28:29], s[28:29]
	s_cbranch_execz .LBB105_22
; %bb.21:                               ;   in Loop: Header=BB105_3 Depth=1
	ds_read_b64 v[10:11], v1 offset:24
	global_store_dword v[4:5], v16, off
	s_waitcnt lgkmcnt(0)
	v_add_co_u32_e32 v10, vcc, 1, v10
	v_addc_co_u32_e32 v11, vcc, 0, v11, vcc
	ds_write_b64 v1, v[10:11] offset:24
.LBB105_22:                             ;   in Loop: Header=BB105_3 Depth=1
	s_or_b64 exec, exec, s[28:29]
.LBB105_23:                             ;   in Loop: Header=BB105_3 Depth=1
	s_andn2_saveexec_b64 s[26:27], s[26:27]
	s_cbranch_execz .LBB105_25
; %bb.24:                               ;   in Loop: Header=BB105_3 Depth=1
	ds_read_b64 v[10:11], v1 offset:16
	global_store_dword v[4:5], v17, off
	s_waitcnt lgkmcnt(0)
	v_add_co_u32_e32 v10, vcc, 1, v10
	v_addc_co_u32_e32 v11, vcc, 0, v11, vcc
	ds_write_b64 v1, v[10:11] offset:16
.LBB105_25:                             ;   in Loop: Header=BB105_3 Depth=1
	s_or_b64 exec, exec, s[26:27]
.LBB105_26:                             ;   in Loop: Header=BB105_3 Depth=1
	s_andn2_saveexec_b64 s[24:25], s[24:25]
	s_cbranch_execz .LBB105_28
; %bb.27:                               ;   in Loop: Header=BB105_3 Depth=1
	ds_read_b64 v[10:11], v1 offset:8
	global_store_dword v[4:5], v18, off
	s_waitcnt lgkmcnt(0)
	v_add_co_u32_e32 v10, vcc, 1, v10
	v_addc_co_u32_e32 v11, vcc, 0, v11, vcc
	ds_write_b64 v1, v[10:11] offset:8
.LBB105_28:                             ;   in Loop: Header=BB105_3 Depth=1
	s_or_b64 exec, exec, s[24:25]
.LBB105_29:                             ;   in Loop: Header=BB105_3 Depth=1
	s_andn2_saveexec_b64 s[22:23], s[22:23]
	s_cbranch_execz .LBB105_2
; %bb.30:                               ;   in Loop: Header=BB105_3 Depth=1
	ds_read_b64 v[10:11], v1
	global_store_dword v[4:5], v3, off
	s_waitcnt lgkmcnt(0)
	v_add_co_u32_e32 v10, vcc, 1, v10
	v_addc_co_u32_e32 v11, vcc, 0, v11, vcc
	ds_write_b64 v1, v[10:11]
	s_branch .LBB105_2
.LBB105_31:
	s_or_b64 exec, exec, s[2:3]
	s_movk_i32 s0, 0x80
	v_cmp_gt_u32_e32 vcc, s0, v0
	s_waitcnt lgkmcnt(0)
	s_barrier
	s_barrier
	;; [unrolled: 1-line block ×3, first 2 shown]
	s_and_saveexec_b64 s[0:1], vcc
	s_cbranch_execz .LBB105_33
; %bb.32:
	ds_read_b128 v[2:5], v1 offset:8192
	ds_read_b128 v[6:9], v1
	ds_read_b128 v[10:13], v1 offset:16
	ds_read_b128 v[14:17], v1 offset:32
	ds_read_b128 v[18:21], v1 offset:48
	ds_read_b128 v[22:25], v1 offset:8208
	s_waitcnt lgkmcnt(4)
	v_add_co_u32_e32 v2, vcc, v6, v2
	v_addc_co_u32_e32 v3, vcc, v7, v3, vcc
	v_add_co_u32_e32 v4, vcc, v8, v4
	v_addc_co_u32_e32 v5, vcc, v9, v5, vcc
	ds_write_b128 v1, v[2:5]
	s_waitcnt lgkmcnt(1)
	v_add_co_u32_e32 v2, vcc, v10, v22
	ds_read_b128 v[6:9], v1 offset:8224
	v_addc_co_u32_e32 v3, vcc, v11, v23, vcc
	v_add_co_u32_e32 v4, vcc, v12, v24
	v_addc_co_u32_e32 v5, vcc, v13, v25, vcc
	ds_write_b128 v1, v[2:5] offset:16
	ds_read_b128 v[2:5], v1 offset:8240
	s_waitcnt lgkmcnt(2)
	v_add_co_u32_e32 v6, vcc, v14, v6
	v_addc_co_u32_e32 v7, vcc, v15, v7, vcc
	v_add_co_u32_e32 v8, vcc, v16, v8
	v_addc_co_u32_e32 v9, vcc, v17, v9, vcc
	s_waitcnt lgkmcnt(0)
	v_add_co_u32_e32 v2, vcc, v18, v2
	v_addc_co_u32_e32 v3, vcc, v19, v3, vcc
	v_add_co_u32_e32 v4, vcc, v20, v4
	v_addc_co_u32_e32 v5, vcc, v21, v5, vcc
	ds_write_b128 v1, v[6:9] offset:32
	ds_write_b128 v1, v[2:5] offset:48
.LBB105_33:
	s_or_b64 exec, exec, s[0:1]
	v_cmp_gt_u32_e32 vcc, 64, v0
	s_waitcnt lgkmcnt(0)
	s_barrier
	s_and_saveexec_b64 s[0:1], vcc
	s_cbranch_execz .LBB105_35
; %bb.34:
	ds_read_b128 v[2:5], v1 offset:4096
	ds_read_b128 v[6:9], v1
	ds_read_b128 v[10:13], v1 offset:16
	ds_read_b128 v[14:17], v1 offset:32
	ds_read_b128 v[18:21], v1 offset:48
	ds_read_b128 v[22:25], v1 offset:4112
	s_waitcnt lgkmcnt(4)
	v_add_co_u32_e32 v2, vcc, v6, v2
	v_addc_co_u32_e32 v3, vcc, v7, v3, vcc
	v_add_co_u32_e32 v4, vcc, v8, v4
	v_addc_co_u32_e32 v5, vcc, v9, v5, vcc
	ds_write_b128 v1, v[2:5]
	s_waitcnt lgkmcnt(1)
	v_add_co_u32_e32 v2, vcc, v10, v22
	ds_read_b128 v[6:9], v1 offset:4128
	v_addc_co_u32_e32 v3, vcc, v11, v23, vcc
	v_add_co_u32_e32 v4, vcc, v12, v24
	v_addc_co_u32_e32 v5, vcc, v13, v25, vcc
	ds_write_b128 v1, v[2:5] offset:16
	ds_read_b128 v[2:5], v1 offset:4144
	s_waitcnt lgkmcnt(2)
	v_add_co_u32_e32 v6, vcc, v14, v6
	v_addc_co_u32_e32 v7, vcc, v15, v7, vcc
	v_add_co_u32_e32 v8, vcc, v16, v8
	v_addc_co_u32_e32 v9, vcc, v17, v9, vcc
	s_waitcnt lgkmcnt(0)
	v_add_co_u32_e32 v2, vcc, v18, v2
	v_addc_co_u32_e32 v3, vcc, v19, v3, vcc
	v_add_co_u32_e32 v4, vcc, v20, v4
	v_addc_co_u32_e32 v5, vcc, v21, v5, vcc
	ds_write_b128 v1, v[6:9] offset:32
	ds_write_b128 v1, v[2:5] offset:48
.LBB105_35:
	s_or_b64 exec, exec, s[0:1]
	v_cmp_gt_u32_e32 vcc, 32, v0
	s_waitcnt lgkmcnt(0)
	s_barrier
	;; [unrolled: 40-line block ×4, first 2 shown]
	s_and_saveexec_b64 s[2:3], vcc
	s_cbranch_execz .LBB105_41
; %bb.40:
	ds_read_b128 v[2:5], v1 offset:512
	ds_read_b128 v[6:9], v1
	ds_read_b128 v[10:13], v1 offset:16
	ds_read_b128 v[14:17], v1 offset:32
	;; [unrolled: 1-line block ×4, first 2 shown]
	s_waitcnt lgkmcnt(4)
	v_add_co_u32_e64 v2, s[0:1], v6, v2
	v_addc_co_u32_e64 v3, s[0:1], v7, v3, s[0:1]
	v_add_co_u32_e64 v4, s[0:1], v8, v4
	v_addc_co_u32_e64 v5, s[0:1], v9, v5, s[0:1]
	ds_write_b128 v1, v[2:5]
	s_waitcnt lgkmcnt(1)
	v_add_co_u32_e64 v2, s[0:1], v10, v22
	ds_read_b128 v[6:9], v1 offset:544
	v_addc_co_u32_e64 v3, s[0:1], v11, v23, s[0:1]
	v_add_co_u32_e64 v4, s[0:1], v12, v24
	v_addc_co_u32_e64 v5, s[0:1], v13, v25, s[0:1]
	ds_write_b128 v1, v[2:5] offset:16
	ds_read_b128 v[2:5], v1 offset:560
	s_waitcnt lgkmcnt(2)
	v_add_co_u32_e64 v6, s[0:1], v14, v6
	v_addc_co_u32_e64 v7, s[0:1], v15, v7, s[0:1]
	v_add_co_u32_e64 v8, s[0:1], v16, v8
	v_addc_co_u32_e64 v9, s[0:1], v17, v9, s[0:1]
	s_waitcnt lgkmcnt(0)
	v_add_co_u32_e64 v2, s[0:1], v18, v2
	v_addc_co_u32_e64 v3, s[0:1], v19, v3, s[0:1]
	v_add_co_u32_e64 v4, s[0:1], v20, v4
	v_addc_co_u32_e64 v5, s[0:1], v21, v5, s[0:1]
	ds_write_b128 v1, v[6:9] offset:32
	ds_write_b128 v1, v[2:5] offset:48
.LBB105_41:
	s_or_b64 exec, exec, s[2:3]
	v_cmp_gt_u32_e64 s[0:1], 4, v0
	s_waitcnt lgkmcnt(0)
	s_barrier
	s_and_saveexec_b64 s[2:3], s[0:1]
	s_cbranch_execz .LBB105_43
; %bb.42:
	ds_read_b128 v[2:5], v1 offset:256
	ds_read_b128 v[6:9], v1
	ds_read_b128 v[10:13], v1 offset:16
	ds_read_b128 v[14:17], v1 offset:32
	;; [unrolled: 1-line block ×4, first 2 shown]
	s_waitcnt lgkmcnt(4)
	v_add_co_u32_e64 v2, s[0:1], v6, v2
	v_addc_co_u32_e64 v3, s[0:1], v7, v3, s[0:1]
	v_add_co_u32_e64 v4, s[0:1], v8, v4
	v_addc_co_u32_e64 v5, s[0:1], v9, v5, s[0:1]
	ds_write_b128 v1, v[2:5]
	s_waitcnt lgkmcnt(1)
	v_add_co_u32_e64 v2, s[0:1], v10, v22
	ds_read_b128 v[6:9], v1 offset:288
	v_addc_co_u32_e64 v3, s[0:1], v11, v23, s[0:1]
	v_add_co_u32_e64 v4, s[0:1], v12, v24
	v_addc_co_u32_e64 v5, s[0:1], v13, v25, s[0:1]
	ds_write_b128 v1, v[2:5] offset:16
	ds_read_b128 v[2:5], v1 offset:304
	s_waitcnt lgkmcnt(2)
	v_add_co_u32_e64 v6, s[0:1], v14, v6
	v_addc_co_u32_e64 v7, s[0:1], v15, v7, s[0:1]
	v_add_co_u32_e64 v8, s[0:1], v16, v8
	v_addc_co_u32_e64 v9, s[0:1], v17, v9, s[0:1]
	s_waitcnt lgkmcnt(0)
	v_add_co_u32_e64 v2, s[0:1], v18, v2
	v_addc_co_u32_e64 v3, s[0:1], v19, v3, s[0:1]
	v_add_co_u32_e64 v4, s[0:1], v20, v4
	v_addc_co_u32_e64 v5, s[0:1], v21, v5, s[0:1]
	ds_write_b128 v1, v[6:9] offset:32
	ds_write_b128 v1, v[2:5] offset:48
.LBB105_43:
	s_or_b64 exec, exec, s[2:3]
	v_cmp_gt_u32_e64 s[0:1], 2, v0
	s_waitcnt lgkmcnt(0)
	s_barrier
	s_and_saveexec_b64 s[2:3], s[0:1]
	s_cbranch_execz .LBB105_45
; %bb.44:
	ds_read_b128 v[2:5], v1 offset:128
	ds_read_b128 v[6:9], v1
	ds_read_b128 v[10:13], v1 offset:16
	ds_read_b128 v[14:17], v1 offset:32
	;; [unrolled: 1-line block ×4, first 2 shown]
	s_waitcnt lgkmcnt(4)
	v_add_co_u32_e64 v2, s[0:1], v6, v2
	v_addc_co_u32_e64 v3, s[0:1], v7, v3, s[0:1]
	v_add_co_u32_e64 v4, s[0:1], v8, v4
	v_addc_co_u32_e64 v5, s[0:1], v9, v5, s[0:1]
	ds_write_b128 v1, v[2:5]
	s_waitcnt lgkmcnt(1)
	v_add_co_u32_e64 v2, s[0:1], v10, v22
	ds_read_b128 v[6:9], v1 offset:160
	v_addc_co_u32_e64 v3, s[0:1], v11, v23, s[0:1]
	v_add_co_u32_e64 v4, s[0:1], v12, v24
	v_addc_co_u32_e64 v5, s[0:1], v13, v25, s[0:1]
	ds_write_b128 v1, v[2:5] offset:16
	ds_read_b128 v[2:5], v1 offset:176
	s_waitcnt lgkmcnt(2)
	v_add_co_u32_e64 v6, s[0:1], v14, v6
	v_addc_co_u32_e64 v7, s[0:1], v15, v7, s[0:1]
	v_add_co_u32_e64 v8, s[0:1], v16, v8
	v_addc_co_u32_e64 v9, s[0:1], v17, v9, s[0:1]
	s_waitcnt lgkmcnt(0)
	v_add_co_u32_e64 v2, s[0:1], v18, v2
	v_addc_co_u32_e64 v3, s[0:1], v19, v3, s[0:1]
	v_add_co_u32_e64 v4, s[0:1], v20, v4
	v_addc_co_u32_e64 v5, s[0:1], v21, v5, s[0:1]
	ds_write_b128 v1, v[6:9] offset:32
	ds_write_b128 v1, v[2:5] offset:48
.LBB105_45:
	s_or_b64 exec, exec, s[2:3]
	v_cmp_eq_u32_e64 s[0:1], 0, v0
	s_waitcnt lgkmcnt(0)
	s_barrier
	s_and_saveexec_b64 s[2:3], s[0:1]
	s_cbranch_execz .LBB105_47
; %bb.46:
	v_mov_b32_e32 v1, 0
	ds_read_b128 v[2:5], v1 offset:64
	ds_read_b128 v[6:9], v1
	ds_read_b128 v[10:13], v1 offset:16
	ds_read_b128 v[14:17], v1 offset:32
	;; [unrolled: 1-line block ×4, first 2 shown]
	s_waitcnt lgkmcnt(4)
	v_add_co_u32_e64 v2, s[0:1], v6, v2
	v_addc_co_u32_e64 v3, s[0:1], v7, v3, s[0:1]
	v_add_co_u32_e64 v4, s[0:1], v8, v4
	v_addc_co_u32_e64 v5, s[0:1], v9, v5, s[0:1]
	ds_write_b128 v1, v[2:5]
	s_waitcnt lgkmcnt(1)
	v_add_co_u32_e64 v2, s[0:1], v10, v22
	ds_read_b128 v[6:9], v1 offset:96
	v_addc_co_u32_e64 v3, s[0:1], v11, v23, s[0:1]
	v_add_co_u32_e64 v4, s[0:1], v12, v24
	v_addc_co_u32_e64 v5, s[0:1], v13, v25, s[0:1]
	ds_write_b128 v1, v[2:5] offset:16
	ds_read_b128 v[2:5], v1 offset:112
	s_waitcnt lgkmcnt(2)
	v_add_co_u32_e64 v6, s[0:1], v14, v6
	v_addc_co_u32_e64 v7, s[0:1], v15, v7, s[0:1]
	v_add_co_u32_e64 v8, s[0:1], v16, v8
	v_addc_co_u32_e64 v9, s[0:1], v17, v9, s[0:1]
	s_waitcnt lgkmcnt(0)
	v_add_co_u32_e64 v2, s[0:1], v18, v2
	v_addc_co_u32_e64 v3, s[0:1], v19, v3, s[0:1]
	v_add_co_u32_e64 v4, s[0:1], v20, v4
	v_addc_co_u32_e64 v5, s[0:1], v21, v5, s[0:1]
	ds_write_b128 v1, v[6:9] offset:32
	ds_write_b128 v1, v[2:5] offset:48
.LBB105_47:
	s_or_b64 exec, exec, s[2:3]
	s_waitcnt lgkmcnt(0)
	s_barrier
	s_and_saveexec_b64 s[0:1], vcc
	s_cbranch_execz .LBB105_49
; %bb.48:
	v_lshl_or_b32 v2, s6, 3, v0
	v_lshlrev_b32_e32 v0, 3, v0
	ds_read_b64 v[0:1], v0
	v_mov_b32_e32 v3, 0
	v_lshlrev_b64 v[2:3], 3, v[2:3]
	v_mov_b32_e32 v4, s9
	v_add_co_u32_e32 v2, vcc, s8, v2
	v_addc_co_u32_e32 v3, vcc, v4, v3, vcc
	s_waitcnt lgkmcnt(0)
	global_store_dwordx2 v[2:3], v[0:1], off
.LBB105_49:
	s_endpgm
	.section	.rodata,"a",@progbits
	.p2align	6, 0x0
	.amdhsa_kernel _ZN9rocsparseL26bsrgemm_group_reduce_part2ILj256ELj8ELj2EdllEEvT4_PKT3_PS1_Pi
		.amdhsa_group_segment_fixed_size 16384
		.amdhsa_private_segment_fixed_size 0
		.amdhsa_kernarg_size 288
		.amdhsa_user_sgpr_count 6
		.amdhsa_user_sgpr_private_segment_buffer 1
		.amdhsa_user_sgpr_dispatch_ptr 0
		.amdhsa_user_sgpr_queue_ptr 0
		.amdhsa_user_sgpr_kernarg_segment_ptr 1
		.amdhsa_user_sgpr_dispatch_id 0
		.amdhsa_user_sgpr_flat_scratch_init 0
		.amdhsa_user_sgpr_kernarg_preload_length 0
		.amdhsa_user_sgpr_kernarg_preload_offset 0
		.amdhsa_user_sgpr_private_segment_size 0
		.amdhsa_uses_dynamic_stack 0
		.amdhsa_system_sgpr_private_segment_wavefront_offset 0
		.amdhsa_system_sgpr_workgroup_id_x 1
		.amdhsa_system_sgpr_workgroup_id_y 0
		.amdhsa_system_sgpr_workgroup_id_z 0
		.amdhsa_system_sgpr_workgroup_info 0
		.amdhsa_system_vgpr_workitem_id 0
		.amdhsa_next_free_vgpr 26
		.amdhsa_next_free_sgpr 38
		.amdhsa_accum_offset 28
		.amdhsa_reserve_vcc 1
		.amdhsa_reserve_flat_scratch 0
		.amdhsa_float_round_mode_32 0
		.amdhsa_float_round_mode_16_64 0
		.amdhsa_float_denorm_mode_32 3
		.amdhsa_float_denorm_mode_16_64 3
		.amdhsa_dx10_clamp 1
		.amdhsa_ieee_mode 1
		.amdhsa_fp16_overflow 0
		.amdhsa_tg_split 0
		.amdhsa_exception_fp_ieee_invalid_op 0
		.amdhsa_exception_fp_denorm_src 0
		.amdhsa_exception_fp_ieee_div_zero 0
		.amdhsa_exception_fp_ieee_overflow 0
		.amdhsa_exception_fp_ieee_underflow 0
		.amdhsa_exception_fp_ieee_inexact 0
		.amdhsa_exception_int_div_zero 0
	.end_amdhsa_kernel
	.section	.text._ZN9rocsparseL26bsrgemm_group_reduce_part2ILj256ELj8ELj2EdllEEvT4_PKT3_PS1_Pi,"axG",@progbits,_ZN9rocsparseL26bsrgemm_group_reduce_part2ILj256ELj8ELj2EdllEEvT4_PKT3_PS1_Pi,comdat
.Lfunc_end105:
	.size	_ZN9rocsparseL26bsrgemm_group_reduce_part2ILj256ELj8ELj2EdllEEvT4_PKT3_PS1_Pi, .Lfunc_end105-_ZN9rocsparseL26bsrgemm_group_reduce_part2ILj256ELj8ELj2EdllEEvT4_PKT3_PS1_Pi
                                        ; -- End function
	.section	.AMDGPU.csdata,"",@progbits
; Kernel info:
; codeLenInByte = 2788
; NumSgprs: 42
; NumVgprs: 26
; NumAgprs: 0
; TotalNumVgprs: 26
; ScratchSize: 0
; MemoryBound: 0
; FloatMode: 240
; IeeeMode: 1
; LDSByteSize: 16384 bytes/workgroup (compile time only)
; SGPRBlocks: 5
; VGPRBlocks: 3
; NumSGPRsForWavesPerEU: 42
; NumVGPRsForWavesPerEU: 26
; AccumOffset: 28
; Occupancy: 4
; WaveLimiterHint : 0
; COMPUTE_PGM_RSRC2:SCRATCH_EN: 0
; COMPUTE_PGM_RSRC2:USER_SGPR: 6
; COMPUTE_PGM_RSRC2:TRAP_HANDLER: 0
; COMPUTE_PGM_RSRC2:TGID_X_EN: 1
; COMPUTE_PGM_RSRC2:TGID_Y_EN: 0
; COMPUTE_PGM_RSRC2:TGID_Z_EN: 0
; COMPUTE_PGM_RSRC2:TIDIG_COMP_CNT: 0
; COMPUTE_PGM_RSRC3_GFX90A:ACCUM_OFFSET: 6
; COMPUTE_PGM_RSRC3_GFX90A:TG_SPLIT: 0
	.section	.text._ZN9rocsparseL26bsrgemm_group_reduce_part2ILj256ELj8ELj8EdllEEvT4_PKT3_PS1_Pi,"axG",@progbits,_ZN9rocsparseL26bsrgemm_group_reduce_part2ILj256ELj8ELj8EdllEEvT4_PKT3_PS1_Pi,comdat
	.globl	_ZN9rocsparseL26bsrgemm_group_reduce_part2ILj256ELj8ELj8EdllEEvT4_PKT3_PS1_Pi ; -- Begin function _ZN9rocsparseL26bsrgemm_group_reduce_part2ILj256ELj8ELj8EdllEEvT4_PKT3_PS1_Pi
	.p2align	8
	.type	_ZN9rocsparseL26bsrgemm_group_reduce_part2ILj256ELj8ELj8EdllEEvT4_PKT3_PS1_Pi,@function
_ZN9rocsparseL26bsrgemm_group_reduce_part2ILj256ELj8ELj8EdllEEvT4_PKT3_PS1_Pi: ; @_ZN9rocsparseL26bsrgemm_group_reduce_part2ILj256ELj8ELj8EdllEEvT4_PKT3_PS1_Pi
; %bb.0:
	s_load_dwordx2 s[10:11], s[4:5], 0x0
	s_load_dwordx2 s[8:9], s[4:5], 0x10
	s_mov_b32 s1, 0
	s_mov_b32 s2, s1
	;; [unrolled: 1-line block ×3, first 2 shown]
	v_lshl_or_b32 v2, s6, 8, v0
	s_mov_b32 s0, s1
	v_pk_mov_b32 v[6:7], s[2:3], s[2:3] op_sel:[0,1]
	v_mov_b32_e32 v3, 0
	v_lshlrev_b32_e32 v1, 6, v0
	v_pk_mov_b32 v[4:5], s[0:1], s[0:1] op_sel:[0,1]
	s_waitcnt lgkmcnt(0)
	v_cmp_gt_i64_e32 vcc, s[10:11], v[2:3]
	ds_write_b128 v1, v[4:7]
	ds_write_b128 v1, v[4:7] offset:16
	ds_write_b128 v1, v[4:7] offset:32
	;; [unrolled: 1-line block ×3, first 2 shown]
	s_waitcnt lgkmcnt(0)
	s_and_saveexec_b64 s[2:3], vcc
	s_cbranch_execz .LBB106_31
; %bb.1:
	s_load_dword s0, s[4:5], 0x20
	s_load_dwordx2 s[12:13], s[4:5], 0x18
	s_load_dwordx2 s[14:15], s[4:5], 0x8
	v_lshlrev_b64 v[4:5], 2, v[2:3]
	s_mov_b64 s[16:17], 0x80
	s_waitcnt lgkmcnt(0)
	s_lshl_b32 s0, s0, 8
	v_mov_b32_e32 v6, s13
	v_add_co_u32_e32 v4, vcc, s12, v4
	v_addc_co_u32_e32 v5, vcc, v6, v5, vcc
	v_lshlrev_b64 v[6:7], 3, v[2:3]
	s_lshl_b64 s[4:5], s[0:1], 2
	v_mov_b32_e32 v8, s15
	v_add_co_u32_e32 v6, vcc, s14, v6
	s_lshl_b64 s[12:13], s[0:1], 3
	v_addc_co_u32_e32 v7, vcc, v8, v7, vcc
	s_mov_b64 s[14:15], 0
	s_mov_b64 s[18:19], 0x100
	;; [unrolled: 1-line block ×3, first 2 shown]
	v_mov_b32_e32 v12, 7
	v_mov_b32_e32 v13, 6
	;; [unrolled: 1-line block ×10, first 2 shown]
	v_pk_mov_b32 v[8:9], v[2:3], v[2:3] op_sel:[0,1]
	s_branch .LBB106_3
.LBB106_2:                              ;   in Loop: Header=BB106_3 Depth=1
	s_or_b64 exec, exec, s[22:23]
	v_add_co_u32_e32 v8, vcc, s0, v8
	v_addc_co_u32_e32 v9, vcc, v9, v19, vcc
	v_add_co_u32_e32 v4, vcc, s4, v4
	v_addc_co_u32_e32 v5, vcc, v5, v20, vcc
	v_cmp_le_i64_e32 vcc, s[10:11], v[8:9]
	s_or_b64 s[14:15], vcc, s[14:15]
	v_add_co_u32_e32 v6, vcc, s12, v6
	v_addc_co_u32_e32 v7, vcc, v7, v21, vcc
	s_andn2_b64 exec, exec, s[14:15]
	s_cbranch_execz .LBB106_31
.LBB106_3:                              ; =>This Inner Loop Header: Depth=1
	global_load_dwordx4 v[22:25], v[6:7], off
	s_waitcnt vmcnt(0)
	v_sub_co_u32_e32 v10, vcc, v24, v22
	v_subb_co_u32_e32 v11, vcc, v25, v23, vcc
	v_cmp_lt_i64_e32 vcc, 8, v[10:11]
	s_and_saveexec_b64 s[22:23], vcc
	s_xor_b64 s[22:23], exec, s[22:23]
	s_cbranch_execz .LBB106_29
; %bb.4:                                ;   in Loop: Header=BB106_3 Depth=1
	v_cmp_lt_u64_e32 vcc, 16, v[10:11]
	s_and_saveexec_b64 s[24:25], vcc
	s_xor_b64 s[24:25], exec, s[24:25]
	s_cbranch_execz .LBB106_26
; %bb.5:                                ;   in Loop: Header=BB106_3 Depth=1
	v_cmp_lt_u64_e32 vcc, 32, v[10:11]
	;; [unrolled: 5-line block ×6, first 2 shown]
	s_and_saveexec_b64 s[36:37], vcc
	s_xor_b64 s[36:37], exec, s[36:37]
	s_cbranch_execz .LBB106_11
; %bb.10:                               ;   in Loop: Header=BB106_3 Depth=1
	ds_read_b64 v[10:11], v1 offset:56
	global_store_dword v[4:5], v12, off
	s_waitcnt lgkmcnt(0)
	v_add_co_u32_e32 v10, vcc, 1, v10
	v_addc_co_u32_e32 v11, vcc, 0, v11, vcc
	ds_write_b64 v1, v[10:11] offset:56
.LBB106_11:                             ;   in Loop: Header=BB106_3 Depth=1
	s_andn2_saveexec_b64 s[36:37], s[36:37]
	s_cbranch_execz .LBB106_13
; %bb.12:                               ;   in Loop: Header=BB106_3 Depth=1
	ds_read_b64 v[10:11], v1 offset:48
	global_store_dword v[4:5], v13, off
	s_waitcnt lgkmcnt(0)
	v_add_co_u32_e32 v10, vcc, 1, v10
	v_addc_co_u32_e32 v11, vcc, 0, v11, vcc
	ds_write_b64 v1, v[10:11] offset:48
.LBB106_13:                             ;   in Loop: Header=BB106_3 Depth=1
	s_or_b64 exec, exec, s[36:37]
.LBB106_14:                             ;   in Loop: Header=BB106_3 Depth=1
	s_andn2_saveexec_b64 s[34:35], s[34:35]
	s_cbranch_execz .LBB106_16
; %bb.15:                               ;   in Loop: Header=BB106_3 Depth=1
	ds_read_b64 v[10:11], v1 offset:40
	global_store_dword v[4:5], v14, off
	s_waitcnt lgkmcnt(0)
	v_add_co_u32_e32 v10, vcc, 1, v10
	v_addc_co_u32_e32 v11, vcc, 0, v11, vcc
	ds_write_b64 v1, v[10:11] offset:40
.LBB106_16:                             ;   in Loop: Header=BB106_3 Depth=1
	s_or_b64 exec, exec, s[34:35]
.LBB106_17:                             ;   in Loop: Header=BB106_3 Depth=1
	s_andn2_saveexec_b64 s[30:31], s[30:31]
	s_cbranch_execz .LBB106_19
; %bb.18:                               ;   in Loop: Header=BB106_3 Depth=1
	ds_read_b64 v[10:11], v1 offset:32
	global_store_dword v[4:5], v15, off
	s_waitcnt lgkmcnt(0)
	v_add_co_u32_e32 v10, vcc, 1, v10
	v_addc_co_u32_e32 v11, vcc, 0, v11, vcc
	ds_write_b64 v1, v[10:11] offset:32
.LBB106_19:                             ;   in Loop: Header=BB106_3 Depth=1
	s_or_b64 exec, exec, s[30:31]
.LBB106_20:                             ;   in Loop: Header=BB106_3 Depth=1
	s_andn2_saveexec_b64 s[28:29], s[28:29]
	s_cbranch_execz .LBB106_22
; %bb.21:                               ;   in Loop: Header=BB106_3 Depth=1
	ds_read_b64 v[10:11], v1 offset:24
	global_store_dword v[4:5], v16, off
	s_waitcnt lgkmcnt(0)
	v_add_co_u32_e32 v10, vcc, 1, v10
	v_addc_co_u32_e32 v11, vcc, 0, v11, vcc
	ds_write_b64 v1, v[10:11] offset:24
.LBB106_22:                             ;   in Loop: Header=BB106_3 Depth=1
	s_or_b64 exec, exec, s[28:29]
.LBB106_23:                             ;   in Loop: Header=BB106_3 Depth=1
	s_andn2_saveexec_b64 s[26:27], s[26:27]
	s_cbranch_execz .LBB106_25
; %bb.24:                               ;   in Loop: Header=BB106_3 Depth=1
	ds_read_b64 v[10:11], v1 offset:16
	global_store_dword v[4:5], v17, off
	s_waitcnt lgkmcnt(0)
	v_add_co_u32_e32 v10, vcc, 1, v10
	v_addc_co_u32_e32 v11, vcc, 0, v11, vcc
	ds_write_b64 v1, v[10:11] offset:16
.LBB106_25:                             ;   in Loop: Header=BB106_3 Depth=1
	s_or_b64 exec, exec, s[26:27]
.LBB106_26:                             ;   in Loop: Header=BB106_3 Depth=1
	s_andn2_saveexec_b64 s[24:25], s[24:25]
	s_cbranch_execz .LBB106_28
; %bb.27:                               ;   in Loop: Header=BB106_3 Depth=1
	ds_read_b64 v[10:11], v1 offset:8
	global_store_dword v[4:5], v18, off
	s_waitcnt lgkmcnt(0)
	v_add_co_u32_e32 v10, vcc, 1, v10
	v_addc_co_u32_e32 v11, vcc, 0, v11, vcc
	ds_write_b64 v1, v[10:11] offset:8
.LBB106_28:                             ;   in Loop: Header=BB106_3 Depth=1
	s_or_b64 exec, exec, s[24:25]
.LBB106_29:                             ;   in Loop: Header=BB106_3 Depth=1
	s_andn2_saveexec_b64 s[22:23], s[22:23]
	s_cbranch_execz .LBB106_2
; %bb.30:                               ;   in Loop: Header=BB106_3 Depth=1
	ds_read_b64 v[10:11], v1
	global_store_dword v[4:5], v3, off
	s_waitcnt lgkmcnt(0)
	v_add_co_u32_e32 v10, vcc, 1, v10
	v_addc_co_u32_e32 v11, vcc, 0, v11, vcc
	ds_write_b64 v1, v[10:11]
	s_branch .LBB106_2
.LBB106_31:
	s_or_b64 exec, exec, s[2:3]
	s_movk_i32 s0, 0x80
	v_cmp_gt_u32_e32 vcc, s0, v0
	s_waitcnt lgkmcnt(0)
	s_barrier
	s_barrier
	s_barrier
	s_and_saveexec_b64 s[0:1], vcc
	s_cbranch_execz .LBB106_33
; %bb.32:
	ds_read_b128 v[2:5], v1 offset:8192
	ds_read_b128 v[6:9], v1
	ds_read_b128 v[10:13], v1 offset:16
	ds_read_b128 v[14:17], v1 offset:32
	ds_read_b128 v[18:21], v1 offset:48
	ds_read_b128 v[22:25], v1 offset:8208
	s_waitcnt lgkmcnt(4)
	v_add_co_u32_e32 v2, vcc, v6, v2
	v_addc_co_u32_e32 v3, vcc, v7, v3, vcc
	v_add_co_u32_e32 v4, vcc, v8, v4
	v_addc_co_u32_e32 v5, vcc, v9, v5, vcc
	ds_write_b128 v1, v[2:5]
	s_waitcnt lgkmcnt(1)
	v_add_co_u32_e32 v2, vcc, v10, v22
	ds_read_b128 v[6:9], v1 offset:8224
	v_addc_co_u32_e32 v3, vcc, v11, v23, vcc
	v_add_co_u32_e32 v4, vcc, v12, v24
	v_addc_co_u32_e32 v5, vcc, v13, v25, vcc
	ds_write_b128 v1, v[2:5] offset:16
	ds_read_b128 v[2:5], v1 offset:8240
	s_waitcnt lgkmcnt(2)
	v_add_co_u32_e32 v6, vcc, v14, v6
	v_addc_co_u32_e32 v7, vcc, v15, v7, vcc
	v_add_co_u32_e32 v8, vcc, v16, v8
	v_addc_co_u32_e32 v9, vcc, v17, v9, vcc
	s_waitcnt lgkmcnt(0)
	v_add_co_u32_e32 v2, vcc, v18, v2
	v_addc_co_u32_e32 v3, vcc, v19, v3, vcc
	v_add_co_u32_e32 v4, vcc, v20, v4
	v_addc_co_u32_e32 v5, vcc, v21, v5, vcc
	ds_write_b128 v1, v[6:9] offset:32
	ds_write_b128 v1, v[2:5] offset:48
.LBB106_33:
	s_or_b64 exec, exec, s[0:1]
	v_cmp_gt_u32_e32 vcc, 64, v0
	s_waitcnt lgkmcnt(0)
	s_barrier
	s_and_saveexec_b64 s[0:1], vcc
	s_cbranch_execz .LBB106_35
; %bb.34:
	ds_read_b128 v[2:5], v1 offset:4096
	ds_read_b128 v[6:9], v1
	ds_read_b128 v[10:13], v1 offset:16
	ds_read_b128 v[14:17], v1 offset:32
	ds_read_b128 v[18:21], v1 offset:48
	ds_read_b128 v[22:25], v1 offset:4112
	s_waitcnt lgkmcnt(4)
	v_add_co_u32_e32 v2, vcc, v6, v2
	v_addc_co_u32_e32 v3, vcc, v7, v3, vcc
	v_add_co_u32_e32 v4, vcc, v8, v4
	v_addc_co_u32_e32 v5, vcc, v9, v5, vcc
	ds_write_b128 v1, v[2:5]
	s_waitcnt lgkmcnt(1)
	v_add_co_u32_e32 v2, vcc, v10, v22
	ds_read_b128 v[6:9], v1 offset:4128
	v_addc_co_u32_e32 v3, vcc, v11, v23, vcc
	v_add_co_u32_e32 v4, vcc, v12, v24
	v_addc_co_u32_e32 v5, vcc, v13, v25, vcc
	ds_write_b128 v1, v[2:5] offset:16
	ds_read_b128 v[2:5], v1 offset:4144
	s_waitcnt lgkmcnt(2)
	v_add_co_u32_e32 v6, vcc, v14, v6
	v_addc_co_u32_e32 v7, vcc, v15, v7, vcc
	v_add_co_u32_e32 v8, vcc, v16, v8
	v_addc_co_u32_e32 v9, vcc, v17, v9, vcc
	s_waitcnt lgkmcnt(0)
	v_add_co_u32_e32 v2, vcc, v18, v2
	v_addc_co_u32_e32 v3, vcc, v19, v3, vcc
	v_add_co_u32_e32 v4, vcc, v20, v4
	v_addc_co_u32_e32 v5, vcc, v21, v5, vcc
	ds_write_b128 v1, v[6:9] offset:32
	ds_write_b128 v1, v[2:5] offset:48
.LBB106_35:
	s_or_b64 exec, exec, s[0:1]
	v_cmp_gt_u32_e32 vcc, 32, v0
	s_waitcnt lgkmcnt(0)
	s_barrier
	;; [unrolled: 40-line block ×4, first 2 shown]
	s_and_saveexec_b64 s[2:3], vcc
	s_cbranch_execz .LBB106_41
; %bb.40:
	ds_read_b128 v[2:5], v1 offset:512
	ds_read_b128 v[6:9], v1
	ds_read_b128 v[10:13], v1 offset:16
	ds_read_b128 v[14:17], v1 offset:32
	;; [unrolled: 1-line block ×4, first 2 shown]
	s_waitcnt lgkmcnt(4)
	v_add_co_u32_e64 v2, s[0:1], v6, v2
	v_addc_co_u32_e64 v3, s[0:1], v7, v3, s[0:1]
	v_add_co_u32_e64 v4, s[0:1], v8, v4
	v_addc_co_u32_e64 v5, s[0:1], v9, v5, s[0:1]
	ds_write_b128 v1, v[2:5]
	s_waitcnt lgkmcnt(1)
	v_add_co_u32_e64 v2, s[0:1], v10, v22
	ds_read_b128 v[6:9], v1 offset:544
	v_addc_co_u32_e64 v3, s[0:1], v11, v23, s[0:1]
	v_add_co_u32_e64 v4, s[0:1], v12, v24
	v_addc_co_u32_e64 v5, s[0:1], v13, v25, s[0:1]
	ds_write_b128 v1, v[2:5] offset:16
	ds_read_b128 v[2:5], v1 offset:560
	s_waitcnt lgkmcnt(2)
	v_add_co_u32_e64 v6, s[0:1], v14, v6
	v_addc_co_u32_e64 v7, s[0:1], v15, v7, s[0:1]
	v_add_co_u32_e64 v8, s[0:1], v16, v8
	v_addc_co_u32_e64 v9, s[0:1], v17, v9, s[0:1]
	s_waitcnt lgkmcnt(0)
	v_add_co_u32_e64 v2, s[0:1], v18, v2
	v_addc_co_u32_e64 v3, s[0:1], v19, v3, s[0:1]
	v_add_co_u32_e64 v4, s[0:1], v20, v4
	v_addc_co_u32_e64 v5, s[0:1], v21, v5, s[0:1]
	ds_write_b128 v1, v[6:9] offset:32
	ds_write_b128 v1, v[2:5] offset:48
.LBB106_41:
	s_or_b64 exec, exec, s[2:3]
	v_cmp_gt_u32_e64 s[0:1], 4, v0
	s_waitcnt lgkmcnt(0)
	s_barrier
	s_and_saveexec_b64 s[2:3], s[0:1]
	s_cbranch_execz .LBB106_43
; %bb.42:
	ds_read_b128 v[2:5], v1 offset:256
	ds_read_b128 v[6:9], v1
	ds_read_b128 v[10:13], v1 offset:16
	ds_read_b128 v[14:17], v1 offset:32
	;; [unrolled: 1-line block ×4, first 2 shown]
	s_waitcnt lgkmcnt(4)
	v_add_co_u32_e64 v2, s[0:1], v6, v2
	v_addc_co_u32_e64 v3, s[0:1], v7, v3, s[0:1]
	v_add_co_u32_e64 v4, s[0:1], v8, v4
	v_addc_co_u32_e64 v5, s[0:1], v9, v5, s[0:1]
	ds_write_b128 v1, v[2:5]
	s_waitcnt lgkmcnt(1)
	v_add_co_u32_e64 v2, s[0:1], v10, v22
	ds_read_b128 v[6:9], v1 offset:288
	v_addc_co_u32_e64 v3, s[0:1], v11, v23, s[0:1]
	v_add_co_u32_e64 v4, s[0:1], v12, v24
	v_addc_co_u32_e64 v5, s[0:1], v13, v25, s[0:1]
	ds_write_b128 v1, v[2:5] offset:16
	ds_read_b128 v[2:5], v1 offset:304
	s_waitcnt lgkmcnt(2)
	v_add_co_u32_e64 v6, s[0:1], v14, v6
	v_addc_co_u32_e64 v7, s[0:1], v15, v7, s[0:1]
	v_add_co_u32_e64 v8, s[0:1], v16, v8
	v_addc_co_u32_e64 v9, s[0:1], v17, v9, s[0:1]
	s_waitcnt lgkmcnt(0)
	v_add_co_u32_e64 v2, s[0:1], v18, v2
	v_addc_co_u32_e64 v3, s[0:1], v19, v3, s[0:1]
	v_add_co_u32_e64 v4, s[0:1], v20, v4
	v_addc_co_u32_e64 v5, s[0:1], v21, v5, s[0:1]
	ds_write_b128 v1, v[6:9] offset:32
	ds_write_b128 v1, v[2:5] offset:48
.LBB106_43:
	s_or_b64 exec, exec, s[2:3]
	v_cmp_gt_u32_e64 s[0:1], 2, v0
	s_waitcnt lgkmcnt(0)
	s_barrier
	s_and_saveexec_b64 s[2:3], s[0:1]
	s_cbranch_execz .LBB106_45
; %bb.44:
	ds_read_b128 v[2:5], v1 offset:128
	ds_read_b128 v[6:9], v1
	ds_read_b128 v[10:13], v1 offset:16
	ds_read_b128 v[14:17], v1 offset:32
	;; [unrolled: 1-line block ×4, first 2 shown]
	s_waitcnt lgkmcnt(4)
	v_add_co_u32_e64 v2, s[0:1], v6, v2
	v_addc_co_u32_e64 v3, s[0:1], v7, v3, s[0:1]
	v_add_co_u32_e64 v4, s[0:1], v8, v4
	v_addc_co_u32_e64 v5, s[0:1], v9, v5, s[0:1]
	ds_write_b128 v1, v[2:5]
	s_waitcnt lgkmcnt(1)
	v_add_co_u32_e64 v2, s[0:1], v10, v22
	ds_read_b128 v[6:9], v1 offset:160
	v_addc_co_u32_e64 v3, s[0:1], v11, v23, s[0:1]
	v_add_co_u32_e64 v4, s[0:1], v12, v24
	v_addc_co_u32_e64 v5, s[0:1], v13, v25, s[0:1]
	ds_write_b128 v1, v[2:5] offset:16
	ds_read_b128 v[2:5], v1 offset:176
	s_waitcnt lgkmcnt(2)
	v_add_co_u32_e64 v6, s[0:1], v14, v6
	v_addc_co_u32_e64 v7, s[0:1], v15, v7, s[0:1]
	v_add_co_u32_e64 v8, s[0:1], v16, v8
	v_addc_co_u32_e64 v9, s[0:1], v17, v9, s[0:1]
	s_waitcnt lgkmcnt(0)
	v_add_co_u32_e64 v2, s[0:1], v18, v2
	v_addc_co_u32_e64 v3, s[0:1], v19, v3, s[0:1]
	v_add_co_u32_e64 v4, s[0:1], v20, v4
	v_addc_co_u32_e64 v5, s[0:1], v21, v5, s[0:1]
	ds_write_b128 v1, v[6:9] offset:32
	ds_write_b128 v1, v[2:5] offset:48
.LBB106_45:
	s_or_b64 exec, exec, s[2:3]
	v_cmp_eq_u32_e64 s[0:1], 0, v0
	s_waitcnt lgkmcnt(0)
	s_barrier
	s_and_saveexec_b64 s[2:3], s[0:1]
	s_cbranch_execz .LBB106_47
; %bb.46:
	v_mov_b32_e32 v1, 0
	ds_read_b128 v[2:5], v1 offset:64
	ds_read_b128 v[6:9], v1
	ds_read_b128 v[10:13], v1 offset:16
	ds_read_b128 v[14:17], v1 offset:32
	ds_read_b128 v[18:21], v1 offset:48
	ds_read_b128 v[22:25], v1 offset:80
	s_waitcnt lgkmcnt(4)
	v_add_co_u32_e64 v2, s[0:1], v6, v2
	v_addc_co_u32_e64 v3, s[0:1], v7, v3, s[0:1]
	v_add_co_u32_e64 v4, s[0:1], v8, v4
	v_addc_co_u32_e64 v5, s[0:1], v9, v5, s[0:1]
	ds_write_b128 v1, v[2:5]
	s_waitcnt lgkmcnt(1)
	v_add_co_u32_e64 v2, s[0:1], v10, v22
	ds_read_b128 v[6:9], v1 offset:96
	v_addc_co_u32_e64 v3, s[0:1], v11, v23, s[0:1]
	v_add_co_u32_e64 v4, s[0:1], v12, v24
	v_addc_co_u32_e64 v5, s[0:1], v13, v25, s[0:1]
	ds_write_b128 v1, v[2:5] offset:16
	ds_read_b128 v[2:5], v1 offset:112
	s_waitcnt lgkmcnt(2)
	v_add_co_u32_e64 v6, s[0:1], v14, v6
	v_addc_co_u32_e64 v7, s[0:1], v15, v7, s[0:1]
	v_add_co_u32_e64 v8, s[0:1], v16, v8
	v_addc_co_u32_e64 v9, s[0:1], v17, v9, s[0:1]
	s_waitcnt lgkmcnt(0)
	v_add_co_u32_e64 v2, s[0:1], v18, v2
	v_addc_co_u32_e64 v3, s[0:1], v19, v3, s[0:1]
	v_add_co_u32_e64 v4, s[0:1], v20, v4
	v_addc_co_u32_e64 v5, s[0:1], v21, v5, s[0:1]
	ds_write_b128 v1, v[6:9] offset:32
	ds_write_b128 v1, v[2:5] offset:48
.LBB106_47:
	s_or_b64 exec, exec, s[2:3]
	s_waitcnt lgkmcnt(0)
	s_barrier
	s_and_saveexec_b64 s[0:1], vcc
	s_cbranch_execz .LBB106_49
; %bb.48:
	v_lshl_or_b32 v2, s6, 3, v0
	v_lshlrev_b32_e32 v0, 3, v0
	ds_read_b64 v[0:1], v0
	v_mov_b32_e32 v3, 0
	v_lshlrev_b64 v[2:3], 3, v[2:3]
	v_mov_b32_e32 v4, s9
	v_add_co_u32_e32 v2, vcc, s8, v2
	v_addc_co_u32_e32 v3, vcc, v4, v3, vcc
	s_waitcnt lgkmcnt(0)
	global_store_dwordx2 v[2:3], v[0:1], off
.LBB106_49:
	s_endpgm
	.section	.rodata,"a",@progbits
	.p2align	6, 0x0
	.amdhsa_kernel _ZN9rocsparseL26bsrgemm_group_reduce_part2ILj256ELj8ELj8EdllEEvT4_PKT3_PS1_Pi
		.amdhsa_group_segment_fixed_size 16384
		.amdhsa_private_segment_fixed_size 0
		.amdhsa_kernarg_size 288
		.amdhsa_user_sgpr_count 6
		.amdhsa_user_sgpr_private_segment_buffer 1
		.amdhsa_user_sgpr_dispatch_ptr 0
		.amdhsa_user_sgpr_queue_ptr 0
		.amdhsa_user_sgpr_kernarg_segment_ptr 1
		.amdhsa_user_sgpr_dispatch_id 0
		.amdhsa_user_sgpr_flat_scratch_init 0
		.amdhsa_user_sgpr_kernarg_preload_length 0
		.amdhsa_user_sgpr_kernarg_preload_offset 0
		.amdhsa_user_sgpr_private_segment_size 0
		.amdhsa_uses_dynamic_stack 0
		.amdhsa_system_sgpr_private_segment_wavefront_offset 0
		.amdhsa_system_sgpr_workgroup_id_x 1
		.amdhsa_system_sgpr_workgroup_id_y 0
		.amdhsa_system_sgpr_workgroup_id_z 0
		.amdhsa_system_sgpr_workgroup_info 0
		.amdhsa_system_vgpr_workitem_id 0
		.amdhsa_next_free_vgpr 26
		.amdhsa_next_free_sgpr 38
		.amdhsa_accum_offset 28
		.amdhsa_reserve_vcc 1
		.amdhsa_reserve_flat_scratch 0
		.amdhsa_float_round_mode_32 0
		.amdhsa_float_round_mode_16_64 0
		.amdhsa_float_denorm_mode_32 3
		.amdhsa_float_denorm_mode_16_64 3
		.amdhsa_dx10_clamp 1
		.amdhsa_ieee_mode 1
		.amdhsa_fp16_overflow 0
		.amdhsa_tg_split 0
		.amdhsa_exception_fp_ieee_invalid_op 0
		.amdhsa_exception_fp_denorm_src 0
		.amdhsa_exception_fp_ieee_div_zero 0
		.amdhsa_exception_fp_ieee_overflow 0
		.amdhsa_exception_fp_ieee_underflow 0
		.amdhsa_exception_fp_ieee_inexact 0
		.amdhsa_exception_int_div_zero 0
	.end_amdhsa_kernel
	.section	.text._ZN9rocsparseL26bsrgemm_group_reduce_part2ILj256ELj8ELj8EdllEEvT4_PKT3_PS1_Pi,"axG",@progbits,_ZN9rocsparseL26bsrgemm_group_reduce_part2ILj256ELj8ELj8EdllEEvT4_PKT3_PS1_Pi,comdat
.Lfunc_end106:
	.size	_ZN9rocsparseL26bsrgemm_group_reduce_part2ILj256ELj8ELj8EdllEEvT4_PKT3_PS1_Pi, .Lfunc_end106-_ZN9rocsparseL26bsrgemm_group_reduce_part2ILj256ELj8ELj8EdllEEvT4_PKT3_PS1_Pi
                                        ; -- End function
	.section	.AMDGPU.csdata,"",@progbits
; Kernel info:
; codeLenInByte = 2788
; NumSgprs: 42
; NumVgprs: 26
; NumAgprs: 0
; TotalNumVgprs: 26
; ScratchSize: 0
; MemoryBound: 0
; FloatMode: 240
; IeeeMode: 1
; LDSByteSize: 16384 bytes/workgroup (compile time only)
; SGPRBlocks: 5
; VGPRBlocks: 3
; NumSGPRsForWavesPerEU: 42
; NumVGPRsForWavesPerEU: 26
; AccumOffset: 28
; Occupancy: 4
; WaveLimiterHint : 0
; COMPUTE_PGM_RSRC2:SCRATCH_EN: 0
; COMPUTE_PGM_RSRC2:USER_SGPR: 6
; COMPUTE_PGM_RSRC2:TRAP_HANDLER: 0
; COMPUTE_PGM_RSRC2:TGID_X_EN: 1
; COMPUTE_PGM_RSRC2:TGID_Y_EN: 0
; COMPUTE_PGM_RSRC2:TGID_Z_EN: 0
; COMPUTE_PGM_RSRC2:TIDIG_COMP_CNT: 0
; COMPUTE_PGM_RSRC3_GFX90A:ACCUM_OFFSET: 6
; COMPUTE_PGM_RSRC3_GFX90A:TG_SPLIT: 0
	.section	.text._ZN9rocsparseL27bsrgemm_fill_wf_per_row_2x2ILj256ELj16ELj8ELj137ElldEEv20rocsparse_direction_T4_S2_PKS2_S4_NS_24const_host_device_scalarIT5_EEPKT3_S4_PKS6_SA_S4_SC_S7_SA_S4_SC_SA_PS2_PS6_21rocsparse_index_base_SF_SF_SF_bbb,"axG",@progbits,_ZN9rocsparseL27bsrgemm_fill_wf_per_row_2x2ILj256ELj16ELj8ELj137ElldEEv20rocsparse_direction_T4_S2_PKS2_S4_NS_24const_host_device_scalarIT5_EEPKT3_S4_PKS6_SA_S4_SC_S7_SA_S4_SC_SA_PS2_PS6_21rocsparse_index_base_SF_SF_SF_bbb,comdat
	.globl	_ZN9rocsparseL27bsrgemm_fill_wf_per_row_2x2ILj256ELj16ELj8ELj137ElldEEv20rocsparse_direction_T4_S2_PKS2_S4_NS_24const_host_device_scalarIT5_EEPKT3_S4_PKS6_SA_S4_SC_S7_SA_S4_SC_SA_PS2_PS6_21rocsparse_index_base_SF_SF_SF_bbb ; -- Begin function _ZN9rocsparseL27bsrgemm_fill_wf_per_row_2x2ILj256ELj16ELj8ELj137ElldEEv20rocsparse_direction_T4_S2_PKS2_S4_NS_24const_host_device_scalarIT5_EEPKT3_S4_PKS6_SA_S4_SC_S7_SA_S4_SC_SA_PS2_PS6_21rocsparse_index_base_SF_SF_SF_bbb
	.p2align	8
	.type	_ZN9rocsparseL27bsrgemm_fill_wf_per_row_2x2ILj256ELj16ELj8ELj137ElldEEv20rocsparse_direction_T4_S2_PKS2_S4_NS_24const_host_device_scalarIT5_EEPKT3_S4_PKS6_SA_S4_SC_S7_SA_S4_SC_SA_PS2_PS6_21rocsparse_index_base_SF_SF_SF_bbb,@function
_ZN9rocsparseL27bsrgemm_fill_wf_per_row_2x2ILj256ELj16ELj8ELj137ElldEEv20rocsparse_direction_T4_S2_PKS2_S4_NS_24const_host_device_scalarIT5_EEPKT3_S4_PKS6_SA_S4_SC_S7_SA_S4_SC_SA_PS2_PS6_21rocsparse_index_base_SF_SF_SF_bbb: ; @_ZN9rocsparseL27bsrgemm_fill_wf_per_row_2x2ILj256ELj16ELj8ELj137ElldEEv20rocsparse_direction_T4_S2_PKS2_S4_NS_24const_host_device_scalarIT5_EEPKT3_S4_PKS6_SA_S4_SC_S7_SA_S4_SC_SA_PS2_PS6_21rocsparse_index_base_SF_SF_SF_bbb
; %bb.0:
	s_load_dword s7, s[4:5], 0xa8
	s_load_dwordx2 s[2:3], s[4:5], 0x28
	s_load_dwordx2 s[0:1], s[4:5], 0x60
	s_waitcnt lgkmcnt(0)
	s_and_b32 s10, 1, s7
	s_bitcmp1_b32 s7, 16
	s_cselect_b64 s[8:9], -1, 0
	s_cmp_eq_u32 s10, 1
	s_cselect_b64 s[34:35], -1, 0
	s_and_b64 s[10:11], s[34:35], exec
	s_cselect_b32 s11, s3, 0
	s_cselect_b32 s10, s2, 0
	s_xor_b64 s[12:13], s[34:35], -1
	s_or_b64 s[12:13], s[12:13], s[8:9]
	s_and_b64 vcc, exec, s[12:13]
	v_pk_mov_b32 v[8:9], s[10:11], s[10:11] op_sel:[0,1]
	s_cbranch_vccnz .LBB107_2
; %bb.1:
	v_pk_mov_b32 v[2:3], s[2:3], s[2:3] op_sel:[0,1]
	flat_load_dwordx2 v[8:9], v[2:3]
.LBB107_2:
	s_bitcmp1_b32 s7, 8
	s_load_dwordx4 s[36:39], s[4:5], 0x98
	s_cselect_b64 s[2:3], -1, 0
	s_and_b64 s[10:11], s[2:3], exec
	s_cselect_b32 s11, s1, 0
	s_cselect_b32 s10, s0, 0
	s_xor_b64 s[12:13], s[2:3], -1
	s_or_b64 s[8:9], s[12:13], s[8:9]
	s_and_b64 vcc, exec, s[8:9]
	v_pk_mov_b32 v[4:5], s[10:11], s[10:11] op_sel:[0,1]
	s_cbranch_vccnz .LBB107_4
; %bb.3:
	v_pk_mov_b32 v[2:3], s[0:1], s[0:1] op_sel:[0,1]
	flat_load_dwordx2 v[4:5], v[2:3]
.LBB107_4:
	s_load_dwordx4 s[40:43], s[4:5], 0x88
	s_load_dwordx8 s[8:15], s[4:5], 0x68
	s_load_dwordx4 s[44:47], s[4:5], 0x50
	s_load_dwordx8 s[16:23], s[4:5], 0x8
	s_load_dwordx8 s[24:31], s[4:5], 0x30
	v_and_b32_e32 v25, 15, v0
	v_lshrrev_b32_e32 v2, 4, v0
	v_mov_b32_e32 v0, 0x1000
	v_lshl_or_b32 v41, v2, 6, v0
	v_cmp_gt_u32_e64 s[0:1], 8, v25
	s_and_saveexec_b64 s[48:49], s[0:1]
	s_cbranch_execz .LBB107_6
; %bb.5:
	v_lshl_add_u32 v3, v25, 3, v41
	s_waitcnt lgkmcnt(0)
	v_pk_mov_b32 v[0:1], s[18:19], s[18:19] op_sel:[0,1]
	ds_write_b64 v3, v[0:1]
.LBB107_6:
	s_or_b64 exec, exec, s[48:49]
	v_lshlrev_b32_e32 v0, 3, v25
	v_lshl_or_b32 v6, v2, 8, v0
	v_mov_b32_e32 v0, 0
	v_or_b32_e32 v3, -16, v25
	s_mov_b64 s[48:49], 0
	v_mov_b32_e32 v1, v0
.LBB107_7:                              ; =>This Inner Loop Header: Depth=1
	v_add_co_u32_e32 v3, vcc, 16, v3
	s_xor_b64 s[50:51], vcc, -1
	s_and_b64 s[50:51], exec, s[50:51]
	ds_write_b64 v6, v[0:1]
	s_or_b64 s[48:49], s[50:51], s[48:49]
	v_add_u32_e32 v6, 0x80, v6
	s_andn2_b64 exec, exec, s[48:49]
	s_cbranch_execnz .LBB107_7
; %bb.8:
	s_or_b64 exec, exec, s[48:49]
	v_lshl_or_b32 v6, s6, 4, v2
	v_mov_b32_e32 v7, 0
	s_waitcnt lgkmcnt(0)
	v_cmp_gt_i64_e32 vcc, s[16:17], v[6:7]
	s_barrier
	s_and_saveexec_b64 s[6:7], vcc
	s_cbranch_execz .LBB107_14
; %bb.9:
	s_cmp_eq_u64 s[22:23], 0
	s_cbranch_scc1 .LBB107_11
; %bb.10:
	s_load_dwordx2 s[6:7], s[20:21], 0x0
	v_lshlrev_b64 v[0:1], 3, v[6:7]
	s_waitcnt lgkmcnt(0)
	s_lshl_b64 s[6:7], s[6:7], 3
	s_add_u32 s6, s22, s6
	s_addc_u32 s7, s23, s7
	v_mov_b32_e32 v3, s7
	v_add_co_u32_e32 v0, vcc, s6, v0
	v_addc_co_u32_e32 v1, vcc, v3, v1, vcc
	global_load_dwordx2 v[6:7], v[0:1], off
.LBB107_11:
	s_load_dword s33, s[4:5], 0x0
	s_andn2_b64 vcc, exec, s[34:35]
	v_lshlrev_b32_e32 v40, 8, v2
	s_cbranch_vccz .LBB107_15
; %bb.12:
	s_andn2_b64 vcc, exec, s[2:3]
	s_waitcnt lgkmcnt(0)
	s_cbranch_vccz .LBB107_70
.LBB107_13:
	s_and_b64 exec, exec, s[0:1]
	s_cbranch_execnz .LBB107_122
.LBB107_14:
	s_endpgm
.LBB107_15:
	s_waitcnt vmcnt(0)
	v_lshlrev_b64 v[0:1], 3, v[6:7]
	v_mov_b32_e32 v2, s25
	v_add_co_u32_e32 v0, vcc, s24, v0
	v_addc_co_u32_e32 v1, vcc, v2, v1, vcc
	global_load_dwordx4 v[0:3], v[0:1], off
	v_subrev_co_u32_e32 v12, vcc, s36, v25
	v_subb_co_u32_e64 v13, s[4:5], 0, 0, vcc
	s_mov_b32 s16, 0
	s_waitcnt vmcnt(0)
	v_subrev_co_u32_e32 v10, vcc, s36, v2
	v_subbrev_co_u32_e32 v11, vcc, 0, v3, vcc
	v_add_co_u32_e32 v12, vcc, v0, v12
	v_addc_co_u32_e32 v13, vcc, v1, v13, vcc
	v_cmp_lt_i64_e32 vcc, v[12:13], v[10:11]
	s_and_saveexec_b64 s[4:5], vcc
	s_cbranch_execz .LBB107_69
; %bb.16:
	s_waitcnt lgkmcnt(0)
	s_cmp_eq_u32 s33, 0
	s_mov_b32 s52, s36
	s_mov_b32 s53, s37
	;; [unrolled: 1-line block ×3, first 2 shown]
	s_cselect_b32 s55, 1, 2
	s_cselect_b32 s56, 2, 1
	s_mov_b64 s[6:7], 0
	v_mov_b32_e32 v42, s27
	v_mov_b32_e32 v43, s16
	;; [unrolled: 1-line block ×3, first 2 shown]
	s_branch .LBB107_18
.LBB107_17:                             ;   in Loop: Header=BB107_18 Depth=1
	s_or_b64 exec, exec, s[16:17]
	v_add_co_u32_e32 v12, vcc, 16, v12
	v_addc_co_u32_e32 v13, vcc, 0, v13, vcc
	v_cmp_ge_i64_e32 vcc, v[12:13], v[10:11]
	s_or_b64 s[6:7], vcc, s[6:7]
	s_andn2_b64 exec, exec, s[6:7]
	s_cbranch_execz .LBB107_69
.LBB107_18:                             ; =>This Loop Header: Depth=1
                                        ;     Child Loop BB107_21 Depth 2
                                        ;       Child Loop BB107_23 Depth 3
                                        ;       Child Loop BB107_35 Depth 3
	;; [unrolled: 1-line block ×4, first 2 shown]
	v_lshlrev_b64 v[0:1], 3, v[12:13]
	v_add_co_u32_e32 v0, vcc, s26, v0
	v_addc_co_u32_e32 v1, vcc, v42, v1, vcc
	global_load_dwordx2 v[0:1], v[0:1], off
	s_waitcnt vmcnt(0)
	v_subrev_co_u32_e32 v0, vcc, s52, v0
	v_subb_co_u32_e32 v1, vcc, v1, v43, vcc
	v_lshlrev_b64 v[0:1], 3, v[0:1]
	v_add_co_u32_e32 v0, vcc, s30, v0
	v_addc_co_u32_e32 v1, vcc, v44, v1, vcc
	global_load_dwordx4 v[0:3], v[0:1], off
	s_waitcnt vmcnt(0)
	v_cmp_lt_i64_e32 vcc, v[0:1], v[2:3]
	s_and_saveexec_b64 s[16:17], vcc
	s_cbranch_execz .LBB107_17
; %bb.19:                               ;   in Loop: Header=BB107_18 Depth=1
	v_lshlrev_b64 v[14:15], 2, v[12:13]
	v_lshlrev_b64 v[18:19], 5, v[12:13]
	v_or_b32_e32 v17, 0, v15
	v_or_b32_e32 v16, s55, v14
	;; [unrolled: 1-line block ×4, first 2 shown]
	v_mov_b32_e32 v20, s29
	v_add_co_u32_e32 v18, vcc, s28, v18
	v_addc_co_u32_e32 v19, vcc, v20, v19, vcc
	v_lshlrev_b64 v[14:15], 3, v[14:15]
	v_add_co_u32_e32 v14, vcc, s28, v14
	v_addc_co_u32_e32 v15, vcc, v20, v15, vcc
	v_lshlrev_b64 v[16:17], 3, v[16:17]
	v_add_co_u32_e32 v16, vcc, s28, v16
	v_addc_co_u32_e32 v17, vcc, v20, v17, vcc
	global_load_dwordx2 v[20:21], v[18:19], off offset:24
	global_load_dwordx2 v[22:23], v[14:15], off
	global_load_dwordx2 v[26:27], v[16:17], off
	global_load_dwordx2 v[28:29], v[18:19], off
	v_mov_b32_e32 v14, s54
	v_subrev_co_u32_e32 v2, vcc, s53, v2
	v_subb_co_u32_e32 v3, vcc, v3, v14, vcc
	v_subrev_co_u32_e32 v0, vcc, s53, v0
	v_subb_co_u32_e32 v1, vcc, v1, v14, vcc
	s_mov_b64 s[20:21], 0
	s_waitcnt vmcnt(3)
	v_mul_f64 v[14:15], v[8:9], v[20:21]
	s_waitcnt vmcnt(2)
	v_mul_f64 v[16:17], v[8:9], v[22:23]
	;; [unrolled: 2-line block ×4, first 2 shown]
	s_branch .LBB107_21
.LBB107_20:                             ;   in Loop: Header=BB107_21 Depth=2
	s_or_b64 exec, exec, s[22:23]
	v_add_co_u32_e32 v0, vcc, 1, v0
	v_addc_co_u32_e32 v1, vcc, 0, v1, vcc
	v_cmp_ge_i64_e32 vcc, v[0:1], v[2:3]
	s_or_b64 s[20:21], vcc, s[20:21]
	s_andn2_b64 exec, exec, s[20:21]
	s_cbranch_execz .LBB107_17
.LBB107_21:                             ;   Parent Loop BB107_18 Depth=1
                                        ; =>  This Loop Header: Depth=2
                                        ;       Child Loop BB107_23 Depth 3
                                        ;       Child Loop BB107_35 Depth 3
	;; [unrolled: 1-line block ×4, first 2 shown]
	v_lshlrev_b64 v[22:23], 3, v[0:1]
	v_mov_b32_e32 v24, s45
	v_add_co_u32_e32 v22, vcc, s44, v22
	v_addc_co_u32_e32 v23, vcc, v24, v23, vcc
	v_lshlrev_b64 v[26:27], 2, v[0:1]
	v_lshlrev_b64 v[30:31], 5, v[0:1]
	v_or_b32_e32 v29, 0, v27
	v_or_b32_e32 v28, s55, v26
	;; [unrolled: 1-line block ×4, first 2 shown]
	v_mov_b32_e32 v24, s47
	v_add_co_u32_e32 v34, vcc, s46, v30
	v_addc_co_u32_e32 v35, vcc, v24, v31, vcc
	v_lshlrev_b64 v[26:27], 3, v[26:27]
	v_add_co_u32_e32 v26, vcc, s46, v26
	global_load_dwordx2 v[22:23], v[22:23], off
	v_lshlrev_b64 v[28:29], 3, v[28:29]
	v_addc_co_u32_e32 v27, vcc, v24, v27, vcc
	global_load_dwordx2 v[30:31], v[34:35], off
	global_load_dwordx2 v[32:33], v[26:27], off
	v_add_co_u32_e32 v36, vcc, s46, v28
	v_addc_co_u32_e32 v37, vcc, v24, v29, vcc
	global_load_dwordx2 v[26:27], v[36:37], off
	global_load_dwordx2 v[28:29], v[34:35], off offset:24
	v_mov_b32_e32 v24, s54
	s_mov_b64 s[22:23], 0
	s_waitcnt vmcnt(4)
	v_subrev_co_u32_e32 v22, vcc, s53, v22
	v_subb_co_u32_e32 v23, vcc, v23, v24, vcc
	v_and_b32_e32 v24, 7, v22
	s_waitcnt vmcnt(2)
	v_mul_f64 v[34:35], v[20:21], v[32:33]
	v_fmac_f64_e32 v[34:35], v[18:19], v[30:31]
	v_pk_mov_b32 v[36:37], v[24:25], v[24:25] op_sel:[0,1]
	s_branch .LBB107_23
.LBB107_22:                             ;   in Loop: Header=BB107_23 Depth=3
	s_or_b64 exec, exec, s[24:25]
	s_xor_b64 s[24:25], s[34:35], -1
	s_and_b64 s[24:25], exec, s[24:25]
	s_or_b64 s[22:23], s[24:25], s[22:23]
	s_andn2_b64 exec, exec, s[22:23]
	s_cbranch_execz .LBB107_33
.LBB107_23:                             ;   Parent Loop BB107_18 Depth=1
                                        ;     Parent Loop BB107_21 Depth=2
                                        ; =>    This Inner Loop Header: Depth=3
	v_lshl_add_u32 v37, v36, 3, v41
	ds_read_b64 v[38:39], v37
                                        ; implicit-def: $sgpr34_sgpr35
	s_waitcnt lgkmcnt(0)
	v_cmp_ne_u64_e32 vcc, v[38:39], v[22:23]
	s_and_saveexec_b64 s[24:25], vcc
	s_xor_b64 s[24:25], exec, s[24:25]
	s_cbranch_execz .LBB107_31
; %bb.24:                               ;   in Loop: Header=BB107_23 Depth=3
	v_cmp_ne_u64_e32 vcc, s[18:19], v[38:39]
                                        ; implicit-def: $sgpr34_sgpr35
	s_and_saveexec_b64 s[36:37], vcc
	s_xor_b64 s[36:37], exec, s[36:37]
; %bb.25:                               ;   in Loop: Header=BB107_23 Depth=3
	v_add_u32_e32 v36, 1, v36
	v_and_b32_e32 v36, 7, v36
	s_mov_b64 s[34:35], -1
                                        ; implicit-def: $vgpr37
; %bb.26:                               ;   in Loop: Header=BB107_23 Depth=3
	s_andn2_saveexec_b64 s[36:37], s[36:37]
	s_cbranch_execz .LBB107_30
; %bb.27:                               ;   in Loop: Header=BB107_23 Depth=3
	v_pk_mov_b32 v[38:39], s[18:19], s[18:19] op_sel:[0,1]
	ds_cmpst_rtn_b64 v[38:39], v37, v[38:39], v[22:23]
	s_mov_b64 s[48:49], -1
	s_waitcnt lgkmcnt(0)
	v_cmp_eq_u64_e32 vcc, s[18:19], v[38:39]
	s_and_saveexec_b64 s[50:51], vcc
	s_cbranch_execz .LBB107_29
; %bb.28:                               ;   in Loop: Header=BB107_23 Depth=3
	v_lshl_add_u32 v37, v36, 5, v40
	ds_add_f64 v37, v[34:35]
	s_xor_b64 s[48:49], exec, -1
.LBB107_29:                             ;   in Loop: Header=BB107_23 Depth=3
	s_or_b64 exec, exec, s[50:51]
	s_andn2_b64 s[34:35], s[34:35], exec
	s_and_b64 s[48:49], s[48:49], exec
	s_or_b64 s[34:35], s[34:35], s[48:49]
.LBB107_30:                             ;   in Loop: Header=BB107_23 Depth=3
	s_or_b64 exec, exec, s[36:37]
	s_and_b64 s[34:35], s[34:35], exec
.LBB107_31:                             ;   in Loop: Header=BB107_23 Depth=3
	s_andn2_saveexec_b64 s[24:25], s[24:25]
	s_cbranch_execz .LBB107_22
; %bb.32:                               ;   in Loop: Header=BB107_23 Depth=3
	v_lshl_add_u32 v37, v36, 5, v40
	ds_add_f64 v37, v[34:35]
	s_andn2_b64 s[34:35], s[34:35], exec
	s_branch .LBB107_22
.LBB107_33:                             ;   in Loop: Header=BB107_21 Depth=2
	s_or_b64 exec, exec, s[22:23]
	s_waitcnt vmcnt(0)
	v_mul_f64 v[34:35], v[20:21], v[28:29]
	v_fmac_f64_e32 v[34:35], v[18:19], v[26:27]
	s_mov_b64 s[22:23], 0
	v_pk_mov_b32 v[36:37], v[24:25], v[24:25] op_sel:[0,1]
	s_branch .LBB107_35
.LBB107_34:                             ;   in Loop: Header=BB107_35 Depth=3
	s_or_b64 exec, exec, s[24:25]
	s_xor_b64 s[24:25], s[34:35], -1
	s_and_b64 s[24:25], exec, s[24:25]
	s_or_b64 s[22:23], s[24:25], s[22:23]
	s_andn2_b64 exec, exec, s[22:23]
	s_cbranch_execz .LBB107_45
.LBB107_35:                             ;   Parent Loop BB107_18 Depth=1
                                        ;     Parent Loop BB107_21 Depth=2
                                        ; =>    This Inner Loop Header: Depth=3
	v_lshl_add_u32 v37, v36, 3, v41
	ds_read_b64 v[38:39], v37
                                        ; implicit-def: $sgpr34_sgpr35
	s_waitcnt lgkmcnt(0)
	v_cmp_ne_u64_e32 vcc, v[38:39], v[22:23]
	s_and_saveexec_b64 s[24:25], vcc
	s_xor_b64 s[24:25], exec, s[24:25]
	s_cbranch_execz .LBB107_43
; %bb.36:                               ;   in Loop: Header=BB107_35 Depth=3
	v_cmp_ne_u64_e32 vcc, s[18:19], v[38:39]
                                        ; implicit-def: $sgpr34_sgpr35
	s_and_saveexec_b64 s[36:37], vcc
	s_xor_b64 s[36:37], exec, s[36:37]
; %bb.37:                               ;   in Loop: Header=BB107_35 Depth=3
	v_add_u32_e32 v36, 1, v36
	v_and_b32_e32 v36, 7, v36
	s_mov_b64 s[34:35], -1
                                        ; implicit-def: $vgpr37
; %bb.38:                               ;   in Loop: Header=BB107_35 Depth=3
	s_andn2_saveexec_b64 s[36:37], s[36:37]
	s_cbranch_execz .LBB107_42
; %bb.39:                               ;   in Loop: Header=BB107_35 Depth=3
	v_pk_mov_b32 v[38:39], s[18:19], s[18:19] op_sel:[0,1]
	ds_cmpst_rtn_b64 v[38:39], v37, v[38:39], v[22:23]
	s_mov_b64 s[48:49], -1
	s_waitcnt lgkmcnt(0)
	v_cmp_eq_u64_e32 vcc, s[18:19], v[38:39]
	s_and_saveexec_b64 s[50:51], vcc
	s_cbranch_execz .LBB107_41
; %bb.40:                               ;   in Loop: Header=BB107_35 Depth=3
	v_lshl_add_u32 v37, v36, 5, v40
	ds_add_f64 v37, v[34:35] offset:8
	s_xor_b64 s[48:49], exec, -1
.LBB107_41:                             ;   in Loop: Header=BB107_35 Depth=3
	s_or_b64 exec, exec, s[50:51]
	s_andn2_b64 s[34:35], s[34:35], exec
	s_and_b64 s[48:49], s[48:49], exec
	s_or_b64 s[34:35], s[34:35], s[48:49]
.LBB107_42:                             ;   in Loop: Header=BB107_35 Depth=3
	s_or_b64 exec, exec, s[36:37]
	s_and_b64 s[34:35], s[34:35], exec
.LBB107_43:                             ;   in Loop: Header=BB107_35 Depth=3
	s_andn2_saveexec_b64 s[24:25], s[24:25]
	s_cbranch_execz .LBB107_34
; %bb.44:                               ;   in Loop: Header=BB107_35 Depth=3
	v_lshl_add_u32 v37, v36, 5, v40
	ds_add_f64 v37, v[34:35] offset:8
	s_andn2_b64 s[34:35], s[34:35], exec
	s_branch .LBB107_34
.LBB107_45:                             ;   in Loop: Header=BB107_21 Depth=2
	s_or_b64 exec, exec, s[22:23]
	v_mul_f64 v[32:33], v[14:15], v[32:33]
	v_fmac_f64_e32 v[32:33], v[16:17], v[30:31]
	s_mov_b64 s[22:23], 0
	v_pk_mov_b32 v[30:31], v[24:25], v[24:25] op_sel:[0,1]
	s_branch .LBB107_47
.LBB107_46:                             ;   in Loop: Header=BB107_47 Depth=3
	s_or_b64 exec, exec, s[24:25]
	s_xor_b64 s[24:25], s[34:35], -1
	s_and_b64 s[24:25], exec, s[24:25]
	s_or_b64 s[22:23], s[24:25], s[22:23]
	s_andn2_b64 exec, exec, s[22:23]
	s_cbranch_execz .LBB107_57
.LBB107_47:                             ;   Parent Loop BB107_18 Depth=1
                                        ;     Parent Loop BB107_21 Depth=2
                                        ; =>    This Inner Loop Header: Depth=3
	v_lshl_add_u32 v31, v30, 3, v41
	ds_read_b64 v[34:35], v31
                                        ; implicit-def: $sgpr34_sgpr35
	s_waitcnt lgkmcnt(0)
	v_cmp_ne_u64_e32 vcc, v[34:35], v[22:23]
	s_and_saveexec_b64 s[24:25], vcc
	s_xor_b64 s[24:25], exec, s[24:25]
	s_cbranch_execz .LBB107_55
; %bb.48:                               ;   in Loop: Header=BB107_47 Depth=3
	v_cmp_ne_u64_e32 vcc, s[18:19], v[34:35]
                                        ; implicit-def: $sgpr34_sgpr35
	s_and_saveexec_b64 s[36:37], vcc
	s_xor_b64 s[36:37], exec, s[36:37]
; %bb.49:                               ;   in Loop: Header=BB107_47 Depth=3
	v_add_u32_e32 v30, 1, v30
	v_and_b32_e32 v30, 7, v30
	s_mov_b64 s[34:35], -1
                                        ; implicit-def: $vgpr31
; %bb.50:                               ;   in Loop: Header=BB107_47 Depth=3
	s_andn2_saveexec_b64 s[36:37], s[36:37]
	s_cbranch_execz .LBB107_54
; %bb.51:                               ;   in Loop: Header=BB107_47 Depth=3
	v_pk_mov_b32 v[34:35], s[18:19], s[18:19] op_sel:[0,1]
	ds_cmpst_rtn_b64 v[34:35], v31, v[34:35], v[22:23]
	s_mov_b64 s[48:49], -1
	s_waitcnt lgkmcnt(0)
	v_cmp_eq_u64_e32 vcc, s[18:19], v[34:35]
	s_and_saveexec_b64 s[50:51], vcc
	s_cbranch_execz .LBB107_53
; %bb.52:                               ;   in Loop: Header=BB107_47 Depth=3
	v_lshl_add_u32 v31, v30, 5, v40
	ds_add_f64 v31, v[32:33] offset:16
	s_xor_b64 s[48:49], exec, -1
.LBB107_53:                             ;   in Loop: Header=BB107_47 Depth=3
	s_or_b64 exec, exec, s[50:51]
	s_andn2_b64 s[34:35], s[34:35], exec
	s_and_b64 s[48:49], s[48:49], exec
	s_or_b64 s[34:35], s[34:35], s[48:49]
.LBB107_54:                             ;   in Loop: Header=BB107_47 Depth=3
	s_or_b64 exec, exec, s[36:37]
	s_and_b64 s[34:35], s[34:35], exec
.LBB107_55:                             ;   in Loop: Header=BB107_47 Depth=3
	s_andn2_saveexec_b64 s[24:25], s[24:25]
	s_cbranch_execz .LBB107_46
; %bb.56:                               ;   in Loop: Header=BB107_47 Depth=3
	v_lshl_add_u32 v31, v30, 5, v40
	ds_add_f64 v31, v[32:33] offset:16
	s_andn2_b64 s[34:35], s[34:35], exec
	s_branch .LBB107_46
.LBB107_57:                             ;   in Loop: Header=BB107_21 Depth=2
	s_or_b64 exec, exec, s[22:23]
	v_mul_f64 v[28:29], v[14:15], v[28:29]
	v_fmac_f64_e32 v[28:29], v[16:17], v[26:27]
	s_mov_b64 s[22:23], 0
	s_branch .LBB107_59
.LBB107_58:                             ;   in Loop: Header=BB107_59 Depth=3
	s_or_b64 exec, exec, s[24:25]
	s_xor_b64 s[24:25], s[34:35], -1
	s_and_b64 s[24:25], exec, s[24:25]
	s_or_b64 s[22:23], s[24:25], s[22:23]
	s_andn2_b64 exec, exec, s[22:23]
	s_cbranch_execz .LBB107_20
.LBB107_59:                             ;   Parent Loop BB107_18 Depth=1
                                        ;     Parent Loop BB107_21 Depth=2
                                        ; =>    This Inner Loop Header: Depth=3
	v_lshl_add_u32 v30, v24, 3, v41
	ds_read_b64 v[26:27], v30
                                        ; implicit-def: $sgpr34_sgpr35
	s_waitcnt lgkmcnt(0)
	v_cmp_ne_u64_e32 vcc, v[26:27], v[22:23]
	s_and_saveexec_b64 s[24:25], vcc
	s_xor_b64 s[24:25], exec, s[24:25]
	s_cbranch_execz .LBB107_67
; %bb.60:                               ;   in Loop: Header=BB107_59 Depth=3
	v_cmp_ne_u64_e32 vcc, s[18:19], v[26:27]
                                        ; implicit-def: $sgpr34_sgpr35
	s_and_saveexec_b64 s[36:37], vcc
	s_xor_b64 s[36:37], exec, s[36:37]
; %bb.61:                               ;   in Loop: Header=BB107_59 Depth=3
	v_add_u32_e32 v24, 1, v24
	v_and_b32_e32 v24, 7, v24
	s_mov_b64 s[34:35], -1
                                        ; implicit-def: $vgpr30
; %bb.62:                               ;   in Loop: Header=BB107_59 Depth=3
	s_andn2_saveexec_b64 s[36:37], s[36:37]
	s_cbranch_execz .LBB107_66
; %bb.63:                               ;   in Loop: Header=BB107_59 Depth=3
	v_pk_mov_b32 v[26:27], s[18:19], s[18:19] op_sel:[0,1]
	ds_cmpst_rtn_b64 v[26:27], v30, v[26:27], v[22:23]
	s_mov_b64 s[48:49], -1
	s_waitcnt lgkmcnt(0)
	v_cmp_eq_u64_e32 vcc, s[18:19], v[26:27]
	s_and_saveexec_b64 s[50:51], vcc
	s_cbranch_execz .LBB107_65
; %bb.64:                               ;   in Loop: Header=BB107_59 Depth=3
	v_lshl_add_u32 v26, v24, 5, v40
	ds_add_f64 v26, v[28:29] offset:24
	s_xor_b64 s[48:49], exec, -1
.LBB107_65:                             ;   in Loop: Header=BB107_59 Depth=3
	s_or_b64 exec, exec, s[50:51]
	s_andn2_b64 s[34:35], s[34:35], exec
	s_and_b64 s[48:49], s[48:49], exec
	s_or_b64 s[34:35], s[34:35], s[48:49]
.LBB107_66:                             ;   in Loop: Header=BB107_59 Depth=3
	s_or_b64 exec, exec, s[36:37]
	s_and_b64 s[34:35], s[34:35], exec
.LBB107_67:                             ;   in Loop: Header=BB107_59 Depth=3
	s_andn2_saveexec_b64 s[24:25], s[24:25]
	s_cbranch_execz .LBB107_58
; %bb.68:                               ;   in Loop: Header=BB107_59 Depth=3
	v_lshl_add_u32 v26, v24, 5, v40
	ds_add_f64 v26, v[28:29] offset:24
	s_andn2_b64 s[34:35], s[34:35], exec
	s_branch .LBB107_58
.LBB107_69:
	s_or_b64 exec, exec, s[4:5]
	s_andn2_b64 vcc, exec, s[2:3]
	s_waitcnt lgkmcnt(0)
	s_cbranch_vccnz .LBB107_13
.LBB107_70:
	s_waitcnt vmcnt(0)
	v_lshlrev_b64 v[0:1], 3, v[6:7]
	v_mov_b32_e32 v2, s9
	v_add_co_u32_e32 v0, vcc, s8, v0
	v_addc_co_u32_e32 v1, vcc, v2, v1, vcc
	global_load_dwordx4 v[8:11], v[0:1], off
	v_subrev_co_u32_e32 v2, vcc, s39, v25
	v_subb_co_u32_e64 v3, s[2:3], 0, 0, vcc
	s_mov_b32 s6, 0
	s_waitcnt vmcnt(0)
	v_subrev_co_u32_e32 v0, vcc, s39, v10
	v_subbrev_co_u32_e32 v1, vcc, 0, v11, vcc
	v_add_co_u32_e32 v2, vcc, v8, v2
	v_addc_co_u32_e32 v3, vcc, v9, v3, vcc
	v_cmp_lt_i64_e32 vcc, v[2:3], v[0:1]
	s_and_saveexec_b64 s[2:3], vcc
	s_cbranch_execz .LBB107_121
; %bb.71:
	s_cmp_eq_u32 s33, 0
	s_mov_b32 s26, s39
	s_cselect_b32 s27, 1, 2
	s_cselect_b32 s28, 2, 1
	s_mov_b64 s[4:5], 0
	v_mov_b32_e32 v11, s13
	v_mov_b32_e32 v24, s11
	;; [unrolled: 1-line block ×3, first 2 shown]
	s_branch .LBB107_73
.LBB107_72:                             ;   in Loop: Header=BB107_73 Depth=1
	s_or_b64 exec, exec, s[6:7]
	v_add_co_u32_e32 v2, vcc, 16, v2
	v_addc_co_u32_e32 v3, vcc, 0, v3, vcc
	v_cmp_ge_i64_e32 vcc, v[2:3], v[0:1]
	s_or_b64 s[4:5], vcc, s[4:5]
	s_andn2_b64 exec, exec, s[4:5]
	s_cbranch_execz .LBB107_121
.LBB107_73:                             ; =>This Loop Header: Depth=1
                                        ;     Child Loop BB107_75 Depth 2
                                        ;     Child Loop BB107_87 Depth 2
	;; [unrolled: 1-line block ×4, first 2 shown]
	v_lshlrev_b64 v[8:9], 2, v[2:3]
	v_lshlrev_b64 v[14:15], 5, v[2:3]
	v_or_b32_e32 v13, 0, v9
	v_or_b32_e32 v12, s27, v8
	v_add_co_u32_e32 v18, vcc, s12, v14
	v_addc_co_u32_e32 v19, vcc, v11, v15, vcc
	v_lshlrev_b64 v[12:13], 3, v[12:13]
	v_add_co_u32_e32 v22, vcc, s12, v12
	v_addc_co_u32_e32 v23, vcc, v11, v13, vcc
	v_lshlrev_b64 v[12:13], 3, v[2:3]
	v_or_b32_e32 v9, 0, v9
	v_or_b32_e32 v8, s28, v8
	v_add_co_u32_e32 v12, vcc, s10, v12
	v_lshlrev_b64 v[8:9], 3, v[8:9]
	v_addc_co_u32_e32 v13, vcc, v24, v13, vcc
	global_load_dwordx2 v[28:29], v[12:13], off
	v_add_co_u32_e32 v8, vcc, s12, v8
	v_addc_co_u32_e32 v9, vcc, v11, v9, vcc
	global_load_dwordx2 v[20:21], v[18:19], off
	global_load_dwordx2 v[14:15], v[8:9], off
	;; [unrolled: 1-line block ×3, first 2 shown]
	global_load_dwordx2 v[12:13], v[18:19], off offset:24
	s_mov_b64 s[6:7], 0
	s_waitcnt vmcnt(4)
	v_subrev_co_u32_e32 v8, vcc, s26, v28
	v_and_b32_e32 v10, 7, v8
	v_subb_co_u32_e32 v9, vcc, v29, v26, vcc
	s_waitcnt vmcnt(3)
	v_mul_f64 v[18:19], v[4:5], v[20:21]
	v_pk_mov_b32 v[20:21], v[10:11], v[10:11] op_sel:[0,1]
	s_branch .LBB107_75
.LBB107_74:                             ;   in Loop: Header=BB107_75 Depth=2
	s_or_b64 exec, exec, s[8:9]
	s_xor_b64 s[8:9], s[16:17], -1
	s_and_b64 s[8:9], exec, s[8:9]
	s_or_b64 s[6:7], s[8:9], s[6:7]
	s_andn2_b64 exec, exec, s[6:7]
	s_cbranch_execz .LBB107_85
.LBB107_75:                             ;   Parent Loop BB107_73 Depth=1
                                        ; =>  This Inner Loop Header: Depth=2
	v_lshl_add_u32 v21, v20, 3, v41
	ds_read_b64 v[22:23], v21
                                        ; implicit-def: $sgpr16_sgpr17
	s_waitcnt lgkmcnt(0)
	v_cmp_ne_u64_e32 vcc, v[22:23], v[8:9]
	s_and_saveexec_b64 s[8:9], vcc
	s_xor_b64 s[8:9], exec, s[8:9]
	s_cbranch_execz .LBB107_83
; %bb.76:                               ;   in Loop: Header=BB107_75 Depth=2
	v_cmp_ne_u64_e32 vcc, s[18:19], v[22:23]
                                        ; implicit-def: $sgpr16_sgpr17
	s_and_saveexec_b64 s[20:21], vcc
	s_xor_b64 s[20:21], exec, s[20:21]
; %bb.77:                               ;   in Loop: Header=BB107_75 Depth=2
	v_add_u32_e32 v20, 1, v20
	v_and_b32_e32 v20, 7, v20
	s_mov_b64 s[16:17], -1
                                        ; implicit-def: $vgpr21
; %bb.78:                               ;   in Loop: Header=BB107_75 Depth=2
	s_andn2_saveexec_b64 s[20:21], s[20:21]
	s_cbranch_execz .LBB107_82
; %bb.79:                               ;   in Loop: Header=BB107_75 Depth=2
	v_pk_mov_b32 v[22:23], s[18:19], s[18:19] op_sel:[0,1]
	ds_cmpst_rtn_b64 v[22:23], v21, v[22:23], v[8:9]
	s_mov_b64 s[22:23], -1
	s_waitcnt lgkmcnt(0)
	v_cmp_eq_u64_e32 vcc, s[18:19], v[22:23]
	s_and_saveexec_b64 s[24:25], vcc
	s_cbranch_execz .LBB107_81
; %bb.80:                               ;   in Loop: Header=BB107_75 Depth=2
	v_lshl_add_u32 v21, v20, 5, v40
	ds_add_f64 v21, v[18:19]
	s_xor_b64 s[22:23], exec, -1
.LBB107_81:                             ;   in Loop: Header=BB107_75 Depth=2
	s_or_b64 exec, exec, s[24:25]
	s_andn2_b64 s[16:17], s[16:17], exec
	s_and_b64 s[22:23], s[22:23], exec
	s_or_b64 s[16:17], s[16:17], s[22:23]
.LBB107_82:                             ;   in Loop: Header=BB107_75 Depth=2
	s_or_b64 exec, exec, s[20:21]
	s_and_b64 s[16:17], s[16:17], exec
.LBB107_83:                             ;   in Loop: Header=BB107_75 Depth=2
	s_andn2_saveexec_b64 s[8:9], s[8:9]
	s_cbranch_execz .LBB107_74
; %bb.84:                               ;   in Loop: Header=BB107_75 Depth=2
	v_lshl_add_u32 v21, v20, 5, v40
	ds_add_f64 v21, v[18:19]
	s_andn2_b64 s[16:17], s[16:17], exec
	s_branch .LBB107_74
.LBB107_85:                             ;   in Loop: Header=BB107_73 Depth=1
	s_or_b64 exec, exec, s[6:7]
	s_waitcnt vmcnt(1)
	v_mul_f64 v[16:17], v[4:5], v[16:17]
	s_mov_b64 s[6:7], 0
	v_pk_mov_b32 v[18:19], v[10:11], v[10:11] op_sel:[0,1]
	s_branch .LBB107_87
.LBB107_86:                             ;   in Loop: Header=BB107_87 Depth=2
	s_or_b64 exec, exec, s[8:9]
	s_xor_b64 s[8:9], s[16:17], -1
	s_and_b64 s[8:9], exec, s[8:9]
	s_or_b64 s[6:7], s[8:9], s[6:7]
	s_andn2_b64 exec, exec, s[6:7]
	s_cbranch_execz .LBB107_97
.LBB107_87:                             ;   Parent Loop BB107_73 Depth=1
                                        ; =>  This Inner Loop Header: Depth=2
	v_lshl_add_u32 v19, v18, 3, v41
	ds_read_b64 v[20:21], v19
                                        ; implicit-def: $sgpr16_sgpr17
	s_waitcnt lgkmcnt(0)
	v_cmp_ne_u64_e32 vcc, v[20:21], v[8:9]
	s_and_saveexec_b64 s[8:9], vcc
	s_xor_b64 s[8:9], exec, s[8:9]
	s_cbranch_execz .LBB107_95
; %bb.88:                               ;   in Loop: Header=BB107_87 Depth=2
	v_cmp_ne_u64_e32 vcc, s[18:19], v[20:21]
                                        ; implicit-def: $sgpr16_sgpr17
	s_and_saveexec_b64 s[20:21], vcc
	s_xor_b64 s[20:21], exec, s[20:21]
; %bb.89:                               ;   in Loop: Header=BB107_87 Depth=2
	v_add_u32_e32 v18, 1, v18
	v_and_b32_e32 v18, 7, v18
	s_mov_b64 s[16:17], -1
                                        ; implicit-def: $vgpr19
; %bb.90:                               ;   in Loop: Header=BB107_87 Depth=2
	s_andn2_saveexec_b64 s[20:21], s[20:21]
	s_cbranch_execz .LBB107_94
; %bb.91:                               ;   in Loop: Header=BB107_87 Depth=2
	v_pk_mov_b32 v[20:21], s[18:19], s[18:19] op_sel:[0,1]
	ds_cmpst_rtn_b64 v[20:21], v19, v[20:21], v[8:9]
	s_mov_b64 s[22:23], -1
	s_waitcnt lgkmcnt(0)
	v_cmp_eq_u64_e32 vcc, s[18:19], v[20:21]
	s_and_saveexec_b64 s[24:25], vcc
	s_cbranch_execz .LBB107_93
; %bb.92:                               ;   in Loop: Header=BB107_87 Depth=2
	v_lshl_add_u32 v19, v18, 5, v40
	ds_add_f64 v19, v[16:17] offset:8
	s_xor_b64 s[22:23], exec, -1
.LBB107_93:                             ;   in Loop: Header=BB107_87 Depth=2
	s_or_b64 exec, exec, s[24:25]
	s_andn2_b64 s[16:17], s[16:17], exec
	s_and_b64 s[22:23], s[22:23], exec
	s_or_b64 s[16:17], s[16:17], s[22:23]
.LBB107_94:                             ;   in Loop: Header=BB107_87 Depth=2
	s_or_b64 exec, exec, s[20:21]
	s_and_b64 s[16:17], s[16:17], exec
.LBB107_95:                             ;   in Loop: Header=BB107_87 Depth=2
	s_andn2_saveexec_b64 s[8:9], s[8:9]
	s_cbranch_execz .LBB107_86
; %bb.96:                               ;   in Loop: Header=BB107_87 Depth=2
	v_lshl_add_u32 v19, v18, 5, v40
	ds_add_f64 v19, v[16:17] offset:8
	s_andn2_b64 s[16:17], s[16:17], exec
	s_branch .LBB107_86
.LBB107_97:                             ;   in Loop: Header=BB107_73 Depth=1
	s_or_b64 exec, exec, s[6:7]
	v_mul_f64 v[14:15], v[4:5], v[14:15]
	s_mov_b64 s[6:7], 0
	v_pk_mov_b32 v[16:17], v[10:11], v[10:11] op_sel:[0,1]
	s_branch .LBB107_99
.LBB107_98:                             ;   in Loop: Header=BB107_99 Depth=2
	s_or_b64 exec, exec, s[8:9]
	s_xor_b64 s[8:9], s[16:17], -1
	s_and_b64 s[8:9], exec, s[8:9]
	s_or_b64 s[6:7], s[8:9], s[6:7]
	s_andn2_b64 exec, exec, s[6:7]
	s_cbranch_execz .LBB107_109
.LBB107_99:                             ;   Parent Loop BB107_73 Depth=1
                                        ; =>  This Inner Loop Header: Depth=2
	v_lshl_add_u32 v17, v16, 3, v41
	ds_read_b64 v[18:19], v17
                                        ; implicit-def: $sgpr16_sgpr17
	s_waitcnt lgkmcnt(0)
	v_cmp_ne_u64_e32 vcc, v[18:19], v[8:9]
	s_and_saveexec_b64 s[8:9], vcc
	s_xor_b64 s[8:9], exec, s[8:9]
	s_cbranch_execz .LBB107_107
; %bb.100:                              ;   in Loop: Header=BB107_99 Depth=2
	v_cmp_ne_u64_e32 vcc, s[18:19], v[18:19]
                                        ; implicit-def: $sgpr16_sgpr17
	s_and_saveexec_b64 s[20:21], vcc
	s_xor_b64 s[20:21], exec, s[20:21]
; %bb.101:                              ;   in Loop: Header=BB107_99 Depth=2
	v_add_u32_e32 v16, 1, v16
	v_and_b32_e32 v16, 7, v16
	s_mov_b64 s[16:17], -1
                                        ; implicit-def: $vgpr17
; %bb.102:                              ;   in Loop: Header=BB107_99 Depth=2
	s_andn2_saveexec_b64 s[20:21], s[20:21]
	s_cbranch_execz .LBB107_106
; %bb.103:                              ;   in Loop: Header=BB107_99 Depth=2
	v_pk_mov_b32 v[18:19], s[18:19], s[18:19] op_sel:[0,1]
	ds_cmpst_rtn_b64 v[18:19], v17, v[18:19], v[8:9]
	s_mov_b64 s[22:23], -1
	s_waitcnt lgkmcnt(0)
	v_cmp_eq_u64_e32 vcc, s[18:19], v[18:19]
	s_and_saveexec_b64 s[24:25], vcc
	s_cbranch_execz .LBB107_105
; %bb.104:                              ;   in Loop: Header=BB107_99 Depth=2
	v_lshl_add_u32 v17, v16, 5, v40
	ds_add_f64 v17, v[14:15] offset:16
	s_xor_b64 s[22:23], exec, -1
.LBB107_105:                            ;   in Loop: Header=BB107_99 Depth=2
	s_or_b64 exec, exec, s[24:25]
	s_andn2_b64 s[16:17], s[16:17], exec
	s_and_b64 s[22:23], s[22:23], exec
	s_or_b64 s[16:17], s[16:17], s[22:23]
.LBB107_106:                            ;   in Loop: Header=BB107_99 Depth=2
	s_or_b64 exec, exec, s[20:21]
	s_and_b64 s[16:17], s[16:17], exec
.LBB107_107:                            ;   in Loop: Header=BB107_99 Depth=2
	s_andn2_saveexec_b64 s[8:9], s[8:9]
	s_cbranch_execz .LBB107_98
; %bb.108:                              ;   in Loop: Header=BB107_99 Depth=2
	v_lshl_add_u32 v17, v16, 5, v40
	ds_add_f64 v17, v[14:15] offset:16
	s_andn2_b64 s[16:17], s[16:17], exec
	s_branch .LBB107_98
.LBB107_109:                            ;   in Loop: Header=BB107_73 Depth=1
	s_or_b64 exec, exec, s[6:7]
	s_waitcnt vmcnt(0)
	v_mul_f64 v[12:13], v[4:5], v[12:13]
	s_mov_b64 s[6:7], 0
	s_branch .LBB107_111
.LBB107_110:                            ;   in Loop: Header=BB107_111 Depth=2
	s_or_b64 exec, exec, s[8:9]
	s_xor_b64 s[8:9], s[16:17], -1
	s_and_b64 s[8:9], exec, s[8:9]
	s_or_b64 s[6:7], s[8:9], s[6:7]
	s_andn2_b64 exec, exec, s[6:7]
	s_cbranch_execz .LBB107_72
.LBB107_111:                            ;   Parent Loop BB107_73 Depth=1
                                        ; =>  This Inner Loop Header: Depth=2
	v_lshl_add_u32 v16, v10, 3, v41
	ds_read_b64 v[14:15], v16
                                        ; implicit-def: $sgpr16_sgpr17
	s_waitcnt lgkmcnt(0)
	v_cmp_ne_u64_e32 vcc, v[14:15], v[8:9]
	s_and_saveexec_b64 s[8:9], vcc
	s_xor_b64 s[8:9], exec, s[8:9]
	s_cbranch_execz .LBB107_119
; %bb.112:                              ;   in Loop: Header=BB107_111 Depth=2
	v_cmp_ne_u64_e32 vcc, s[18:19], v[14:15]
                                        ; implicit-def: $sgpr16_sgpr17
	s_and_saveexec_b64 s[20:21], vcc
	s_xor_b64 s[20:21], exec, s[20:21]
; %bb.113:                              ;   in Loop: Header=BB107_111 Depth=2
	v_add_u32_e32 v10, 1, v10
	v_and_b32_e32 v10, 7, v10
	s_mov_b64 s[16:17], -1
                                        ; implicit-def: $vgpr16
; %bb.114:                              ;   in Loop: Header=BB107_111 Depth=2
	s_andn2_saveexec_b64 s[20:21], s[20:21]
	s_cbranch_execz .LBB107_118
; %bb.115:                              ;   in Loop: Header=BB107_111 Depth=2
	v_pk_mov_b32 v[14:15], s[18:19], s[18:19] op_sel:[0,1]
	ds_cmpst_rtn_b64 v[14:15], v16, v[14:15], v[8:9]
	s_mov_b64 s[22:23], -1
	s_waitcnt lgkmcnt(0)
	v_cmp_eq_u64_e32 vcc, s[18:19], v[14:15]
	s_and_saveexec_b64 s[24:25], vcc
	s_cbranch_execz .LBB107_117
; %bb.116:                              ;   in Loop: Header=BB107_111 Depth=2
	v_lshl_add_u32 v14, v10, 5, v40
	ds_add_f64 v14, v[12:13] offset:24
	s_xor_b64 s[22:23], exec, -1
.LBB107_117:                            ;   in Loop: Header=BB107_111 Depth=2
	s_or_b64 exec, exec, s[24:25]
	s_andn2_b64 s[16:17], s[16:17], exec
	s_and_b64 s[22:23], s[22:23], exec
	s_or_b64 s[16:17], s[16:17], s[22:23]
.LBB107_118:                            ;   in Loop: Header=BB107_111 Depth=2
	s_or_b64 exec, exec, s[20:21]
	s_and_b64 s[16:17], s[16:17], exec
.LBB107_119:                            ;   in Loop: Header=BB107_111 Depth=2
	s_andn2_saveexec_b64 s[8:9], s[8:9]
	s_cbranch_execz .LBB107_110
; %bb.120:                              ;   in Loop: Header=BB107_111 Depth=2
	v_lshl_add_u32 v14, v10, 5, v40
	ds_add_f64 v14, v[12:13] offset:24
	s_andn2_b64 s[16:17], s[16:17], exec
	s_branch .LBB107_110
.LBB107_121:
	s_or_b64 exec, exec, s[2:3]
	s_waitcnt lgkmcnt(0)
	s_and_b64 exec, exec, s[0:1]
	s_cbranch_execz .LBB107_14
.LBB107_122:
	v_lshl_add_u32 v0, v25, 3, v41
	ds_read_b64 v[0:1], v0
	s_waitcnt lgkmcnt(0)
	v_cmp_gt_i64_e32 vcc, s[18:19], v[0:1]
	s_and_b64 exec, exec, vcc
	s_cbranch_execz .LBB107_14
; %bb.123:
	s_waitcnt vmcnt(0)
	v_lshlrev_b64 v[2:3], 3, v[6:7]
	v_mov_b32_e32 v4, s15
	v_add_co_u32_e32 v2, vcc, s14, v2
	v_addc_co_u32_e32 v3, vcc, v4, v3, vcc
	global_load_dwordx2 v[22:23], v[2:3], off
	ds_read_b128 v[2:5], v41
	ds_read_b128 v[6:9], v41 offset:16
	ds_read_b128 v[10:13], v41 offset:32
	;; [unrolled: 1-line block ×3, first 2 shown]
	v_add_co_u32_e32 v26, vcc, s38, v0
	v_addc_co_u32_e32 v27, vcc, 0, v1, vcc
	s_waitcnt lgkmcnt(3)
	v_cmp_gt_i64_e32 vcc, v[0:1], v[2:3]
	v_cndmask_b32_e64 v30, 0, 1, vcc
	v_cmp_gt_i64_e32 vcc, v[0:1], v[4:5]
	v_cndmask_b32_e64 v4, 0, 1, vcc
	s_waitcnt lgkmcnt(2)
	v_cmp_gt_i64_e32 vcc, v[0:1], v[6:7]
	v_cndmask_b32_e64 v5, 0, 1, vcc
	v_cmp_gt_i64_e32 vcc, v[0:1], v[8:9]
	v_cndmask_b32_e64 v6, 0, 1, vcc
	;; [unrolled: 5-line block ×4, first 2 shown]
	v_lshl_add_u32 v18, v25, 5, v40
	ds_read2_b64 v[18:21], v18 offset1:3
	s_cmp_eq_u32 s33, 0
	v_lshlrev_b32_e32 v28, 2, v25
	s_cselect_b32 s0, 1, 2
	s_cselect_b32 s1, 2, 1
	v_or_b32_e32 v29, s0, v28
	v_or_b32_e32 v28, s1, v28
	v_lshl_add_u32 v29, v29, 3, v40
	v_lshl_add_u32 v28, v28, 3, v40
	s_waitcnt lgkmcnt(0)
	v_mov_b32_e32 v0, v18
	v_mov_b32_e32 v1, v19
	ds_read_b64 v[2:3], v29
	ds_read_b64 v[18:19], v28
	v_mov_b32_e32 v24, s41
	v_mov_b32_e32 v25, s43
	s_waitcnt vmcnt(0)
	v_subrev_co_u32_e32 v11, vcc, s38, v22
	v_subbrev_co_u32_e32 v12, vcc, 0, v23, vcc
	v_add_co_u32_e32 v11, vcc, v11, v30
	v_addc_co_u32_e32 v12, vcc, 0, v12, vcc
	v_add_co_u32_e32 v4, vcc, v11, v4
	v_addc_co_u32_e32 v11, vcc, 0, v12, vcc
	;; [unrolled: 2-line block ×8, first 2 shown]
	v_lshlrev_b64 v[6:7], 3, v[4:5]
	v_add_co_u32_e32 v6, vcc, s40, v6
	v_lshlrev_b64 v[4:5], 5, v[4:5]
	v_addc_co_u32_e32 v7, vcc, v24, v7, vcc
	v_add_co_u32_e32 v4, vcc, s42, v4
	v_addc_co_u32_e32 v5, vcc, v25, v5, vcc
	global_store_dwordx2 v[6:7], v[26:27], off
	s_waitcnt lgkmcnt(1)
	global_store_dwordx4 v[4:5], v[0:3], off
	s_waitcnt lgkmcnt(0)
	global_store_dwordx4 v[4:5], v[18:21], off offset:16
	s_endpgm
	.section	.rodata,"a",@progbits
	.p2align	6, 0x0
	.amdhsa_kernel _ZN9rocsparseL27bsrgemm_fill_wf_per_row_2x2ILj256ELj16ELj8ELj137ElldEEv20rocsparse_direction_T4_S2_PKS2_S4_NS_24const_host_device_scalarIT5_EEPKT3_S4_PKS6_SA_S4_SC_S7_SA_S4_SC_SA_PS2_PS6_21rocsparse_index_base_SF_SF_SF_bbb
		.amdhsa_group_segment_fixed_size 5120
		.amdhsa_private_segment_fixed_size 0
		.amdhsa_kernarg_size 172
		.amdhsa_user_sgpr_count 6
		.amdhsa_user_sgpr_private_segment_buffer 1
		.amdhsa_user_sgpr_dispatch_ptr 0
		.amdhsa_user_sgpr_queue_ptr 0
		.amdhsa_user_sgpr_kernarg_segment_ptr 1
		.amdhsa_user_sgpr_dispatch_id 0
		.amdhsa_user_sgpr_flat_scratch_init 0
		.amdhsa_user_sgpr_kernarg_preload_length 0
		.amdhsa_user_sgpr_kernarg_preload_offset 0
		.amdhsa_user_sgpr_private_segment_size 0
		.amdhsa_uses_dynamic_stack 0
		.amdhsa_system_sgpr_private_segment_wavefront_offset 0
		.amdhsa_system_sgpr_workgroup_id_x 1
		.amdhsa_system_sgpr_workgroup_id_y 0
		.amdhsa_system_sgpr_workgroup_id_z 0
		.amdhsa_system_sgpr_workgroup_info 0
		.amdhsa_system_vgpr_workitem_id 0
		.amdhsa_next_free_vgpr 45
		.amdhsa_next_free_sgpr 57
		.amdhsa_accum_offset 48
		.amdhsa_reserve_vcc 1
		.amdhsa_reserve_flat_scratch 0
		.amdhsa_float_round_mode_32 0
		.amdhsa_float_round_mode_16_64 0
		.amdhsa_float_denorm_mode_32 3
		.amdhsa_float_denorm_mode_16_64 3
		.amdhsa_dx10_clamp 1
		.amdhsa_ieee_mode 1
		.amdhsa_fp16_overflow 0
		.amdhsa_tg_split 0
		.amdhsa_exception_fp_ieee_invalid_op 0
		.amdhsa_exception_fp_denorm_src 0
		.amdhsa_exception_fp_ieee_div_zero 0
		.amdhsa_exception_fp_ieee_overflow 0
		.amdhsa_exception_fp_ieee_underflow 0
		.amdhsa_exception_fp_ieee_inexact 0
		.amdhsa_exception_int_div_zero 0
	.end_amdhsa_kernel
	.section	.text._ZN9rocsparseL27bsrgemm_fill_wf_per_row_2x2ILj256ELj16ELj8ELj137ElldEEv20rocsparse_direction_T4_S2_PKS2_S4_NS_24const_host_device_scalarIT5_EEPKT3_S4_PKS6_SA_S4_SC_S7_SA_S4_SC_SA_PS2_PS6_21rocsparse_index_base_SF_SF_SF_bbb,"axG",@progbits,_ZN9rocsparseL27bsrgemm_fill_wf_per_row_2x2ILj256ELj16ELj8ELj137ElldEEv20rocsparse_direction_T4_S2_PKS2_S4_NS_24const_host_device_scalarIT5_EEPKT3_S4_PKS6_SA_S4_SC_S7_SA_S4_SC_SA_PS2_PS6_21rocsparse_index_base_SF_SF_SF_bbb,comdat
.Lfunc_end107:
	.size	_ZN9rocsparseL27bsrgemm_fill_wf_per_row_2x2ILj256ELj16ELj8ELj137ElldEEv20rocsparse_direction_T4_S2_PKS2_S4_NS_24const_host_device_scalarIT5_EEPKT3_S4_PKS6_SA_S4_SC_S7_SA_S4_SC_SA_PS2_PS6_21rocsparse_index_base_SF_SF_SF_bbb, .Lfunc_end107-_ZN9rocsparseL27bsrgemm_fill_wf_per_row_2x2ILj256ELj16ELj8ELj137ElldEEv20rocsparse_direction_T4_S2_PKS2_S4_NS_24const_host_device_scalarIT5_EEPKT3_S4_PKS6_SA_S4_SC_S7_SA_S4_SC_SA_PS2_PS6_21rocsparse_index_base_SF_SF_SF_bbb
                                        ; -- End function
	.section	.AMDGPU.csdata,"",@progbits
; Kernel info:
; codeLenInByte = 3728
; NumSgprs: 61
; NumVgprs: 45
; NumAgprs: 0
; TotalNumVgprs: 45
; ScratchSize: 0
; MemoryBound: 0
; FloatMode: 240
; IeeeMode: 1
; LDSByteSize: 5120 bytes/workgroup (compile time only)
; SGPRBlocks: 7
; VGPRBlocks: 5
; NumSGPRsForWavesPerEU: 61
; NumVGPRsForWavesPerEU: 45
; AccumOffset: 48
; Occupancy: 8
; WaveLimiterHint : 1
; COMPUTE_PGM_RSRC2:SCRATCH_EN: 0
; COMPUTE_PGM_RSRC2:USER_SGPR: 6
; COMPUTE_PGM_RSRC2:TRAP_HANDLER: 0
; COMPUTE_PGM_RSRC2:TGID_X_EN: 1
; COMPUTE_PGM_RSRC2:TGID_Y_EN: 0
; COMPUTE_PGM_RSRC2:TGID_Z_EN: 0
; COMPUTE_PGM_RSRC2:TIDIG_COMP_CNT: 0
; COMPUTE_PGM_RSRC3_GFX90A:ACCUM_OFFSET: 11
; COMPUTE_PGM_RSRC3_GFX90A:TG_SPLIT: 0
	.section	.text._ZN9rocsparseL27bsrgemm_fill_wf_per_row_2x2ILj256ELj16ELj16ELj137ElldEEv20rocsparse_direction_T4_S2_PKS2_S4_NS_24const_host_device_scalarIT5_EEPKT3_S4_PKS6_SA_S4_SC_S7_SA_S4_SC_SA_PS2_PS6_21rocsparse_index_base_SF_SF_SF_bbb,"axG",@progbits,_ZN9rocsparseL27bsrgemm_fill_wf_per_row_2x2ILj256ELj16ELj16ELj137ElldEEv20rocsparse_direction_T4_S2_PKS2_S4_NS_24const_host_device_scalarIT5_EEPKT3_S4_PKS6_SA_S4_SC_S7_SA_S4_SC_SA_PS2_PS6_21rocsparse_index_base_SF_SF_SF_bbb,comdat
	.globl	_ZN9rocsparseL27bsrgemm_fill_wf_per_row_2x2ILj256ELj16ELj16ELj137ElldEEv20rocsparse_direction_T4_S2_PKS2_S4_NS_24const_host_device_scalarIT5_EEPKT3_S4_PKS6_SA_S4_SC_S7_SA_S4_SC_SA_PS2_PS6_21rocsparse_index_base_SF_SF_SF_bbb ; -- Begin function _ZN9rocsparseL27bsrgemm_fill_wf_per_row_2x2ILj256ELj16ELj16ELj137ElldEEv20rocsparse_direction_T4_S2_PKS2_S4_NS_24const_host_device_scalarIT5_EEPKT3_S4_PKS6_SA_S4_SC_S7_SA_S4_SC_SA_PS2_PS6_21rocsparse_index_base_SF_SF_SF_bbb
	.p2align	8
	.type	_ZN9rocsparseL27bsrgemm_fill_wf_per_row_2x2ILj256ELj16ELj16ELj137ElldEEv20rocsparse_direction_T4_S2_PKS2_S4_NS_24const_host_device_scalarIT5_EEPKT3_S4_PKS6_SA_S4_SC_S7_SA_S4_SC_SA_PS2_PS6_21rocsparse_index_base_SF_SF_SF_bbb,@function
_ZN9rocsparseL27bsrgemm_fill_wf_per_row_2x2ILj256ELj16ELj16ELj137ElldEEv20rocsparse_direction_T4_S2_PKS2_S4_NS_24const_host_device_scalarIT5_EEPKT3_S4_PKS6_SA_S4_SC_S7_SA_S4_SC_SA_PS2_PS6_21rocsparse_index_base_SF_SF_SF_bbb: ; @_ZN9rocsparseL27bsrgemm_fill_wf_per_row_2x2ILj256ELj16ELj16ELj137ElldEEv20rocsparse_direction_T4_S2_PKS2_S4_NS_24const_host_device_scalarIT5_EEPKT3_S4_PKS6_SA_S4_SC_S7_SA_S4_SC_SA_PS2_PS6_21rocsparse_index_base_SF_SF_SF_bbb
; %bb.0:
	s_load_dword s7, s[4:5], 0xa8
	s_load_dwordx4 s[24:27], s[4:5], 0x98
	s_load_dwordx2 s[0:1], s[4:5], 0x28
	s_load_dwordx2 s[28:29], s[4:5], 0x60
	s_waitcnt lgkmcnt(0)
	s_and_b32 s2, 1, s7
	s_bitcmp1_b32 s7, 16
	s_cselect_b64 s[30:31], -1, 0
	s_cmp_eq_u32 s2, 1
	s_cselect_b64 s[44:45], -1, 0
	s_and_b64 s[2:3], s[44:45], exec
	s_cselect_b32 s3, s1, 0
	s_cselect_b32 s2, s0, 0
	s_xor_b64 s[8:9], s[44:45], -1
	s_or_b64 s[8:9], s[8:9], s[30:31]
	s_and_b64 vcc, exec, s[8:9]
	v_pk_mov_b32 v[8:9], s[2:3], s[2:3] op_sel:[0,1]
	s_cbranch_vccnz .LBB108_2
; %bb.1:
	v_pk_mov_b32 v[2:3], s[0:1], s[0:1] op_sel:[0,1]
	flat_load_dwordx2 v[8:9], v[2:3]
.LBB108_2:
	s_load_dwordx4 s[0:3], s[4:5], 0x88
	s_load_dwordx8 s[8:15], s[4:5], 0x68
	s_load_dwordx4 s[36:39], s[4:5], 0x50
	s_load_dwordx4 s[40:43], s[4:5], 0x18
	s_load_dwordx8 s[16:23], s[4:5], 0x30
	s_bitcmp1_b32 s7, 8
	s_cselect_b64 s[34:35], -1, 0
	s_and_b64 s[46:47], s[34:35], exec
	s_cselect_b32 s47, s29, 0
	s_cselect_b32 s46, s28, 0
	s_xor_b64 s[48:49], s[34:35], -1
	s_or_b64 s[30:31], s[48:49], s[30:31]
	s_and_b64 vcc, exec, s[30:31]
	v_pk_mov_b32 v[4:5], s[46:47], s[46:47] op_sel:[0,1]
	s_cbranch_vccnz .LBB108_4
; %bb.3:
	v_pk_mov_b32 v[2:3], s[28:29], s[28:29] op_sel:[0,1]
	flat_load_dwordx2 v[4:5], v[2:3]
.LBB108_4:
	s_load_dwordx4 s[28:31], s[4:5], 0x8
	v_and_b32_e32 v25, 15, v0
	v_lshrrev_b32_e32 v2, 4, v0
	v_and_b32_e32 v0, 0xf0, v0
	v_mov_b32_e32 v1, 0x2000
	v_lshl_or_b32 v41, v0, 3, v1
	v_lshlrev_b32_e32 v6, 3, v25
	v_or_b32_e32 v42, v41, v6
	s_waitcnt lgkmcnt(0)
	v_pk_mov_b32 v[0:1], s[30:31], s[30:31] op_sel:[0,1]
	ds_write_b64 v42, v[0:1]
	v_mov_b32_e32 v0, 0
	v_or_b32_e32 v3, -16, v25
	v_lshl_or_b32 v6, v2, 9, v6
	s_mov_b64 s[46:47], 0
	v_mov_b32_e32 v1, v0
.LBB108_5:                              ; =>This Inner Loop Header: Depth=1
	v_add_u32_e32 v3, 16, v3
	v_cmp_lt_u32_e32 vcc, 47, v3
	ds_write_b64 v6, v[0:1]
	s_or_b64 s[46:47], vcc, s[46:47]
	v_add_u32_e32 v6, 0x80, v6
	s_andn2_b64 exec, exec, s[46:47]
	s_cbranch_execnz .LBB108_5
; %bb.6:
	s_or_b64 exec, exec, s[46:47]
	v_lshl_or_b32 v0, s6, 4, v2
	v_mov_b32_e32 v1, 0
	v_cmp_gt_i64_e32 vcc, s[28:29], v[0:1]
	s_waitcnt lgkmcnt(0)
	s_barrier
	s_and_saveexec_b64 s[6:7], vcc
	s_cbranch_execz .LBB108_120
; %bb.7:
	s_cmp_eq_u64 s[42:43], 0
	s_cbranch_scc1 .LBB108_9
; %bb.8:
	s_load_dwordx2 s[6:7], s[40:41], 0x0
	v_lshlrev_b64 v[0:1], 3, v[0:1]
	s_waitcnt lgkmcnt(0)
	s_lshl_b64 s[6:7], s[6:7], 3
	s_add_u32 s6, s42, s6
	s_addc_u32 s7, s43, s7
	v_mov_b32_e32 v3, s7
	v_add_co_u32_e32 v0, vcc, s6, v0
	v_addc_co_u32_e32 v1, vcc, v3, v1, vcc
	global_load_dwordx2 v[0:1], v[0:1], off
.LBB108_9:
	s_load_dword s33, s[4:5], 0x0
	v_lshlrev_b32_e32 v40, 9, v2
	s_andn2_b64 vcc, exec, s[44:45]
	s_waitcnt vmcnt(0)
	v_lshlrev_b64 v[6:7], 3, v[0:1]
	s_cbranch_vccnz .LBB108_65
; %bb.10:
	v_mov_b32_e32 v1, s17
	v_add_co_u32_e32 v0, vcc, s16, v6
	v_addc_co_u32_e32 v1, vcc, v1, v7, vcc
	global_load_dwordx4 v[0:3], v[0:1], off
	v_subrev_co_u32_e32 v12, vcc, s24, v25
	v_subb_co_u32_e64 v13, s[4:5], 0, 0, vcc
	s_mov_b32 s16, 0
	s_waitcnt vmcnt(0)
	v_subrev_co_u32_e32 v10, vcc, s24, v2
	v_subbrev_co_u32_e32 v11, vcc, 0, v3, vcc
	v_add_co_u32_e32 v12, vcc, v0, v12
	v_addc_co_u32_e32 v13, vcc, v1, v13, vcc
	v_cmp_lt_i64_e32 vcc, v[12:13], v[10:11]
	s_and_saveexec_b64 s[4:5], vcc
	s_cbranch_execz .LBB108_64
; %bb.11:
	s_waitcnt lgkmcnt(0)
	s_cmp_eq_u32 s33, 0
	s_mov_b32 s50, s24
	s_mov_b32 s51, s25
	;; [unrolled: 1-line block ×3, first 2 shown]
	s_cselect_b32 s53, 1, 2
	s_cselect_b32 s54, 2, 1
	s_mov_b64 s[6:7], 0
	v_mov_b32_e32 v43, s19
	v_mov_b32_e32 v44, s16
	;; [unrolled: 1-line block ×3, first 2 shown]
	s_branch .LBB108_13
.LBB108_12:                             ;   in Loop: Header=BB108_13 Depth=1
	s_or_b64 exec, exec, s[16:17]
	v_add_co_u32_e32 v12, vcc, 16, v12
	v_addc_co_u32_e32 v13, vcc, 0, v13, vcc
	v_cmp_ge_i64_e32 vcc, v[12:13], v[10:11]
	s_or_b64 s[6:7], vcc, s[6:7]
	s_andn2_b64 exec, exec, s[6:7]
	s_cbranch_execz .LBB108_64
.LBB108_13:                             ; =>This Loop Header: Depth=1
                                        ;     Child Loop BB108_16 Depth 2
                                        ;       Child Loop BB108_18 Depth 3
                                        ;       Child Loop BB108_30 Depth 3
	;; [unrolled: 1-line block ×4, first 2 shown]
	v_lshlrev_b64 v[0:1], 3, v[12:13]
	v_add_co_u32_e32 v0, vcc, s18, v0
	v_addc_co_u32_e32 v1, vcc, v43, v1, vcc
	global_load_dwordx2 v[0:1], v[0:1], off
	s_waitcnt vmcnt(0)
	v_subrev_co_u32_e32 v0, vcc, s50, v0
	v_subb_co_u32_e32 v1, vcc, v1, v44, vcc
	v_lshlrev_b64 v[0:1], 3, v[0:1]
	v_add_co_u32_e32 v0, vcc, s22, v0
	v_addc_co_u32_e32 v1, vcc, v45, v1, vcc
	global_load_dwordx4 v[0:3], v[0:1], off
	s_waitcnt vmcnt(0)
	v_cmp_lt_i64_e32 vcc, v[0:1], v[2:3]
	s_and_saveexec_b64 s[16:17], vcc
	s_cbranch_execz .LBB108_12
; %bb.14:                               ;   in Loop: Header=BB108_13 Depth=1
	v_lshlrev_b64 v[14:15], 2, v[12:13]
	v_lshlrev_b64 v[18:19], 5, v[12:13]
	v_or_b32_e32 v17, 0, v15
	v_or_b32_e32 v16, s53, v14
	;; [unrolled: 1-line block ×4, first 2 shown]
	v_mov_b32_e32 v20, s21
	v_add_co_u32_e32 v18, vcc, s20, v18
	v_addc_co_u32_e32 v19, vcc, v20, v19, vcc
	v_lshlrev_b64 v[14:15], 3, v[14:15]
	v_add_co_u32_e32 v14, vcc, s20, v14
	v_addc_co_u32_e32 v15, vcc, v20, v15, vcc
	v_lshlrev_b64 v[16:17], 3, v[16:17]
	v_add_co_u32_e32 v16, vcc, s20, v16
	v_addc_co_u32_e32 v17, vcc, v20, v17, vcc
	global_load_dwordx2 v[20:21], v[18:19], off offset:24
	global_load_dwordx2 v[22:23], v[14:15], off
	global_load_dwordx2 v[26:27], v[16:17], off
	global_load_dwordx2 v[28:29], v[18:19], off
	v_mov_b32_e32 v14, s52
	v_subrev_co_u32_e32 v2, vcc, s51, v2
	v_subb_co_u32_e32 v3, vcc, v3, v14, vcc
	v_subrev_co_u32_e32 v0, vcc, s51, v0
	v_subb_co_u32_e32 v1, vcc, v1, v14, vcc
	s_mov_b64 s[24:25], 0
	s_waitcnt vmcnt(3)
	v_mul_f64 v[14:15], v[8:9], v[20:21]
	s_waitcnt vmcnt(2)
	v_mul_f64 v[16:17], v[8:9], v[22:23]
	;; [unrolled: 2-line block ×4, first 2 shown]
	s_branch .LBB108_16
.LBB108_15:                             ;   in Loop: Header=BB108_16 Depth=2
	s_or_b64 exec, exec, s[28:29]
	v_add_co_u32_e32 v0, vcc, 1, v0
	v_addc_co_u32_e32 v1, vcc, 0, v1, vcc
	v_cmp_ge_i64_e32 vcc, v[0:1], v[2:3]
	s_or_b64 s[24:25], vcc, s[24:25]
	s_andn2_b64 exec, exec, s[24:25]
	s_cbranch_execz .LBB108_12
.LBB108_16:                             ;   Parent Loop BB108_13 Depth=1
                                        ; =>  This Loop Header: Depth=2
                                        ;       Child Loop BB108_18 Depth 3
                                        ;       Child Loop BB108_30 Depth 3
	;; [unrolled: 1-line block ×4, first 2 shown]
	v_lshlrev_b64 v[22:23], 3, v[0:1]
	v_mov_b32_e32 v24, s37
	v_add_co_u32_e32 v22, vcc, s36, v22
	v_addc_co_u32_e32 v23, vcc, v24, v23, vcc
	v_lshlrev_b64 v[26:27], 2, v[0:1]
	v_lshlrev_b64 v[30:31], 5, v[0:1]
	v_or_b32_e32 v29, 0, v27
	v_or_b32_e32 v28, s53, v26
	;; [unrolled: 1-line block ×4, first 2 shown]
	v_mov_b32_e32 v24, s39
	v_add_co_u32_e32 v34, vcc, s38, v30
	v_addc_co_u32_e32 v35, vcc, v24, v31, vcc
	v_lshlrev_b64 v[26:27], 3, v[26:27]
	global_load_dwordx2 v[22:23], v[22:23], off
	v_add_co_u32_e32 v26, vcc, s38, v26
	v_lshlrev_b64 v[28:29], 3, v[28:29]
	v_addc_co_u32_e32 v27, vcc, v24, v27, vcc
	global_load_dwordx2 v[30:31], v[34:35], off
	global_load_dwordx2 v[32:33], v[26:27], off
	v_add_co_u32_e32 v36, vcc, s38, v28
	v_addc_co_u32_e32 v37, vcc, v24, v29, vcc
	global_load_dwordx2 v[26:27], v[36:37], off
	global_load_dwordx2 v[28:29], v[34:35], off offset:24
	v_mov_b32_e32 v24, s52
	s_mov_b64 s[28:29], 0
	s_waitcnt vmcnt(4)
	v_subrev_co_u32_e32 v22, vcc, s51, v22
	v_subb_co_u32_e32 v23, vcc, v23, v24, vcc
	v_lshl_add_u32 v24, v22, 3, v22
	v_and_b32_e32 v24, 15, v24
	v_pk_mov_b32 v[36:37], v[24:25], v[24:25] op_sel:[0,1]
	s_waitcnt vmcnt(2)
	v_mul_f64 v[34:35], v[20:21], v[32:33]
	v_fmac_f64_e32 v[34:35], v[18:19], v[30:31]
	s_branch .LBB108_18
.LBB108_17:                             ;   in Loop: Header=BB108_18 Depth=3
	s_or_b64 exec, exec, s[40:41]
	s_xor_b64 s[40:41], s[42:43], -1
	s_and_b64 s[40:41], exec, s[40:41]
	s_or_b64 s[28:29], s[40:41], s[28:29]
	s_andn2_b64 exec, exec, s[28:29]
	s_cbranch_execz .LBB108_28
.LBB108_18:                             ;   Parent Loop BB108_13 Depth=1
                                        ;     Parent Loop BB108_16 Depth=2
                                        ; =>    This Inner Loop Header: Depth=3
	v_lshl_add_u32 v37, v36, 3, v41
	ds_read_b64 v[38:39], v37
                                        ; implicit-def: $sgpr42_sgpr43
	s_waitcnt lgkmcnt(0)
	v_cmp_ne_u64_e32 vcc, v[38:39], v[22:23]
	s_and_saveexec_b64 s[40:41], vcc
	s_xor_b64 s[40:41], exec, s[40:41]
	s_cbranch_execz .LBB108_26
; %bb.19:                               ;   in Loop: Header=BB108_18 Depth=3
	v_cmp_ne_u64_e32 vcc, s[30:31], v[38:39]
                                        ; implicit-def: $sgpr42_sgpr43
	s_and_saveexec_b64 s[44:45], vcc
	s_xor_b64 s[44:45], exec, s[44:45]
; %bb.20:                               ;   in Loop: Header=BB108_18 Depth=3
	v_add_u32_e32 v36, 1, v36
	v_and_b32_e32 v36, 15, v36
	s_mov_b64 s[42:43], -1
                                        ; implicit-def: $vgpr37
; %bb.21:                               ;   in Loop: Header=BB108_18 Depth=3
	s_andn2_saveexec_b64 s[44:45], s[44:45]
	s_cbranch_execz .LBB108_25
; %bb.22:                               ;   in Loop: Header=BB108_18 Depth=3
	v_pk_mov_b32 v[38:39], s[30:31], s[30:31] op_sel:[0,1]
	ds_cmpst_rtn_b64 v[38:39], v37, v[38:39], v[22:23]
	s_mov_b64 s[46:47], -1
	s_waitcnt lgkmcnt(0)
	v_cmp_eq_u64_e32 vcc, s[30:31], v[38:39]
	s_and_saveexec_b64 s[48:49], vcc
	s_cbranch_execz .LBB108_24
; %bb.23:                               ;   in Loop: Header=BB108_18 Depth=3
	v_lshl_add_u32 v37, v36, 5, v40
	ds_add_f64 v37, v[34:35]
	s_xor_b64 s[46:47], exec, -1
.LBB108_24:                             ;   in Loop: Header=BB108_18 Depth=3
	s_or_b64 exec, exec, s[48:49]
	s_andn2_b64 s[42:43], s[42:43], exec
	s_and_b64 s[46:47], s[46:47], exec
	s_or_b64 s[42:43], s[42:43], s[46:47]
.LBB108_25:                             ;   in Loop: Header=BB108_18 Depth=3
	s_or_b64 exec, exec, s[44:45]
	s_and_b64 s[42:43], s[42:43], exec
.LBB108_26:                             ;   in Loop: Header=BB108_18 Depth=3
	s_andn2_saveexec_b64 s[40:41], s[40:41]
	s_cbranch_execz .LBB108_17
; %bb.27:                               ;   in Loop: Header=BB108_18 Depth=3
	v_lshl_add_u32 v37, v36, 5, v40
	ds_add_f64 v37, v[34:35]
	s_andn2_b64 s[42:43], s[42:43], exec
	s_branch .LBB108_17
.LBB108_28:                             ;   in Loop: Header=BB108_16 Depth=2
	s_or_b64 exec, exec, s[28:29]
	s_waitcnt vmcnt(0)
	v_mul_f64 v[34:35], v[20:21], v[28:29]
	v_fmac_f64_e32 v[34:35], v[18:19], v[26:27]
	s_mov_b64 s[28:29], 0
	v_pk_mov_b32 v[36:37], v[24:25], v[24:25] op_sel:[0,1]
	s_branch .LBB108_30
.LBB108_29:                             ;   in Loop: Header=BB108_30 Depth=3
	s_or_b64 exec, exec, s[40:41]
	s_xor_b64 s[40:41], s[42:43], -1
	s_and_b64 s[40:41], exec, s[40:41]
	s_or_b64 s[28:29], s[40:41], s[28:29]
	s_andn2_b64 exec, exec, s[28:29]
	s_cbranch_execz .LBB108_40
.LBB108_30:                             ;   Parent Loop BB108_13 Depth=1
                                        ;     Parent Loop BB108_16 Depth=2
                                        ; =>    This Inner Loop Header: Depth=3
	v_lshl_add_u32 v37, v36, 3, v41
	ds_read_b64 v[38:39], v37
                                        ; implicit-def: $sgpr42_sgpr43
	s_waitcnt lgkmcnt(0)
	v_cmp_ne_u64_e32 vcc, v[38:39], v[22:23]
	s_and_saveexec_b64 s[40:41], vcc
	s_xor_b64 s[40:41], exec, s[40:41]
	s_cbranch_execz .LBB108_38
; %bb.31:                               ;   in Loop: Header=BB108_30 Depth=3
	v_cmp_ne_u64_e32 vcc, s[30:31], v[38:39]
                                        ; implicit-def: $sgpr42_sgpr43
	s_and_saveexec_b64 s[44:45], vcc
	s_xor_b64 s[44:45], exec, s[44:45]
; %bb.32:                               ;   in Loop: Header=BB108_30 Depth=3
	v_add_u32_e32 v36, 1, v36
	v_and_b32_e32 v36, 15, v36
	s_mov_b64 s[42:43], -1
                                        ; implicit-def: $vgpr37
; %bb.33:                               ;   in Loop: Header=BB108_30 Depth=3
	s_andn2_saveexec_b64 s[44:45], s[44:45]
	s_cbranch_execz .LBB108_37
; %bb.34:                               ;   in Loop: Header=BB108_30 Depth=3
	v_pk_mov_b32 v[38:39], s[30:31], s[30:31] op_sel:[0,1]
	ds_cmpst_rtn_b64 v[38:39], v37, v[38:39], v[22:23]
	s_mov_b64 s[46:47], -1
	s_waitcnt lgkmcnt(0)
	v_cmp_eq_u64_e32 vcc, s[30:31], v[38:39]
	s_and_saveexec_b64 s[48:49], vcc
	s_cbranch_execz .LBB108_36
; %bb.35:                               ;   in Loop: Header=BB108_30 Depth=3
	v_lshl_add_u32 v37, v36, 5, v40
	ds_add_f64 v37, v[34:35] offset:8
	s_xor_b64 s[46:47], exec, -1
.LBB108_36:                             ;   in Loop: Header=BB108_30 Depth=3
	s_or_b64 exec, exec, s[48:49]
	s_andn2_b64 s[42:43], s[42:43], exec
	s_and_b64 s[46:47], s[46:47], exec
	s_or_b64 s[42:43], s[42:43], s[46:47]
.LBB108_37:                             ;   in Loop: Header=BB108_30 Depth=3
	s_or_b64 exec, exec, s[44:45]
	s_and_b64 s[42:43], s[42:43], exec
.LBB108_38:                             ;   in Loop: Header=BB108_30 Depth=3
	s_andn2_saveexec_b64 s[40:41], s[40:41]
	s_cbranch_execz .LBB108_29
; %bb.39:                               ;   in Loop: Header=BB108_30 Depth=3
	v_lshl_add_u32 v37, v36, 5, v40
	ds_add_f64 v37, v[34:35] offset:8
	s_andn2_b64 s[42:43], s[42:43], exec
	s_branch .LBB108_29
.LBB108_40:                             ;   in Loop: Header=BB108_16 Depth=2
	s_or_b64 exec, exec, s[28:29]
	v_mul_f64 v[32:33], v[14:15], v[32:33]
	v_fmac_f64_e32 v[32:33], v[16:17], v[30:31]
	s_mov_b64 s[28:29], 0
	v_pk_mov_b32 v[30:31], v[24:25], v[24:25] op_sel:[0,1]
	s_branch .LBB108_42
.LBB108_41:                             ;   in Loop: Header=BB108_42 Depth=3
	s_or_b64 exec, exec, s[40:41]
	s_xor_b64 s[40:41], s[42:43], -1
	s_and_b64 s[40:41], exec, s[40:41]
	s_or_b64 s[28:29], s[40:41], s[28:29]
	s_andn2_b64 exec, exec, s[28:29]
	s_cbranch_execz .LBB108_52
.LBB108_42:                             ;   Parent Loop BB108_13 Depth=1
                                        ;     Parent Loop BB108_16 Depth=2
                                        ; =>    This Inner Loop Header: Depth=3
	v_lshl_add_u32 v31, v30, 3, v41
	ds_read_b64 v[34:35], v31
                                        ; implicit-def: $sgpr42_sgpr43
	s_waitcnt lgkmcnt(0)
	v_cmp_ne_u64_e32 vcc, v[34:35], v[22:23]
	s_and_saveexec_b64 s[40:41], vcc
	s_xor_b64 s[40:41], exec, s[40:41]
	s_cbranch_execz .LBB108_50
; %bb.43:                               ;   in Loop: Header=BB108_42 Depth=3
	v_cmp_ne_u64_e32 vcc, s[30:31], v[34:35]
                                        ; implicit-def: $sgpr42_sgpr43
	s_and_saveexec_b64 s[44:45], vcc
	s_xor_b64 s[44:45], exec, s[44:45]
; %bb.44:                               ;   in Loop: Header=BB108_42 Depth=3
	v_add_u32_e32 v30, 1, v30
	v_and_b32_e32 v30, 15, v30
	s_mov_b64 s[42:43], -1
                                        ; implicit-def: $vgpr31
; %bb.45:                               ;   in Loop: Header=BB108_42 Depth=3
	s_andn2_saveexec_b64 s[44:45], s[44:45]
	s_cbranch_execz .LBB108_49
; %bb.46:                               ;   in Loop: Header=BB108_42 Depth=3
	v_pk_mov_b32 v[34:35], s[30:31], s[30:31] op_sel:[0,1]
	ds_cmpst_rtn_b64 v[34:35], v31, v[34:35], v[22:23]
	s_mov_b64 s[46:47], -1
	s_waitcnt lgkmcnt(0)
	v_cmp_eq_u64_e32 vcc, s[30:31], v[34:35]
	s_and_saveexec_b64 s[48:49], vcc
	s_cbranch_execz .LBB108_48
; %bb.47:                               ;   in Loop: Header=BB108_42 Depth=3
	v_lshl_add_u32 v31, v30, 5, v40
	ds_add_f64 v31, v[32:33] offset:16
	s_xor_b64 s[46:47], exec, -1
.LBB108_48:                             ;   in Loop: Header=BB108_42 Depth=3
	s_or_b64 exec, exec, s[48:49]
	s_andn2_b64 s[42:43], s[42:43], exec
	s_and_b64 s[46:47], s[46:47], exec
	s_or_b64 s[42:43], s[42:43], s[46:47]
.LBB108_49:                             ;   in Loop: Header=BB108_42 Depth=3
	s_or_b64 exec, exec, s[44:45]
	s_and_b64 s[42:43], s[42:43], exec
.LBB108_50:                             ;   in Loop: Header=BB108_42 Depth=3
	s_andn2_saveexec_b64 s[40:41], s[40:41]
	s_cbranch_execz .LBB108_41
; %bb.51:                               ;   in Loop: Header=BB108_42 Depth=3
	v_lshl_add_u32 v31, v30, 5, v40
	ds_add_f64 v31, v[32:33] offset:16
	s_andn2_b64 s[42:43], s[42:43], exec
	s_branch .LBB108_41
.LBB108_52:                             ;   in Loop: Header=BB108_16 Depth=2
	s_or_b64 exec, exec, s[28:29]
	v_mul_f64 v[28:29], v[14:15], v[28:29]
	v_fmac_f64_e32 v[28:29], v[16:17], v[26:27]
	s_mov_b64 s[28:29], 0
	s_branch .LBB108_54
.LBB108_53:                             ;   in Loop: Header=BB108_54 Depth=3
	s_or_b64 exec, exec, s[40:41]
	s_xor_b64 s[40:41], s[42:43], -1
	s_and_b64 s[40:41], exec, s[40:41]
	s_or_b64 s[28:29], s[40:41], s[28:29]
	s_andn2_b64 exec, exec, s[28:29]
	s_cbranch_execz .LBB108_15
.LBB108_54:                             ;   Parent Loop BB108_13 Depth=1
                                        ;     Parent Loop BB108_16 Depth=2
                                        ; =>    This Inner Loop Header: Depth=3
	v_lshl_add_u32 v30, v24, 3, v41
	ds_read_b64 v[26:27], v30
                                        ; implicit-def: $sgpr42_sgpr43
	s_waitcnt lgkmcnt(0)
	v_cmp_ne_u64_e32 vcc, v[26:27], v[22:23]
	s_and_saveexec_b64 s[40:41], vcc
	s_xor_b64 s[40:41], exec, s[40:41]
	s_cbranch_execz .LBB108_62
; %bb.55:                               ;   in Loop: Header=BB108_54 Depth=3
	v_cmp_ne_u64_e32 vcc, s[30:31], v[26:27]
                                        ; implicit-def: $sgpr42_sgpr43
	s_and_saveexec_b64 s[44:45], vcc
	s_xor_b64 s[44:45], exec, s[44:45]
; %bb.56:                               ;   in Loop: Header=BB108_54 Depth=3
	v_add_u32_e32 v24, 1, v24
	v_and_b32_e32 v24, 15, v24
	s_mov_b64 s[42:43], -1
                                        ; implicit-def: $vgpr30
; %bb.57:                               ;   in Loop: Header=BB108_54 Depth=3
	s_andn2_saveexec_b64 s[44:45], s[44:45]
	s_cbranch_execz .LBB108_61
; %bb.58:                               ;   in Loop: Header=BB108_54 Depth=3
	v_pk_mov_b32 v[26:27], s[30:31], s[30:31] op_sel:[0,1]
	ds_cmpst_rtn_b64 v[26:27], v30, v[26:27], v[22:23]
	s_mov_b64 s[46:47], -1
	s_waitcnt lgkmcnt(0)
	v_cmp_eq_u64_e32 vcc, s[30:31], v[26:27]
	s_and_saveexec_b64 s[48:49], vcc
	s_cbranch_execz .LBB108_60
; %bb.59:                               ;   in Loop: Header=BB108_54 Depth=3
	v_lshl_add_u32 v26, v24, 5, v40
	ds_add_f64 v26, v[28:29] offset:24
	s_xor_b64 s[46:47], exec, -1
.LBB108_60:                             ;   in Loop: Header=BB108_54 Depth=3
	s_or_b64 exec, exec, s[48:49]
	s_andn2_b64 s[42:43], s[42:43], exec
	s_and_b64 s[46:47], s[46:47], exec
	s_or_b64 s[42:43], s[42:43], s[46:47]
.LBB108_61:                             ;   in Loop: Header=BB108_54 Depth=3
	s_or_b64 exec, exec, s[44:45]
	s_and_b64 s[42:43], s[42:43], exec
.LBB108_62:                             ;   in Loop: Header=BB108_54 Depth=3
	s_andn2_saveexec_b64 s[40:41], s[40:41]
	s_cbranch_execz .LBB108_53
; %bb.63:                               ;   in Loop: Header=BB108_54 Depth=3
	v_lshl_add_u32 v26, v24, 5, v40
	ds_add_f64 v26, v[28:29] offset:24
	s_andn2_b64 s[42:43], s[42:43], exec
	s_branch .LBB108_53
.LBB108_64:
	s_or_b64 exec, exec, s[4:5]
.LBB108_65:
	s_andn2_b64 vcc, exec, s[34:35]
	s_waitcnt lgkmcnt(0)
	s_cbranch_vccnz .LBB108_118
; %bb.66:
	v_mov_b32_e32 v1, s9
	v_add_co_u32_e32 v0, vcc, s8, v6
	v_addc_co_u32_e32 v1, vcc, v1, v7, vcc
	global_load_dwordx4 v[8:11], v[0:1], off
	v_subrev_co_u32_e32 v2, vcc, s27, v25
	v_subb_co_u32_e64 v3, s[4:5], 0, 0, vcc
	s_mov_b32 s8, 0
	s_waitcnt vmcnt(0)
	v_subrev_co_u32_e32 v0, vcc, s27, v10
	v_subbrev_co_u32_e32 v1, vcc, 0, v11, vcc
	v_add_co_u32_e32 v2, vcc, v8, v2
	v_addc_co_u32_e32 v3, vcc, v9, v3, vcc
	v_cmp_lt_i64_e32 vcc, v[2:3], v[0:1]
	s_and_saveexec_b64 s[4:5], vcc
	s_cbranch_execz .LBB108_117
; %bb.67:
	s_cmp_eq_u32 s33, 0
	s_mov_b32 s28, s27
	s_cselect_b32 s27, 1, 2
	s_cselect_b32 s29, 2, 1
	s_mov_b64 s[6:7], 0
	v_mov_b32_e32 v11, s13
	v_mov_b32_e32 v24, s11
	;; [unrolled: 1-line block ×3, first 2 shown]
	s_branch .LBB108_69
.LBB108_68:                             ;   in Loop: Header=BB108_69 Depth=1
	s_or_b64 exec, exec, s[8:9]
	v_add_co_u32_e32 v2, vcc, 16, v2
	v_addc_co_u32_e32 v3, vcc, 0, v3, vcc
	v_cmp_ge_i64_e32 vcc, v[2:3], v[0:1]
	s_or_b64 s[6:7], vcc, s[6:7]
	s_andn2_b64 exec, exec, s[6:7]
	s_cbranch_execz .LBB108_117
.LBB108_69:                             ; =>This Loop Header: Depth=1
                                        ;     Child Loop BB108_71 Depth 2
                                        ;     Child Loop BB108_83 Depth 2
                                        ;     Child Loop BB108_95 Depth 2
                                        ;     Child Loop BB108_107 Depth 2
	v_lshlrev_b64 v[8:9], 2, v[2:3]
	v_lshlrev_b64 v[14:15], 5, v[2:3]
	v_or_b32_e32 v13, 0, v9
	v_or_b32_e32 v12, s27, v8
	v_add_co_u32_e32 v18, vcc, s12, v14
	v_addc_co_u32_e32 v19, vcc, v11, v15, vcc
	v_lshlrev_b64 v[12:13], 3, v[12:13]
	v_add_co_u32_e32 v22, vcc, s12, v12
	v_addc_co_u32_e32 v23, vcc, v11, v13, vcc
	v_lshlrev_b64 v[12:13], 3, v[2:3]
	v_add_co_u32_e32 v12, vcc, s10, v12
	v_or_b32_e32 v9, 0, v9
	v_or_b32_e32 v8, s29, v8
	v_addc_co_u32_e32 v13, vcc, v24, v13, vcc
	v_lshlrev_b64 v[8:9], 3, v[8:9]
	global_load_dwordx2 v[28:29], v[12:13], off
	v_add_co_u32_e32 v8, vcc, s12, v8
	v_addc_co_u32_e32 v9, vcc, v11, v9, vcc
	global_load_dwordx2 v[20:21], v[18:19], off
	global_load_dwordx2 v[14:15], v[8:9], off
	;; [unrolled: 1-line block ×3, first 2 shown]
	global_load_dwordx2 v[12:13], v[18:19], off offset:24
	s_mov_b64 s[8:9], 0
	s_waitcnt vmcnt(4)
	v_subrev_co_u32_e32 v8, vcc, s28, v28
	v_lshl_add_u32 v10, v8, 3, v8
	v_and_b32_e32 v10, 15, v10
	v_subb_co_u32_e32 v9, vcc, v29, v26, vcc
	s_waitcnt vmcnt(3)
	v_mul_f64 v[18:19], v[4:5], v[20:21]
	v_pk_mov_b32 v[20:21], v[10:11], v[10:11] op_sel:[0,1]
	s_branch .LBB108_71
.LBB108_70:                             ;   in Loop: Header=BB108_71 Depth=2
	s_or_b64 exec, exec, s[16:17]
	s_xor_b64 s[16:17], s[18:19], -1
	s_and_b64 s[16:17], exec, s[16:17]
	s_or_b64 s[8:9], s[16:17], s[8:9]
	s_andn2_b64 exec, exec, s[8:9]
	s_cbranch_execz .LBB108_81
.LBB108_71:                             ;   Parent Loop BB108_69 Depth=1
                                        ; =>  This Inner Loop Header: Depth=2
	v_lshl_add_u32 v21, v20, 3, v41
	ds_read_b64 v[22:23], v21
                                        ; implicit-def: $sgpr18_sgpr19
	s_waitcnt lgkmcnt(0)
	v_cmp_ne_u64_e32 vcc, v[22:23], v[8:9]
	s_and_saveexec_b64 s[16:17], vcc
	s_xor_b64 s[16:17], exec, s[16:17]
	s_cbranch_execz .LBB108_79
; %bb.72:                               ;   in Loop: Header=BB108_71 Depth=2
	v_cmp_ne_u64_e32 vcc, s[30:31], v[22:23]
                                        ; implicit-def: $sgpr18_sgpr19
	s_and_saveexec_b64 s[20:21], vcc
	s_xor_b64 s[20:21], exec, s[20:21]
; %bb.73:                               ;   in Loop: Header=BB108_71 Depth=2
	v_add_u32_e32 v20, 1, v20
	v_and_b32_e32 v20, 15, v20
	s_mov_b64 s[18:19], -1
                                        ; implicit-def: $vgpr21
; %bb.74:                               ;   in Loop: Header=BB108_71 Depth=2
	s_andn2_saveexec_b64 s[20:21], s[20:21]
	s_cbranch_execz .LBB108_78
; %bb.75:                               ;   in Loop: Header=BB108_71 Depth=2
	v_pk_mov_b32 v[22:23], s[30:31], s[30:31] op_sel:[0,1]
	ds_cmpst_rtn_b64 v[22:23], v21, v[22:23], v[8:9]
	s_mov_b64 s[22:23], -1
	s_waitcnt lgkmcnt(0)
	v_cmp_eq_u64_e32 vcc, s[30:31], v[22:23]
	s_and_saveexec_b64 s[24:25], vcc
	s_cbranch_execz .LBB108_77
; %bb.76:                               ;   in Loop: Header=BB108_71 Depth=2
	v_lshl_add_u32 v21, v20, 5, v40
	ds_add_f64 v21, v[18:19]
	s_xor_b64 s[22:23], exec, -1
.LBB108_77:                             ;   in Loop: Header=BB108_71 Depth=2
	s_or_b64 exec, exec, s[24:25]
	s_andn2_b64 s[18:19], s[18:19], exec
	s_and_b64 s[22:23], s[22:23], exec
	s_or_b64 s[18:19], s[18:19], s[22:23]
.LBB108_78:                             ;   in Loop: Header=BB108_71 Depth=2
	s_or_b64 exec, exec, s[20:21]
	s_and_b64 s[18:19], s[18:19], exec
.LBB108_79:                             ;   in Loop: Header=BB108_71 Depth=2
	s_andn2_saveexec_b64 s[16:17], s[16:17]
	s_cbranch_execz .LBB108_70
; %bb.80:                               ;   in Loop: Header=BB108_71 Depth=2
	v_lshl_add_u32 v21, v20, 5, v40
	ds_add_f64 v21, v[18:19]
	s_andn2_b64 s[18:19], s[18:19], exec
	s_branch .LBB108_70
.LBB108_81:                             ;   in Loop: Header=BB108_69 Depth=1
	s_or_b64 exec, exec, s[8:9]
	s_waitcnt vmcnt(1)
	v_mul_f64 v[16:17], v[4:5], v[16:17]
	s_mov_b64 s[8:9], 0
	v_pk_mov_b32 v[18:19], v[10:11], v[10:11] op_sel:[0,1]
	s_branch .LBB108_83
.LBB108_82:                             ;   in Loop: Header=BB108_83 Depth=2
	s_or_b64 exec, exec, s[16:17]
	s_xor_b64 s[16:17], s[18:19], -1
	s_and_b64 s[16:17], exec, s[16:17]
	s_or_b64 s[8:9], s[16:17], s[8:9]
	s_andn2_b64 exec, exec, s[8:9]
	s_cbranch_execz .LBB108_93
.LBB108_83:                             ;   Parent Loop BB108_69 Depth=1
                                        ; =>  This Inner Loop Header: Depth=2
	v_lshl_add_u32 v19, v18, 3, v41
	ds_read_b64 v[20:21], v19
                                        ; implicit-def: $sgpr18_sgpr19
	s_waitcnt lgkmcnt(0)
	v_cmp_ne_u64_e32 vcc, v[20:21], v[8:9]
	s_and_saveexec_b64 s[16:17], vcc
	s_xor_b64 s[16:17], exec, s[16:17]
	s_cbranch_execz .LBB108_91
; %bb.84:                               ;   in Loop: Header=BB108_83 Depth=2
	v_cmp_ne_u64_e32 vcc, s[30:31], v[20:21]
                                        ; implicit-def: $sgpr18_sgpr19
	s_and_saveexec_b64 s[20:21], vcc
	s_xor_b64 s[20:21], exec, s[20:21]
; %bb.85:                               ;   in Loop: Header=BB108_83 Depth=2
	v_add_u32_e32 v18, 1, v18
	v_and_b32_e32 v18, 15, v18
	s_mov_b64 s[18:19], -1
                                        ; implicit-def: $vgpr19
; %bb.86:                               ;   in Loop: Header=BB108_83 Depth=2
	s_andn2_saveexec_b64 s[20:21], s[20:21]
	s_cbranch_execz .LBB108_90
; %bb.87:                               ;   in Loop: Header=BB108_83 Depth=2
	v_pk_mov_b32 v[20:21], s[30:31], s[30:31] op_sel:[0,1]
	ds_cmpst_rtn_b64 v[20:21], v19, v[20:21], v[8:9]
	s_mov_b64 s[22:23], -1
	s_waitcnt lgkmcnt(0)
	v_cmp_eq_u64_e32 vcc, s[30:31], v[20:21]
	s_and_saveexec_b64 s[24:25], vcc
	s_cbranch_execz .LBB108_89
; %bb.88:                               ;   in Loop: Header=BB108_83 Depth=2
	v_lshl_add_u32 v19, v18, 5, v40
	ds_add_f64 v19, v[16:17] offset:8
	s_xor_b64 s[22:23], exec, -1
.LBB108_89:                             ;   in Loop: Header=BB108_83 Depth=2
	s_or_b64 exec, exec, s[24:25]
	s_andn2_b64 s[18:19], s[18:19], exec
	s_and_b64 s[22:23], s[22:23], exec
	s_or_b64 s[18:19], s[18:19], s[22:23]
.LBB108_90:                             ;   in Loop: Header=BB108_83 Depth=2
	s_or_b64 exec, exec, s[20:21]
	s_and_b64 s[18:19], s[18:19], exec
.LBB108_91:                             ;   in Loop: Header=BB108_83 Depth=2
	s_andn2_saveexec_b64 s[16:17], s[16:17]
	s_cbranch_execz .LBB108_82
; %bb.92:                               ;   in Loop: Header=BB108_83 Depth=2
	v_lshl_add_u32 v19, v18, 5, v40
	ds_add_f64 v19, v[16:17] offset:8
	s_andn2_b64 s[18:19], s[18:19], exec
	s_branch .LBB108_82
.LBB108_93:                             ;   in Loop: Header=BB108_69 Depth=1
	s_or_b64 exec, exec, s[8:9]
	v_mul_f64 v[14:15], v[4:5], v[14:15]
	s_mov_b64 s[8:9], 0
	v_pk_mov_b32 v[16:17], v[10:11], v[10:11] op_sel:[0,1]
	s_branch .LBB108_95
.LBB108_94:                             ;   in Loop: Header=BB108_95 Depth=2
	s_or_b64 exec, exec, s[16:17]
	s_xor_b64 s[16:17], s[18:19], -1
	s_and_b64 s[16:17], exec, s[16:17]
	s_or_b64 s[8:9], s[16:17], s[8:9]
	s_andn2_b64 exec, exec, s[8:9]
	s_cbranch_execz .LBB108_105
.LBB108_95:                             ;   Parent Loop BB108_69 Depth=1
                                        ; =>  This Inner Loop Header: Depth=2
	v_lshl_add_u32 v17, v16, 3, v41
	ds_read_b64 v[18:19], v17
                                        ; implicit-def: $sgpr18_sgpr19
	s_waitcnt lgkmcnt(0)
	v_cmp_ne_u64_e32 vcc, v[18:19], v[8:9]
	s_and_saveexec_b64 s[16:17], vcc
	s_xor_b64 s[16:17], exec, s[16:17]
	s_cbranch_execz .LBB108_103
; %bb.96:                               ;   in Loop: Header=BB108_95 Depth=2
	v_cmp_ne_u64_e32 vcc, s[30:31], v[18:19]
                                        ; implicit-def: $sgpr18_sgpr19
	s_and_saveexec_b64 s[20:21], vcc
	s_xor_b64 s[20:21], exec, s[20:21]
; %bb.97:                               ;   in Loop: Header=BB108_95 Depth=2
	v_add_u32_e32 v16, 1, v16
	v_and_b32_e32 v16, 15, v16
	s_mov_b64 s[18:19], -1
                                        ; implicit-def: $vgpr17
; %bb.98:                               ;   in Loop: Header=BB108_95 Depth=2
	s_andn2_saveexec_b64 s[20:21], s[20:21]
	s_cbranch_execz .LBB108_102
; %bb.99:                               ;   in Loop: Header=BB108_95 Depth=2
	v_pk_mov_b32 v[18:19], s[30:31], s[30:31] op_sel:[0,1]
	ds_cmpst_rtn_b64 v[18:19], v17, v[18:19], v[8:9]
	s_mov_b64 s[22:23], -1
	s_waitcnt lgkmcnt(0)
	v_cmp_eq_u64_e32 vcc, s[30:31], v[18:19]
	s_and_saveexec_b64 s[24:25], vcc
	s_cbranch_execz .LBB108_101
; %bb.100:                              ;   in Loop: Header=BB108_95 Depth=2
	v_lshl_add_u32 v17, v16, 5, v40
	ds_add_f64 v17, v[14:15] offset:16
	s_xor_b64 s[22:23], exec, -1
.LBB108_101:                            ;   in Loop: Header=BB108_95 Depth=2
	s_or_b64 exec, exec, s[24:25]
	s_andn2_b64 s[18:19], s[18:19], exec
	s_and_b64 s[22:23], s[22:23], exec
	s_or_b64 s[18:19], s[18:19], s[22:23]
.LBB108_102:                            ;   in Loop: Header=BB108_95 Depth=2
	s_or_b64 exec, exec, s[20:21]
	s_and_b64 s[18:19], s[18:19], exec
.LBB108_103:                            ;   in Loop: Header=BB108_95 Depth=2
	s_andn2_saveexec_b64 s[16:17], s[16:17]
	s_cbranch_execz .LBB108_94
; %bb.104:                              ;   in Loop: Header=BB108_95 Depth=2
	v_lshl_add_u32 v17, v16, 5, v40
	ds_add_f64 v17, v[14:15] offset:16
	s_andn2_b64 s[18:19], s[18:19], exec
	s_branch .LBB108_94
.LBB108_105:                            ;   in Loop: Header=BB108_69 Depth=1
	s_or_b64 exec, exec, s[8:9]
	s_waitcnt vmcnt(0)
	v_mul_f64 v[12:13], v[4:5], v[12:13]
	s_mov_b64 s[8:9], 0
	s_branch .LBB108_107
.LBB108_106:                            ;   in Loop: Header=BB108_107 Depth=2
	s_or_b64 exec, exec, s[16:17]
	s_xor_b64 s[16:17], s[18:19], -1
	s_and_b64 s[16:17], exec, s[16:17]
	s_or_b64 s[8:9], s[16:17], s[8:9]
	s_andn2_b64 exec, exec, s[8:9]
	s_cbranch_execz .LBB108_68
.LBB108_107:                            ;   Parent Loop BB108_69 Depth=1
                                        ; =>  This Inner Loop Header: Depth=2
	v_lshl_add_u32 v16, v10, 3, v41
	ds_read_b64 v[14:15], v16
                                        ; implicit-def: $sgpr18_sgpr19
	s_waitcnt lgkmcnt(0)
	v_cmp_ne_u64_e32 vcc, v[14:15], v[8:9]
	s_and_saveexec_b64 s[16:17], vcc
	s_xor_b64 s[16:17], exec, s[16:17]
	s_cbranch_execz .LBB108_115
; %bb.108:                              ;   in Loop: Header=BB108_107 Depth=2
	v_cmp_ne_u64_e32 vcc, s[30:31], v[14:15]
                                        ; implicit-def: $sgpr18_sgpr19
	s_and_saveexec_b64 s[20:21], vcc
	s_xor_b64 s[20:21], exec, s[20:21]
; %bb.109:                              ;   in Loop: Header=BB108_107 Depth=2
	v_add_u32_e32 v10, 1, v10
	v_and_b32_e32 v10, 15, v10
	s_mov_b64 s[18:19], -1
                                        ; implicit-def: $vgpr16
; %bb.110:                              ;   in Loop: Header=BB108_107 Depth=2
	s_andn2_saveexec_b64 s[20:21], s[20:21]
	s_cbranch_execz .LBB108_114
; %bb.111:                              ;   in Loop: Header=BB108_107 Depth=2
	v_pk_mov_b32 v[14:15], s[30:31], s[30:31] op_sel:[0,1]
	ds_cmpst_rtn_b64 v[14:15], v16, v[14:15], v[8:9]
	s_mov_b64 s[22:23], -1
	s_waitcnt lgkmcnt(0)
	v_cmp_eq_u64_e32 vcc, s[30:31], v[14:15]
	s_and_saveexec_b64 s[24:25], vcc
	s_cbranch_execz .LBB108_113
; %bb.112:                              ;   in Loop: Header=BB108_107 Depth=2
	v_lshl_add_u32 v14, v10, 5, v40
	ds_add_f64 v14, v[12:13] offset:24
	s_xor_b64 s[22:23], exec, -1
.LBB108_113:                            ;   in Loop: Header=BB108_107 Depth=2
	s_or_b64 exec, exec, s[24:25]
	s_andn2_b64 s[18:19], s[18:19], exec
	s_and_b64 s[22:23], s[22:23], exec
	s_or_b64 s[18:19], s[18:19], s[22:23]
.LBB108_114:                            ;   in Loop: Header=BB108_107 Depth=2
	s_or_b64 exec, exec, s[20:21]
	s_and_b64 s[18:19], s[18:19], exec
.LBB108_115:                            ;   in Loop: Header=BB108_107 Depth=2
	s_andn2_saveexec_b64 s[16:17], s[16:17]
	s_cbranch_execz .LBB108_106
; %bb.116:                              ;   in Loop: Header=BB108_107 Depth=2
	v_lshl_add_u32 v14, v10, 5, v40
	ds_add_f64 v14, v[12:13] offset:24
	s_andn2_b64 s[18:19], s[18:19], exec
	s_branch .LBB108_106
.LBB108_117:
	s_or_b64 exec, exec, s[4:5]
.LBB108_118:
	s_waitcnt lgkmcnt(0)
	ds_read_b64 v[0:1], v42
	s_waitcnt lgkmcnt(0)
	v_cmp_gt_i64_e32 vcc, s[30:31], v[0:1]
	s_and_b64 exec, exec, vcc
	s_cbranch_execz .LBB108_120
; %bb.119:
	v_mov_b32_e32 v3, s15
	v_add_co_u32_e32 v2, vcc, s14, v6
	v_addc_co_u32_e32 v3, vcc, v3, v7, vcc
	global_load_dwordx2 v[22:23], v[2:3], off
	ds_read_b128 v[2:5], v41
	ds_read_b128 v[6:9], v41 offset:16
	ds_read_b128 v[10:13], v41 offset:32
	;; [unrolled: 1-line block ×7, first 2 shown]
	s_waitcnt lgkmcnt(7)
	v_cmp_gt_i64_e32 vcc, v[0:1], v[2:3]
	v_cndmask_b32_e64 v2, 0, 1, vcc
	v_cmp_gt_i64_e32 vcc, v[0:1], v[4:5]
	v_cndmask_b32_e64 v3, 0, 1, vcc
	s_waitcnt lgkmcnt(6)
	v_cmp_gt_i64_e32 vcc, v[0:1], v[6:7]
	v_cndmask_b32_e64 v4, 0, 1, vcc
	v_cmp_gt_i64_e32 vcc, v[0:1], v[8:9]
	v_cndmask_b32_e64 v5, 0, 1, vcc
	;; [unrolled: 5-line block ×6, first 2 shown]
	s_waitcnt lgkmcnt(1)
	v_cmp_gt_i64_e32 vcc, v[0:1], v[30:31]
	v_cndmask_b32_e64 v14, 0, 1, vcc
	s_cmp_eq_u32 s33, 0
	s_waitcnt vmcnt(0)
	v_subrev_co_u32_e32 v15, vcc, s26, v22
	v_subbrev_co_u32_e32 v16, vcc, 0, v23, vcc
	v_add_co_u32_e32 v2, vcc, v15, v2
	v_addc_co_u32_e32 v15, vcc, 0, v16, vcc
	v_add_co_u32_e32 v2, vcc, v2, v3
	v_addc_co_u32_e32 v3, vcc, 0, v15, vcc
	;; [unrolled: 2-line block ×13, first 2 shown]
	v_cmp_gt_i64_e32 vcc, v[0:1], v[32:33]
	v_cndmask_b32_e64 v4, 0, 1, vcc
	v_add_co_u32_e32 v2, vcc, v2, v4
	v_addc_co_u32_e32 v3, vcc, 0, v3, vcc
	s_waitcnt lgkmcnt(0)
	v_cmp_gt_i64_e32 vcc, v[0:1], v[34:35]
	v_cndmask_b32_e64 v4, 0, 1, vcc
	v_add_co_u32_e32 v2, vcc, v2, v4
	v_addc_co_u32_e32 v3, vcc, 0, v3, vcc
	v_cmp_gt_i64_e32 vcc, v[0:1], v[36:37]
	v_cndmask_b32_e64 v4, 0, 1, vcc
	v_add_co_u32_e32 v4, vcc, v2, v4
	v_addc_co_u32_e32 v5, vcc, 0, v3, vcc
	v_add_co_u32_e32 v0, vcc, s26, v0
	v_addc_co_u32_e32 v1, vcc, 0, v1, vcc
	v_lshlrev_b64 v[2:3], 3, v[4:5]
	v_mov_b32_e32 v6, s1
	v_add_co_u32_e32 v2, vcc, s0, v2
	v_addc_co_u32_e32 v3, vcc, v6, v3, vcc
	global_store_dwordx2 v[2:3], v[0:1], off
	v_lshl_add_u32 v0, v25, 5, v40
	ds_read2_b64 v[0:3], v0 offset1:3
	v_lshlrev_b32_e32 v6, 2, v25
	s_cselect_b32 s0, 1, 2
	v_lshlrev_b64 v[8:9], 5, v[4:5]
	s_cselect_b32 s1, 2, 1
	v_or_b32_e32 v4, s0, v6
	v_lshl_add_u32 v7, v4, 3, v40
	s_waitcnt lgkmcnt(0)
	v_mov_b32_e32 v4, v0
	v_or_b32_e32 v0, s1, v6
	v_lshl_add_u32 v0, v0, 3, v40
	v_mov_b32_e32 v5, v1
	ds_read_b64 v[6:7], v7
	ds_read_b64 v[0:1], v0
	v_mov_b32_e32 v10, s3
	v_add_co_u32_e32 v8, vcc, s2, v8
	v_addc_co_u32_e32 v9, vcc, v10, v9, vcc
	s_waitcnt lgkmcnt(1)
	global_store_dwordx4 v[8:9], v[4:7], off
	s_waitcnt lgkmcnt(0)
	global_store_dwordx4 v[8:9], v[0:3], off offset:16
.LBB108_120:
	s_endpgm
	.section	.rodata,"a",@progbits
	.p2align	6, 0x0
	.amdhsa_kernel _ZN9rocsparseL27bsrgemm_fill_wf_per_row_2x2ILj256ELj16ELj16ELj137ElldEEv20rocsparse_direction_T4_S2_PKS2_S4_NS_24const_host_device_scalarIT5_EEPKT3_S4_PKS6_SA_S4_SC_S7_SA_S4_SC_SA_PS2_PS6_21rocsparse_index_base_SF_SF_SF_bbb
		.amdhsa_group_segment_fixed_size 10240
		.amdhsa_private_segment_fixed_size 0
		.amdhsa_kernarg_size 172
		.amdhsa_user_sgpr_count 6
		.amdhsa_user_sgpr_private_segment_buffer 1
		.amdhsa_user_sgpr_dispatch_ptr 0
		.amdhsa_user_sgpr_queue_ptr 0
		.amdhsa_user_sgpr_kernarg_segment_ptr 1
		.amdhsa_user_sgpr_dispatch_id 0
		.amdhsa_user_sgpr_flat_scratch_init 0
		.amdhsa_user_sgpr_kernarg_preload_length 0
		.amdhsa_user_sgpr_kernarg_preload_offset 0
		.amdhsa_user_sgpr_private_segment_size 0
		.amdhsa_uses_dynamic_stack 0
		.amdhsa_system_sgpr_private_segment_wavefront_offset 0
		.amdhsa_system_sgpr_workgroup_id_x 1
		.amdhsa_system_sgpr_workgroup_id_y 0
		.amdhsa_system_sgpr_workgroup_id_z 0
		.amdhsa_system_sgpr_workgroup_info 0
		.amdhsa_system_vgpr_workitem_id 0
		.amdhsa_next_free_vgpr 46
		.amdhsa_next_free_sgpr 55
		.amdhsa_accum_offset 48
		.amdhsa_reserve_vcc 1
		.amdhsa_reserve_flat_scratch 0
		.amdhsa_float_round_mode_32 0
		.amdhsa_float_round_mode_16_64 0
		.amdhsa_float_denorm_mode_32 3
		.amdhsa_float_denorm_mode_16_64 3
		.amdhsa_dx10_clamp 1
		.amdhsa_ieee_mode 1
		.amdhsa_fp16_overflow 0
		.amdhsa_tg_split 0
		.amdhsa_exception_fp_ieee_invalid_op 0
		.amdhsa_exception_fp_denorm_src 0
		.amdhsa_exception_fp_ieee_div_zero 0
		.amdhsa_exception_fp_ieee_overflow 0
		.amdhsa_exception_fp_ieee_underflow 0
		.amdhsa_exception_fp_ieee_inexact 0
		.amdhsa_exception_int_div_zero 0
	.end_amdhsa_kernel
	.section	.text._ZN9rocsparseL27bsrgemm_fill_wf_per_row_2x2ILj256ELj16ELj16ELj137ElldEEv20rocsparse_direction_T4_S2_PKS2_S4_NS_24const_host_device_scalarIT5_EEPKT3_S4_PKS6_SA_S4_SC_S7_SA_S4_SC_SA_PS2_PS6_21rocsparse_index_base_SF_SF_SF_bbb,"axG",@progbits,_ZN9rocsparseL27bsrgemm_fill_wf_per_row_2x2ILj256ELj16ELj16ELj137ElldEEv20rocsparse_direction_T4_S2_PKS2_S4_NS_24const_host_device_scalarIT5_EEPKT3_S4_PKS6_SA_S4_SC_S7_SA_S4_SC_SA_PS2_PS6_21rocsparse_index_base_SF_SF_SF_bbb,comdat
.Lfunc_end108:
	.size	_ZN9rocsparseL27bsrgemm_fill_wf_per_row_2x2ILj256ELj16ELj16ELj137ElldEEv20rocsparse_direction_T4_S2_PKS2_S4_NS_24const_host_device_scalarIT5_EEPKT3_S4_PKS6_SA_S4_SC_S7_SA_S4_SC_SA_PS2_PS6_21rocsparse_index_base_SF_SF_SF_bbb, .Lfunc_end108-_ZN9rocsparseL27bsrgemm_fill_wf_per_row_2x2ILj256ELj16ELj16ELj137ElldEEv20rocsparse_direction_T4_S2_PKS2_S4_NS_24const_host_device_scalarIT5_EEPKT3_S4_PKS6_SA_S4_SC_S7_SA_S4_SC_SA_PS2_PS6_21rocsparse_index_base_SF_SF_SF_bbb
                                        ; -- End function
	.section	.AMDGPU.csdata,"",@progbits
; Kernel info:
; codeLenInByte = 3876
; NumSgprs: 59
; NumVgprs: 46
; NumAgprs: 0
; TotalNumVgprs: 46
; ScratchSize: 0
; MemoryBound: 0
; FloatMode: 240
; IeeeMode: 1
; LDSByteSize: 10240 bytes/workgroup (compile time only)
; SGPRBlocks: 7
; VGPRBlocks: 5
; NumSGPRsForWavesPerEU: 59
; NumVGPRsForWavesPerEU: 46
; AccumOffset: 48
; Occupancy: 6
; WaveLimiterHint : 1
; COMPUTE_PGM_RSRC2:SCRATCH_EN: 0
; COMPUTE_PGM_RSRC2:USER_SGPR: 6
; COMPUTE_PGM_RSRC2:TRAP_HANDLER: 0
; COMPUTE_PGM_RSRC2:TGID_X_EN: 1
; COMPUTE_PGM_RSRC2:TGID_Y_EN: 0
; COMPUTE_PGM_RSRC2:TGID_Z_EN: 0
; COMPUTE_PGM_RSRC2:TIDIG_COMP_CNT: 0
; COMPUTE_PGM_RSRC3_GFX90A:ACCUM_OFFSET: 11
; COMPUTE_PGM_RSRC3_GFX90A:TG_SPLIT: 0
	.section	.text._ZN9rocsparseL27bsrgemm_fill_wf_per_row_2x2ILj256ELj16ELj32ELj137ElldEEv20rocsparse_direction_T4_S2_PKS2_S4_NS_24const_host_device_scalarIT5_EEPKT3_S4_PKS6_SA_S4_SC_S7_SA_S4_SC_SA_PS2_PS6_21rocsparse_index_base_SF_SF_SF_bbb,"axG",@progbits,_ZN9rocsparseL27bsrgemm_fill_wf_per_row_2x2ILj256ELj16ELj32ELj137ElldEEv20rocsparse_direction_T4_S2_PKS2_S4_NS_24const_host_device_scalarIT5_EEPKT3_S4_PKS6_SA_S4_SC_S7_SA_S4_SC_SA_PS2_PS6_21rocsparse_index_base_SF_SF_SF_bbb,comdat
	.globl	_ZN9rocsparseL27bsrgemm_fill_wf_per_row_2x2ILj256ELj16ELj32ELj137ElldEEv20rocsparse_direction_T4_S2_PKS2_S4_NS_24const_host_device_scalarIT5_EEPKT3_S4_PKS6_SA_S4_SC_S7_SA_S4_SC_SA_PS2_PS6_21rocsparse_index_base_SF_SF_SF_bbb ; -- Begin function _ZN9rocsparseL27bsrgemm_fill_wf_per_row_2x2ILj256ELj16ELj32ELj137ElldEEv20rocsparse_direction_T4_S2_PKS2_S4_NS_24const_host_device_scalarIT5_EEPKT3_S4_PKS6_SA_S4_SC_S7_SA_S4_SC_SA_PS2_PS6_21rocsparse_index_base_SF_SF_SF_bbb
	.p2align	8
	.type	_ZN9rocsparseL27bsrgemm_fill_wf_per_row_2x2ILj256ELj16ELj32ELj137ElldEEv20rocsparse_direction_T4_S2_PKS2_S4_NS_24const_host_device_scalarIT5_EEPKT3_S4_PKS6_SA_S4_SC_S7_SA_S4_SC_SA_PS2_PS6_21rocsparse_index_base_SF_SF_SF_bbb,@function
_ZN9rocsparseL27bsrgemm_fill_wf_per_row_2x2ILj256ELj16ELj32ELj137ElldEEv20rocsparse_direction_T4_S2_PKS2_S4_NS_24const_host_device_scalarIT5_EEPKT3_S4_PKS6_SA_S4_SC_S7_SA_S4_SC_SA_PS2_PS6_21rocsparse_index_base_SF_SF_SF_bbb: ; @_ZN9rocsparseL27bsrgemm_fill_wf_per_row_2x2ILj256ELj16ELj32ELj137ElldEEv20rocsparse_direction_T4_S2_PKS2_S4_NS_24const_host_device_scalarIT5_EEPKT3_S4_PKS6_SA_S4_SC_S7_SA_S4_SC_SA_PS2_PS6_21rocsparse_index_base_SF_SF_SF_bbb
; %bb.0:
	s_load_dword s7, s[4:5], 0xa8
	s_load_dwordx4 s[0:3], s[4:5], 0x98
	s_load_dwordx2 s[8:9], s[4:5], 0x28
	s_load_dwordx2 s[28:29], s[4:5], 0x60
	s_waitcnt lgkmcnt(0)
	s_and_b32 s10, 1, s7
	s_bitcmp1_b32 s7, 16
	s_cselect_b64 s[30:31], -1, 0
	s_cmp_eq_u32 s10, 1
	s_cselect_b64 s[44:45], -1, 0
	s_and_b64 s[10:11], s[44:45], exec
	s_cselect_b32 s11, s9, 0
	s_cselect_b32 s10, s8, 0
	s_xor_b64 s[12:13], s[44:45], -1
	s_or_b64 s[12:13], s[12:13], s[30:31]
	s_and_b64 vcc, exec, s[12:13]
	v_pk_mov_b32 v[8:9], s[10:11], s[10:11] op_sel:[0,1]
	s_cbranch_vccnz .LBB109_2
; %bb.1:
	v_pk_mov_b32 v[2:3], s[8:9], s[8:9] op_sel:[0,1]
	flat_load_dwordx2 v[8:9], v[2:3]
.LBB109_2:
	s_load_dwordx4 s[24:27], s[4:5], 0x88
	s_load_dwordx8 s[8:15], s[4:5], 0x68
	s_load_dwordx4 s[36:39], s[4:5], 0x50
	s_load_dwordx4 s[40:43], s[4:5], 0x18
	s_load_dwordx8 s[16:23], s[4:5], 0x30
	s_bitcmp1_b32 s7, 8
	s_cselect_b64 s[34:35], -1, 0
	s_and_b64 s[46:47], s[34:35], exec
	s_cselect_b32 s47, s29, 0
	s_cselect_b32 s46, s28, 0
	s_xor_b64 s[48:49], s[34:35], -1
	s_or_b64 s[30:31], s[48:49], s[30:31]
	s_and_b64 vcc, exec, s[30:31]
	v_pk_mov_b32 v[4:5], s[46:47], s[46:47] op_sel:[0,1]
	s_cbranch_vccnz .LBB109_4
; %bb.3:
	v_pk_mov_b32 v[2:3], s[28:29], s[28:29] op_sel:[0,1]
	flat_load_dwordx2 v[4:5], v[2:3]
.LBB109_4:
	s_load_dwordx4 s[28:31], s[4:5], 0x8
	v_and_b32_e32 v42, 15, v0
	v_lshrrev_b32_e32 v2, 4, v0
	v_lshlrev_b32_e32 v0, 8, v2
	v_lshlrev_b32_e32 v3, 3, v42
	s_movk_i32 s7, 0x4000
	v_or_b32_e32 v25, -16, v42
	v_or3_b32 v40, v0, v3, s7
	s_mov_b64 s[46:47], 0
	s_waitcnt lgkmcnt(0)
	v_pk_mov_b32 v[0:1], s[30:31], s[30:31] op_sel:[0,1]
	v_mov_b32_e32 v6, v40
	v_mov_b32_e32 v7, v25
.LBB109_5:                              ; =>This Inner Loop Header: Depth=1
	v_add_co_u32_e32 v7, vcc, 16, v7
	s_xor_b64 s[48:49], vcc, -1
	s_and_b64 s[48:49], exec, s[48:49]
	ds_write_b64 v6, v[0:1]
	s_or_b64 s[46:47], s[48:49], s[46:47]
	v_add_u32_e32 v6, 0x80, v6
	s_andn2_b64 exec, exec, s[46:47]
	s_cbranch_execnz .LBB109_5
; %bb.6:
	s_or_b64 exec, exec, s[46:47]
	v_lshlrev_b32_e32 v43, 10, v2
	v_mov_b32_e32 v0, 0
	v_or_b32_e32 v3, v43, v3
	s_mov_b64 s[46:47], 0
	v_mov_b32_e32 v1, v0
	s_movk_i32 s7, 0x6f
	v_mov_b32_e32 v6, v25
.LBB109_7:                              ; =>This Inner Loop Header: Depth=1
	v_add_u32_e32 v6, 16, v6
	v_cmp_lt_u32_e32 vcc, s7, v6
	ds_write_b64 v3, v[0:1]
	s_or_b64 s[46:47], vcc, s[46:47]
	v_add_u32_e32 v3, 0x80, v3
	s_andn2_b64 exec, exec, s[46:47]
	s_cbranch_execnz .LBB109_7
; %bb.8:
	s_or_b64 exec, exec, s[46:47]
	v_lshl_or_b32 v0, s6, 4, v2
	v_mov_b32_e32 v1, 0
	v_cmp_gt_i64_e32 vcc, s[28:29], v[0:1]
	s_waitcnt lgkmcnt(0)
	s_barrier
	s_and_saveexec_b64 s[6:7], vcc
	s_cbranch_execz .LBB109_124
; %bb.9:
	s_cmp_eq_u64 s[42:43], 0
	s_cbranch_scc1 .LBB109_11
; %bb.10:
	s_load_dwordx2 s[6:7], s[40:41], 0x0
	v_lshlrev_b64 v[0:1], 3, v[0:1]
	s_waitcnt lgkmcnt(0)
	s_lshl_b64 s[6:7], s[6:7], 3
	s_add_u32 s6, s42, s6
	s_addc_u32 s7, s43, s7
	v_mov_b32_e32 v3, s7
	v_add_co_u32_e32 v0, vcc, s6, v0
	v_addc_co_u32_e32 v1, vcc, v3, v1, vcc
	global_load_dwordx2 v[0:1], v[0:1], off
.LBB109_11:
	s_load_dword s33, s[4:5], 0x0
	v_mov_b32_e32 v3, 0x4000
	v_lshl_or_b32 v41, v2, 8, v3
	s_andn2_b64 vcc, exec, s[44:45]
	s_waitcnt vmcnt(0)
	v_lshlrev_b64 v[6:7], 3, v[0:1]
	s_cbranch_vccnz .LBB109_67
; %bb.12:
	v_mov_b32_e32 v1, s17
	v_add_co_u32_e32 v0, vcc, s16, v6
	v_addc_co_u32_e32 v1, vcc, v1, v7, vcc
	global_load_dwordx4 v[0:3], v[0:1], off
	v_subrev_co_u32_e32 v12, vcc, s0, v42
	v_subb_co_u32_e64 v13, s[4:5], 0, 0, vcc
	s_mov_b32 s6, 0
	s_waitcnt vmcnt(0)
	v_subrev_co_u32_e32 v10, vcc, s0, v2
	v_subbrev_co_u32_e32 v11, vcc, 0, v3, vcc
	v_add_co_u32_e32 v12, vcc, v0, v12
	v_addc_co_u32_e32 v13, vcc, v1, v13, vcc
	v_cmp_lt_i64_e32 vcc, v[12:13], v[10:11]
	s_and_saveexec_b64 s[4:5], vcc
	s_cbranch_execz .LBB109_66
; %bb.13:
	s_waitcnt lgkmcnt(0)
	s_cmp_eq_u32 s33, 0
	s_mov_b32 s50, s0
	s_mov_b32 s51, s1
	;; [unrolled: 1-line block ×3, first 2 shown]
	s_cselect_b32 s53, 1, 2
	s_cselect_b32 s54, 2, 1
	s_mov_b64 s[0:1], 0
	v_mov_b32_e32 v44, s19
	v_mov_b32_e32 v45, s6
	;; [unrolled: 1-line block ×3, first 2 shown]
	s_branch .LBB109_15
.LBB109_14:                             ;   in Loop: Header=BB109_15 Depth=1
	s_or_b64 exec, exec, s[6:7]
	v_add_co_u32_e32 v12, vcc, 16, v12
	v_addc_co_u32_e32 v13, vcc, 0, v13, vcc
	v_cmp_ge_i64_e32 vcc, v[12:13], v[10:11]
	s_or_b64 s[0:1], vcc, s[0:1]
	s_andn2_b64 exec, exec, s[0:1]
	s_cbranch_execz .LBB109_66
.LBB109_15:                             ; =>This Loop Header: Depth=1
                                        ;     Child Loop BB109_18 Depth 2
                                        ;       Child Loop BB109_20 Depth 3
                                        ;       Child Loop BB109_32 Depth 3
	;; [unrolled: 1-line block ×4, first 2 shown]
	v_lshlrev_b64 v[0:1], 3, v[12:13]
	v_add_co_u32_e32 v0, vcc, s18, v0
	v_addc_co_u32_e32 v1, vcc, v44, v1, vcc
	global_load_dwordx2 v[0:1], v[0:1], off
	s_waitcnt vmcnt(0)
	v_subrev_co_u32_e32 v0, vcc, s50, v0
	v_subb_co_u32_e32 v1, vcc, v1, v45, vcc
	v_lshlrev_b64 v[0:1], 3, v[0:1]
	v_add_co_u32_e32 v0, vcc, s22, v0
	v_addc_co_u32_e32 v1, vcc, v46, v1, vcc
	global_load_dwordx4 v[0:3], v[0:1], off
	s_waitcnt vmcnt(0)
	v_cmp_lt_i64_e32 vcc, v[0:1], v[2:3]
	s_and_saveexec_b64 s[6:7], vcc
	s_cbranch_execz .LBB109_14
; %bb.16:                               ;   in Loop: Header=BB109_15 Depth=1
	v_lshlrev_b64 v[14:15], 2, v[12:13]
	v_lshlrev_b64 v[18:19], 5, v[12:13]
	v_or_b32_e32 v17, 0, v15
	v_or_b32_e32 v16, s53, v14
	;; [unrolled: 1-line block ×4, first 2 shown]
	v_mov_b32_e32 v20, s21
	v_add_co_u32_e32 v18, vcc, s20, v18
	v_addc_co_u32_e32 v19, vcc, v20, v19, vcc
	v_lshlrev_b64 v[14:15], 3, v[14:15]
	v_add_co_u32_e32 v14, vcc, s20, v14
	v_addc_co_u32_e32 v15, vcc, v20, v15, vcc
	v_lshlrev_b64 v[16:17], 3, v[16:17]
	v_add_co_u32_e32 v16, vcc, s20, v16
	v_addc_co_u32_e32 v17, vcc, v20, v17, vcc
	global_load_dwordx2 v[20:21], v[18:19], off offset:24
	global_load_dwordx2 v[22:23], v[14:15], off
	global_load_dwordx2 v[26:27], v[16:17], off
	global_load_dwordx2 v[28:29], v[18:19], off
	v_mov_b32_e32 v14, s52
	v_subrev_co_u32_e32 v2, vcc, s51, v2
	v_subb_co_u32_e32 v3, vcc, v3, v14, vcc
	v_subrev_co_u32_e32 v0, vcc, s51, v0
	v_subb_co_u32_e32 v1, vcc, v1, v14, vcc
	s_mov_b64 s[16:17], 0
	s_waitcnt vmcnt(3)
	v_mul_f64 v[14:15], v[8:9], v[20:21]
	s_waitcnt vmcnt(2)
	v_mul_f64 v[16:17], v[8:9], v[22:23]
	;; [unrolled: 2-line block ×4, first 2 shown]
	s_branch .LBB109_18
.LBB109_17:                             ;   in Loop: Header=BB109_18 Depth=2
	s_or_b64 exec, exec, s[28:29]
	v_add_co_u32_e32 v0, vcc, 1, v0
	v_addc_co_u32_e32 v1, vcc, 0, v1, vcc
	v_cmp_ge_i64_e32 vcc, v[0:1], v[2:3]
	s_or_b64 s[16:17], vcc, s[16:17]
	s_andn2_b64 exec, exec, s[16:17]
	s_cbranch_execz .LBB109_14
.LBB109_18:                             ;   Parent Loop BB109_15 Depth=1
                                        ; =>  This Loop Header: Depth=2
                                        ;       Child Loop BB109_20 Depth 3
                                        ;       Child Loop BB109_32 Depth 3
	;; [unrolled: 1-line block ×4, first 2 shown]
	v_lshlrev_b64 v[22:23], 3, v[0:1]
	v_mov_b32_e32 v24, s37
	v_add_co_u32_e32 v22, vcc, s36, v22
	v_addc_co_u32_e32 v23, vcc, v24, v23, vcc
	v_lshlrev_b64 v[26:27], 2, v[0:1]
	v_lshlrev_b64 v[30:31], 5, v[0:1]
	v_or_b32_e32 v29, 0, v27
	v_or_b32_e32 v28, s53, v26
	v_or_b32_e32 v27, 0, v27
	v_or_b32_e32 v26, s54, v26
	v_mov_b32_e32 v24, s39
	v_add_co_u32_e32 v34, vcc, s38, v30
	v_addc_co_u32_e32 v35, vcc, v24, v31, vcc
	v_lshlrev_b64 v[26:27], 3, v[26:27]
	global_load_dwordx2 v[22:23], v[22:23], off
	v_add_co_u32_e32 v26, vcc, s38, v26
	v_lshlrev_b64 v[28:29], 3, v[28:29]
	v_addc_co_u32_e32 v27, vcc, v24, v27, vcc
	global_load_dwordx2 v[30:31], v[34:35], off
	global_load_dwordx2 v[32:33], v[26:27], off
	v_add_co_u32_e32 v36, vcc, s38, v28
	v_addc_co_u32_e32 v37, vcc, v24, v29, vcc
	global_load_dwordx2 v[26:27], v[36:37], off
	global_load_dwordx2 v[28:29], v[34:35], off offset:24
	v_mov_b32_e32 v24, s52
	s_mov_b64 s[28:29], 0
	s_waitcnt vmcnt(4)
	v_subrev_co_u32_e32 v22, vcc, s51, v22
	v_subb_co_u32_e32 v23, vcc, v23, v24, vcc
	v_lshl_add_u32 v24, v22, 3, v22
	v_and_b32_e32 v24, 31, v24
	v_pk_mov_b32 v[36:37], v[24:25], v[24:25] op_sel:[0,1]
	s_waitcnt vmcnt(2)
	v_mul_f64 v[34:35], v[20:21], v[32:33]
	v_fmac_f64_e32 v[34:35], v[18:19], v[30:31]
	s_branch .LBB109_20
.LBB109_19:                             ;   in Loop: Header=BB109_20 Depth=3
	s_or_b64 exec, exec, s[40:41]
	s_xor_b64 s[40:41], s[42:43], -1
	s_and_b64 s[40:41], exec, s[40:41]
	s_or_b64 s[28:29], s[40:41], s[28:29]
	s_andn2_b64 exec, exec, s[28:29]
	s_cbranch_execz .LBB109_30
.LBB109_20:                             ;   Parent Loop BB109_15 Depth=1
                                        ;     Parent Loop BB109_18 Depth=2
                                        ; =>    This Inner Loop Header: Depth=3
	v_lshl_add_u32 v37, v36, 3, v41
	ds_read_b64 v[38:39], v37
                                        ; implicit-def: $sgpr42_sgpr43
	s_waitcnt lgkmcnt(0)
	v_cmp_ne_u64_e32 vcc, v[38:39], v[22:23]
	s_and_saveexec_b64 s[40:41], vcc
	s_xor_b64 s[40:41], exec, s[40:41]
	s_cbranch_execz .LBB109_28
; %bb.21:                               ;   in Loop: Header=BB109_20 Depth=3
	v_cmp_ne_u64_e32 vcc, s[30:31], v[38:39]
                                        ; implicit-def: $sgpr42_sgpr43
	s_and_saveexec_b64 s[44:45], vcc
	s_xor_b64 s[44:45], exec, s[44:45]
; %bb.22:                               ;   in Loop: Header=BB109_20 Depth=3
	v_add_u32_e32 v36, 1, v36
	v_and_b32_e32 v36, 31, v36
	s_mov_b64 s[42:43], -1
                                        ; implicit-def: $vgpr37
; %bb.23:                               ;   in Loop: Header=BB109_20 Depth=3
	s_andn2_saveexec_b64 s[44:45], s[44:45]
	s_cbranch_execz .LBB109_27
; %bb.24:                               ;   in Loop: Header=BB109_20 Depth=3
	v_pk_mov_b32 v[38:39], s[30:31], s[30:31] op_sel:[0,1]
	ds_cmpst_rtn_b64 v[38:39], v37, v[38:39], v[22:23]
	s_mov_b64 s[46:47], -1
	s_waitcnt lgkmcnt(0)
	v_cmp_eq_u64_e32 vcc, s[30:31], v[38:39]
	s_and_saveexec_b64 s[48:49], vcc
	s_cbranch_execz .LBB109_26
; %bb.25:                               ;   in Loop: Header=BB109_20 Depth=3
	v_lshl_add_u32 v37, v36, 5, v43
	ds_add_f64 v37, v[34:35]
	s_xor_b64 s[46:47], exec, -1
.LBB109_26:                             ;   in Loop: Header=BB109_20 Depth=3
	s_or_b64 exec, exec, s[48:49]
	s_andn2_b64 s[42:43], s[42:43], exec
	s_and_b64 s[46:47], s[46:47], exec
	s_or_b64 s[42:43], s[42:43], s[46:47]
.LBB109_27:                             ;   in Loop: Header=BB109_20 Depth=3
	s_or_b64 exec, exec, s[44:45]
	s_and_b64 s[42:43], s[42:43], exec
.LBB109_28:                             ;   in Loop: Header=BB109_20 Depth=3
	s_andn2_saveexec_b64 s[40:41], s[40:41]
	s_cbranch_execz .LBB109_19
; %bb.29:                               ;   in Loop: Header=BB109_20 Depth=3
	v_lshl_add_u32 v37, v36, 5, v43
	ds_add_f64 v37, v[34:35]
	s_andn2_b64 s[42:43], s[42:43], exec
	s_branch .LBB109_19
.LBB109_30:                             ;   in Loop: Header=BB109_18 Depth=2
	s_or_b64 exec, exec, s[28:29]
	s_waitcnt vmcnt(0)
	v_mul_f64 v[34:35], v[20:21], v[28:29]
	v_fmac_f64_e32 v[34:35], v[18:19], v[26:27]
	s_mov_b64 s[28:29], 0
	v_pk_mov_b32 v[36:37], v[24:25], v[24:25] op_sel:[0,1]
	s_branch .LBB109_32
.LBB109_31:                             ;   in Loop: Header=BB109_32 Depth=3
	s_or_b64 exec, exec, s[40:41]
	s_xor_b64 s[40:41], s[42:43], -1
	s_and_b64 s[40:41], exec, s[40:41]
	s_or_b64 s[28:29], s[40:41], s[28:29]
	s_andn2_b64 exec, exec, s[28:29]
	s_cbranch_execz .LBB109_42
.LBB109_32:                             ;   Parent Loop BB109_15 Depth=1
                                        ;     Parent Loop BB109_18 Depth=2
                                        ; =>    This Inner Loop Header: Depth=3
	v_lshl_add_u32 v37, v36, 3, v41
	ds_read_b64 v[38:39], v37
                                        ; implicit-def: $sgpr42_sgpr43
	s_waitcnt lgkmcnt(0)
	v_cmp_ne_u64_e32 vcc, v[38:39], v[22:23]
	s_and_saveexec_b64 s[40:41], vcc
	s_xor_b64 s[40:41], exec, s[40:41]
	s_cbranch_execz .LBB109_40
; %bb.33:                               ;   in Loop: Header=BB109_32 Depth=3
	v_cmp_ne_u64_e32 vcc, s[30:31], v[38:39]
                                        ; implicit-def: $sgpr42_sgpr43
	s_and_saveexec_b64 s[44:45], vcc
	s_xor_b64 s[44:45], exec, s[44:45]
; %bb.34:                               ;   in Loop: Header=BB109_32 Depth=3
	v_add_u32_e32 v36, 1, v36
	v_and_b32_e32 v36, 31, v36
	s_mov_b64 s[42:43], -1
                                        ; implicit-def: $vgpr37
; %bb.35:                               ;   in Loop: Header=BB109_32 Depth=3
	s_andn2_saveexec_b64 s[44:45], s[44:45]
	s_cbranch_execz .LBB109_39
; %bb.36:                               ;   in Loop: Header=BB109_32 Depth=3
	v_pk_mov_b32 v[38:39], s[30:31], s[30:31] op_sel:[0,1]
	ds_cmpst_rtn_b64 v[38:39], v37, v[38:39], v[22:23]
	s_mov_b64 s[46:47], -1
	s_waitcnt lgkmcnt(0)
	v_cmp_eq_u64_e32 vcc, s[30:31], v[38:39]
	s_and_saveexec_b64 s[48:49], vcc
	s_cbranch_execz .LBB109_38
; %bb.37:                               ;   in Loop: Header=BB109_32 Depth=3
	v_lshl_add_u32 v37, v36, 5, v43
	ds_add_f64 v37, v[34:35] offset:8
	s_xor_b64 s[46:47], exec, -1
.LBB109_38:                             ;   in Loop: Header=BB109_32 Depth=3
	s_or_b64 exec, exec, s[48:49]
	s_andn2_b64 s[42:43], s[42:43], exec
	s_and_b64 s[46:47], s[46:47], exec
	s_or_b64 s[42:43], s[42:43], s[46:47]
.LBB109_39:                             ;   in Loop: Header=BB109_32 Depth=3
	s_or_b64 exec, exec, s[44:45]
	s_and_b64 s[42:43], s[42:43], exec
.LBB109_40:                             ;   in Loop: Header=BB109_32 Depth=3
	s_andn2_saveexec_b64 s[40:41], s[40:41]
	s_cbranch_execz .LBB109_31
; %bb.41:                               ;   in Loop: Header=BB109_32 Depth=3
	v_lshl_add_u32 v37, v36, 5, v43
	ds_add_f64 v37, v[34:35] offset:8
	s_andn2_b64 s[42:43], s[42:43], exec
	s_branch .LBB109_31
.LBB109_42:                             ;   in Loop: Header=BB109_18 Depth=2
	s_or_b64 exec, exec, s[28:29]
	v_mul_f64 v[32:33], v[14:15], v[32:33]
	v_fmac_f64_e32 v[32:33], v[16:17], v[30:31]
	s_mov_b64 s[28:29], 0
	v_pk_mov_b32 v[30:31], v[24:25], v[24:25] op_sel:[0,1]
	s_branch .LBB109_44
.LBB109_43:                             ;   in Loop: Header=BB109_44 Depth=3
	s_or_b64 exec, exec, s[40:41]
	s_xor_b64 s[40:41], s[42:43], -1
	s_and_b64 s[40:41], exec, s[40:41]
	s_or_b64 s[28:29], s[40:41], s[28:29]
	s_andn2_b64 exec, exec, s[28:29]
	s_cbranch_execz .LBB109_54
.LBB109_44:                             ;   Parent Loop BB109_15 Depth=1
                                        ;     Parent Loop BB109_18 Depth=2
                                        ; =>    This Inner Loop Header: Depth=3
	v_lshl_add_u32 v31, v30, 3, v41
	ds_read_b64 v[34:35], v31
                                        ; implicit-def: $sgpr42_sgpr43
	s_waitcnt lgkmcnt(0)
	v_cmp_ne_u64_e32 vcc, v[34:35], v[22:23]
	s_and_saveexec_b64 s[40:41], vcc
	s_xor_b64 s[40:41], exec, s[40:41]
	s_cbranch_execz .LBB109_52
; %bb.45:                               ;   in Loop: Header=BB109_44 Depth=3
	v_cmp_ne_u64_e32 vcc, s[30:31], v[34:35]
                                        ; implicit-def: $sgpr42_sgpr43
	s_and_saveexec_b64 s[44:45], vcc
	s_xor_b64 s[44:45], exec, s[44:45]
; %bb.46:                               ;   in Loop: Header=BB109_44 Depth=3
	v_add_u32_e32 v30, 1, v30
	v_and_b32_e32 v30, 31, v30
	s_mov_b64 s[42:43], -1
                                        ; implicit-def: $vgpr31
; %bb.47:                               ;   in Loop: Header=BB109_44 Depth=3
	s_andn2_saveexec_b64 s[44:45], s[44:45]
	s_cbranch_execz .LBB109_51
; %bb.48:                               ;   in Loop: Header=BB109_44 Depth=3
	v_pk_mov_b32 v[34:35], s[30:31], s[30:31] op_sel:[0,1]
	ds_cmpst_rtn_b64 v[34:35], v31, v[34:35], v[22:23]
	s_mov_b64 s[46:47], -1
	s_waitcnt lgkmcnt(0)
	v_cmp_eq_u64_e32 vcc, s[30:31], v[34:35]
	s_and_saveexec_b64 s[48:49], vcc
	s_cbranch_execz .LBB109_50
; %bb.49:                               ;   in Loop: Header=BB109_44 Depth=3
	v_lshl_add_u32 v31, v30, 5, v43
	ds_add_f64 v31, v[32:33] offset:16
	s_xor_b64 s[46:47], exec, -1
.LBB109_50:                             ;   in Loop: Header=BB109_44 Depth=3
	s_or_b64 exec, exec, s[48:49]
	s_andn2_b64 s[42:43], s[42:43], exec
	s_and_b64 s[46:47], s[46:47], exec
	s_or_b64 s[42:43], s[42:43], s[46:47]
.LBB109_51:                             ;   in Loop: Header=BB109_44 Depth=3
	s_or_b64 exec, exec, s[44:45]
	s_and_b64 s[42:43], s[42:43], exec
.LBB109_52:                             ;   in Loop: Header=BB109_44 Depth=3
	s_andn2_saveexec_b64 s[40:41], s[40:41]
	s_cbranch_execz .LBB109_43
; %bb.53:                               ;   in Loop: Header=BB109_44 Depth=3
	v_lshl_add_u32 v31, v30, 5, v43
	ds_add_f64 v31, v[32:33] offset:16
	s_andn2_b64 s[42:43], s[42:43], exec
	s_branch .LBB109_43
.LBB109_54:                             ;   in Loop: Header=BB109_18 Depth=2
	s_or_b64 exec, exec, s[28:29]
	v_mul_f64 v[28:29], v[14:15], v[28:29]
	v_fmac_f64_e32 v[28:29], v[16:17], v[26:27]
	s_mov_b64 s[28:29], 0
	s_branch .LBB109_56
.LBB109_55:                             ;   in Loop: Header=BB109_56 Depth=3
	s_or_b64 exec, exec, s[40:41]
	s_xor_b64 s[40:41], s[42:43], -1
	s_and_b64 s[40:41], exec, s[40:41]
	s_or_b64 s[28:29], s[40:41], s[28:29]
	s_andn2_b64 exec, exec, s[28:29]
	s_cbranch_execz .LBB109_17
.LBB109_56:                             ;   Parent Loop BB109_15 Depth=1
                                        ;     Parent Loop BB109_18 Depth=2
                                        ; =>    This Inner Loop Header: Depth=3
	v_lshl_add_u32 v30, v24, 3, v41
	ds_read_b64 v[26:27], v30
                                        ; implicit-def: $sgpr42_sgpr43
	s_waitcnt lgkmcnt(0)
	v_cmp_ne_u64_e32 vcc, v[26:27], v[22:23]
	s_and_saveexec_b64 s[40:41], vcc
	s_xor_b64 s[40:41], exec, s[40:41]
	s_cbranch_execz .LBB109_64
; %bb.57:                               ;   in Loop: Header=BB109_56 Depth=3
	v_cmp_ne_u64_e32 vcc, s[30:31], v[26:27]
                                        ; implicit-def: $sgpr42_sgpr43
	s_and_saveexec_b64 s[44:45], vcc
	s_xor_b64 s[44:45], exec, s[44:45]
; %bb.58:                               ;   in Loop: Header=BB109_56 Depth=3
	v_add_u32_e32 v24, 1, v24
	v_and_b32_e32 v24, 31, v24
	s_mov_b64 s[42:43], -1
                                        ; implicit-def: $vgpr30
; %bb.59:                               ;   in Loop: Header=BB109_56 Depth=3
	s_andn2_saveexec_b64 s[44:45], s[44:45]
	s_cbranch_execz .LBB109_63
; %bb.60:                               ;   in Loop: Header=BB109_56 Depth=3
	v_pk_mov_b32 v[26:27], s[30:31], s[30:31] op_sel:[0,1]
	ds_cmpst_rtn_b64 v[26:27], v30, v[26:27], v[22:23]
	s_mov_b64 s[46:47], -1
	s_waitcnt lgkmcnt(0)
	v_cmp_eq_u64_e32 vcc, s[30:31], v[26:27]
	s_and_saveexec_b64 s[48:49], vcc
	s_cbranch_execz .LBB109_62
; %bb.61:                               ;   in Loop: Header=BB109_56 Depth=3
	v_lshl_add_u32 v26, v24, 5, v43
	ds_add_f64 v26, v[28:29] offset:24
	s_xor_b64 s[46:47], exec, -1
.LBB109_62:                             ;   in Loop: Header=BB109_56 Depth=3
	s_or_b64 exec, exec, s[48:49]
	s_andn2_b64 s[42:43], s[42:43], exec
	s_and_b64 s[46:47], s[46:47], exec
	s_or_b64 s[42:43], s[42:43], s[46:47]
.LBB109_63:                             ;   in Loop: Header=BB109_56 Depth=3
	s_or_b64 exec, exec, s[44:45]
	s_and_b64 s[42:43], s[42:43], exec
.LBB109_64:                             ;   in Loop: Header=BB109_56 Depth=3
	s_andn2_saveexec_b64 s[40:41], s[40:41]
	s_cbranch_execz .LBB109_55
; %bb.65:                               ;   in Loop: Header=BB109_56 Depth=3
	v_lshl_add_u32 v26, v24, 5, v43
	ds_add_f64 v26, v[28:29] offset:24
	s_andn2_b64 s[42:43], s[42:43], exec
	s_branch .LBB109_55
.LBB109_66:
	s_or_b64 exec, exec, s[4:5]
.LBB109_67:
	s_andn2_b64 vcc, exec, s[34:35]
	s_waitcnt lgkmcnt(0)
	s_cbranch_vccnz .LBB109_120
; %bb.68:
	v_mov_b32_e32 v1, s9
	v_add_co_u32_e32 v0, vcc, s8, v6
	v_addc_co_u32_e32 v1, vcc, v1, v7, vcc
	global_load_dwordx4 v[8:11], v[0:1], off
	v_subrev_co_u32_e32 v2, vcc, s3, v42
	v_subb_co_u32_e64 v3, s[0:1], 0, 0, vcc
	s_mov_b32 s6, 0
	s_waitcnt vmcnt(0)
	v_subrev_co_u32_e32 v0, vcc, s3, v10
	v_subbrev_co_u32_e32 v1, vcc, 0, v11, vcc
	v_add_co_u32_e32 v2, vcc, v8, v2
	v_addc_co_u32_e32 v3, vcc, v9, v3, vcc
	v_cmp_lt_i64_e32 vcc, v[2:3], v[0:1]
	s_and_saveexec_b64 s[0:1], vcc
	s_cbranch_execz .LBB109_119
; %bb.69:
	s_cmp_eq_u32 s33, 0
	s_mov_b32 s28, s3
	s_cselect_b32 s3, 1, 2
	s_cselect_b32 s29, 2, 1
	s_mov_b64 s[4:5], 0
	v_mov_b32_e32 v11, s13
	v_mov_b32_e32 v24, s11
	v_mov_b32_e32 v26, s6
	s_branch .LBB109_71
.LBB109_70:                             ;   in Loop: Header=BB109_71 Depth=1
	s_or_b64 exec, exec, s[6:7]
	v_add_co_u32_e32 v2, vcc, 16, v2
	v_addc_co_u32_e32 v3, vcc, 0, v3, vcc
	v_cmp_ge_i64_e32 vcc, v[2:3], v[0:1]
	s_or_b64 s[4:5], vcc, s[4:5]
	s_andn2_b64 exec, exec, s[4:5]
	s_cbranch_execz .LBB109_119
.LBB109_71:                             ; =>This Loop Header: Depth=1
                                        ;     Child Loop BB109_73 Depth 2
                                        ;     Child Loop BB109_85 Depth 2
	;; [unrolled: 1-line block ×4, first 2 shown]
	v_lshlrev_b64 v[8:9], 2, v[2:3]
	v_lshlrev_b64 v[14:15], 5, v[2:3]
	v_or_b32_e32 v13, 0, v9
	v_or_b32_e32 v12, s3, v8
	v_add_co_u32_e32 v18, vcc, s12, v14
	v_addc_co_u32_e32 v19, vcc, v11, v15, vcc
	v_lshlrev_b64 v[12:13], 3, v[12:13]
	v_add_co_u32_e32 v22, vcc, s12, v12
	v_addc_co_u32_e32 v23, vcc, v11, v13, vcc
	v_lshlrev_b64 v[12:13], 3, v[2:3]
	v_add_co_u32_e32 v12, vcc, s10, v12
	v_or_b32_e32 v9, 0, v9
	v_or_b32_e32 v8, s29, v8
	v_addc_co_u32_e32 v13, vcc, v24, v13, vcc
	v_lshlrev_b64 v[8:9], 3, v[8:9]
	global_load_dwordx2 v[28:29], v[12:13], off
	v_add_co_u32_e32 v8, vcc, s12, v8
	v_addc_co_u32_e32 v9, vcc, v11, v9, vcc
	global_load_dwordx2 v[20:21], v[18:19], off
	global_load_dwordx2 v[14:15], v[8:9], off
	;; [unrolled: 1-line block ×3, first 2 shown]
	global_load_dwordx2 v[12:13], v[18:19], off offset:24
	s_mov_b64 s[6:7], 0
	s_waitcnt vmcnt(4)
	v_subrev_co_u32_e32 v8, vcc, s28, v28
	v_lshl_add_u32 v10, v8, 3, v8
	v_and_b32_e32 v10, 31, v10
	v_subb_co_u32_e32 v9, vcc, v29, v26, vcc
	s_waitcnt vmcnt(3)
	v_mul_f64 v[18:19], v[4:5], v[20:21]
	v_pk_mov_b32 v[20:21], v[10:11], v[10:11] op_sel:[0,1]
	s_branch .LBB109_73
.LBB109_72:                             ;   in Loop: Header=BB109_73 Depth=2
	s_or_b64 exec, exec, s[8:9]
	s_xor_b64 s[8:9], s[16:17], -1
	s_and_b64 s[8:9], exec, s[8:9]
	s_or_b64 s[6:7], s[8:9], s[6:7]
	s_andn2_b64 exec, exec, s[6:7]
	s_cbranch_execz .LBB109_83
.LBB109_73:                             ;   Parent Loop BB109_71 Depth=1
                                        ; =>  This Inner Loop Header: Depth=2
	v_lshl_add_u32 v21, v20, 3, v41
	ds_read_b64 v[22:23], v21
                                        ; implicit-def: $sgpr16_sgpr17
	s_waitcnt lgkmcnt(0)
	v_cmp_ne_u64_e32 vcc, v[22:23], v[8:9]
	s_and_saveexec_b64 s[8:9], vcc
	s_xor_b64 s[8:9], exec, s[8:9]
	s_cbranch_execz .LBB109_81
; %bb.74:                               ;   in Loop: Header=BB109_73 Depth=2
	v_cmp_ne_u64_e32 vcc, s[30:31], v[22:23]
                                        ; implicit-def: $sgpr16_sgpr17
	s_and_saveexec_b64 s[18:19], vcc
	s_xor_b64 s[18:19], exec, s[18:19]
; %bb.75:                               ;   in Loop: Header=BB109_73 Depth=2
	v_add_u32_e32 v20, 1, v20
	v_and_b32_e32 v20, 31, v20
	s_mov_b64 s[16:17], -1
                                        ; implicit-def: $vgpr21
; %bb.76:                               ;   in Loop: Header=BB109_73 Depth=2
	s_andn2_saveexec_b64 s[18:19], s[18:19]
	s_cbranch_execz .LBB109_80
; %bb.77:                               ;   in Loop: Header=BB109_73 Depth=2
	v_pk_mov_b32 v[22:23], s[30:31], s[30:31] op_sel:[0,1]
	ds_cmpst_rtn_b64 v[22:23], v21, v[22:23], v[8:9]
	s_mov_b64 s[20:21], -1
	s_waitcnt lgkmcnt(0)
	v_cmp_eq_u64_e32 vcc, s[30:31], v[22:23]
	s_and_saveexec_b64 s[22:23], vcc
	s_cbranch_execz .LBB109_79
; %bb.78:                               ;   in Loop: Header=BB109_73 Depth=2
	v_lshl_add_u32 v21, v20, 5, v43
	ds_add_f64 v21, v[18:19]
	s_xor_b64 s[20:21], exec, -1
.LBB109_79:                             ;   in Loop: Header=BB109_73 Depth=2
	s_or_b64 exec, exec, s[22:23]
	s_andn2_b64 s[16:17], s[16:17], exec
	s_and_b64 s[20:21], s[20:21], exec
	s_or_b64 s[16:17], s[16:17], s[20:21]
.LBB109_80:                             ;   in Loop: Header=BB109_73 Depth=2
	s_or_b64 exec, exec, s[18:19]
	s_and_b64 s[16:17], s[16:17], exec
.LBB109_81:                             ;   in Loop: Header=BB109_73 Depth=2
	s_andn2_saveexec_b64 s[8:9], s[8:9]
	s_cbranch_execz .LBB109_72
; %bb.82:                               ;   in Loop: Header=BB109_73 Depth=2
	v_lshl_add_u32 v21, v20, 5, v43
	ds_add_f64 v21, v[18:19]
	s_andn2_b64 s[16:17], s[16:17], exec
	s_branch .LBB109_72
.LBB109_83:                             ;   in Loop: Header=BB109_71 Depth=1
	s_or_b64 exec, exec, s[6:7]
	s_waitcnt vmcnt(1)
	v_mul_f64 v[16:17], v[4:5], v[16:17]
	s_mov_b64 s[6:7], 0
	v_pk_mov_b32 v[18:19], v[10:11], v[10:11] op_sel:[0,1]
	s_branch .LBB109_85
.LBB109_84:                             ;   in Loop: Header=BB109_85 Depth=2
	s_or_b64 exec, exec, s[8:9]
	s_xor_b64 s[8:9], s[16:17], -1
	s_and_b64 s[8:9], exec, s[8:9]
	s_or_b64 s[6:7], s[8:9], s[6:7]
	s_andn2_b64 exec, exec, s[6:7]
	s_cbranch_execz .LBB109_95
.LBB109_85:                             ;   Parent Loop BB109_71 Depth=1
                                        ; =>  This Inner Loop Header: Depth=2
	v_lshl_add_u32 v19, v18, 3, v41
	ds_read_b64 v[20:21], v19
                                        ; implicit-def: $sgpr16_sgpr17
	s_waitcnt lgkmcnt(0)
	v_cmp_ne_u64_e32 vcc, v[20:21], v[8:9]
	s_and_saveexec_b64 s[8:9], vcc
	s_xor_b64 s[8:9], exec, s[8:9]
	s_cbranch_execz .LBB109_93
; %bb.86:                               ;   in Loop: Header=BB109_85 Depth=2
	v_cmp_ne_u64_e32 vcc, s[30:31], v[20:21]
                                        ; implicit-def: $sgpr16_sgpr17
	s_and_saveexec_b64 s[18:19], vcc
	s_xor_b64 s[18:19], exec, s[18:19]
; %bb.87:                               ;   in Loop: Header=BB109_85 Depth=2
	v_add_u32_e32 v18, 1, v18
	v_and_b32_e32 v18, 31, v18
	s_mov_b64 s[16:17], -1
                                        ; implicit-def: $vgpr19
; %bb.88:                               ;   in Loop: Header=BB109_85 Depth=2
	s_andn2_saveexec_b64 s[18:19], s[18:19]
	s_cbranch_execz .LBB109_92
; %bb.89:                               ;   in Loop: Header=BB109_85 Depth=2
	v_pk_mov_b32 v[20:21], s[30:31], s[30:31] op_sel:[0,1]
	ds_cmpst_rtn_b64 v[20:21], v19, v[20:21], v[8:9]
	s_mov_b64 s[20:21], -1
	s_waitcnt lgkmcnt(0)
	v_cmp_eq_u64_e32 vcc, s[30:31], v[20:21]
	s_and_saveexec_b64 s[22:23], vcc
	s_cbranch_execz .LBB109_91
; %bb.90:                               ;   in Loop: Header=BB109_85 Depth=2
	v_lshl_add_u32 v19, v18, 5, v43
	ds_add_f64 v19, v[16:17] offset:8
	s_xor_b64 s[20:21], exec, -1
.LBB109_91:                             ;   in Loop: Header=BB109_85 Depth=2
	s_or_b64 exec, exec, s[22:23]
	s_andn2_b64 s[16:17], s[16:17], exec
	s_and_b64 s[20:21], s[20:21], exec
	s_or_b64 s[16:17], s[16:17], s[20:21]
.LBB109_92:                             ;   in Loop: Header=BB109_85 Depth=2
	s_or_b64 exec, exec, s[18:19]
	s_and_b64 s[16:17], s[16:17], exec
.LBB109_93:                             ;   in Loop: Header=BB109_85 Depth=2
	s_andn2_saveexec_b64 s[8:9], s[8:9]
	s_cbranch_execz .LBB109_84
; %bb.94:                               ;   in Loop: Header=BB109_85 Depth=2
	v_lshl_add_u32 v19, v18, 5, v43
	ds_add_f64 v19, v[16:17] offset:8
	s_andn2_b64 s[16:17], s[16:17], exec
	s_branch .LBB109_84
.LBB109_95:                             ;   in Loop: Header=BB109_71 Depth=1
	s_or_b64 exec, exec, s[6:7]
	v_mul_f64 v[14:15], v[4:5], v[14:15]
	s_mov_b64 s[6:7], 0
	v_pk_mov_b32 v[16:17], v[10:11], v[10:11] op_sel:[0,1]
	s_branch .LBB109_97
.LBB109_96:                             ;   in Loop: Header=BB109_97 Depth=2
	s_or_b64 exec, exec, s[8:9]
	s_xor_b64 s[8:9], s[16:17], -1
	s_and_b64 s[8:9], exec, s[8:9]
	s_or_b64 s[6:7], s[8:9], s[6:7]
	s_andn2_b64 exec, exec, s[6:7]
	s_cbranch_execz .LBB109_107
.LBB109_97:                             ;   Parent Loop BB109_71 Depth=1
                                        ; =>  This Inner Loop Header: Depth=2
	v_lshl_add_u32 v17, v16, 3, v41
	ds_read_b64 v[18:19], v17
                                        ; implicit-def: $sgpr16_sgpr17
	s_waitcnt lgkmcnt(0)
	v_cmp_ne_u64_e32 vcc, v[18:19], v[8:9]
	s_and_saveexec_b64 s[8:9], vcc
	s_xor_b64 s[8:9], exec, s[8:9]
	s_cbranch_execz .LBB109_105
; %bb.98:                               ;   in Loop: Header=BB109_97 Depth=2
	v_cmp_ne_u64_e32 vcc, s[30:31], v[18:19]
                                        ; implicit-def: $sgpr16_sgpr17
	s_and_saveexec_b64 s[18:19], vcc
	s_xor_b64 s[18:19], exec, s[18:19]
; %bb.99:                               ;   in Loop: Header=BB109_97 Depth=2
	v_add_u32_e32 v16, 1, v16
	v_and_b32_e32 v16, 31, v16
	s_mov_b64 s[16:17], -1
                                        ; implicit-def: $vgpr17
; %bb.100:                              ;   in Loop: Header=BB109_97 Depth=2
	s_andn2_saveexec_b64 s[18:19], s[18:19]
	s_cbranch_execz .LBB109_104
; %bb.101:                              ;   in Loop: Header=BB109_97 Depth=2
	v_pk_mov_b32 v[18:19], s[30:31], s[30:31] op_sel:[0,1]
	ds_cmpst_rtn_b64 v[18:19], v17, v[18:19], v[8:9]
	s_mov_b64 s[20:21], -1
	s_waitcnt lgkmcnt(0)
	v_cmp_eq_u64_e32 vcc, s[30:31], v[18:19]
	s_and_saveexec_b64 s[22:23], vcc
	s_cbranch_execz .LBB109_103
; %bb.102:                              ;   in Loop: Header=BB109_97 Depth=2
	v_lshl_add_u32 v17, v16, 5, v43
	ds_add_f64 v17, v[14:15] offset:16
	s_xor_b64 s[20:21], exec, -1
.LBB109_103:                            ;   in Loop: Header=BB109_97 Depth=2
	s_or_b64 exec, exec, s[22:23]
	s_andn2_b64 s[16:17], s[16:17], exec
	s_and_b64 s[20:21], s[20:21], exec
	s_or_b64 s[16:17], s[16:17], s[20:21]
.LBB109_104:                            ;   in Loop: Header=BB109_97 Depth=2
	s_or_b64 exec, exec, s[18:19]
	s_and_b64 s[16:17], s[16:17], exec
.LBB109_105:                            ;   in Loop: Header=BB109_97 Depth=2
	s_andn2_saveexec_b64 s[8:9], s[8:9]
	s_cbranch_execz .LBB109_96
; %bb.106:                              ;   in Loop: Header=BB109_97 Depth=2
	v_lshl_add_u32 v17, v16, 5, v43
	ds_add_f64 v17, v[14:15] offset:16
	s_andn2_b64 s[16:17], s[16:17], exec
	s_branch .LBB109_96
.LBB109_107:                            ;   in Loop: Header=BB109_71 Depth=1
	s_or_b64 exec, exec, s[6:7]
	s_waitcnt vmcnt(0)
	v_mul_f64 v[12:13], v[4:5], v[12:13]
	s_mov_b64 s[6:7], 0
	s_branch .LBB109_109
.LBB109_108:                            ;   in Loop: Header=BB109_109 Depth=2
	s_or_b64 exec, exec, s[8:9]
	s_xor_b64 s[8:9], s[16:17], -1
	s_and_b64 s[8:9], exec, s[8:9]
	s_or_b64 s[6:7], s[8:9], s[6:7]
	s_andn2_b64 exec, exec, s[6:7]
	s_cbranch_execz .LBB109_70
.LBB109_109:                            ;   Parent Loop BB109_71 Depth=1
                                        ; =>  This Inner Loop Header: Depth=2
	v_lshl_add_u32 v16, v10, 3, v41
	ds_read_b64 v[14:15], v16
                                        ; implicit-def: $sgpr16_sgpr17
	s_waitcnt lgkmcnt(0)
	v_cmp_ne_u64_e32 vcc, v[14:15], v[8:9]
	s_and_saveexec_b64 s[8:9], vcc
	s_xor_b64 s[8:9], exec, s[8:9]
	s_cbranch_execz .LBB109_117
; %bb.110:                              ;   in Loop: Header=BB109_109 Depth=2
	v_cmp_ne_u64_e32 vcc, s[30:31], v[14:15]
                                        ; implicit-def: $sgpr16_sgpr17
	s_and_saveexec_b64 s[18:19], vcc
	s_xor_b64 s[18:19], exec, s[18:19]
; %bb.111:                              ;   in Loop: Header=BB109_109 Depth=2
	v_add_u32_e32 v10, 1, v10
	v_and_b32_e32 v10, 31, v10
	s_mov_b64 s[16:17], -1
                                        ; implicit-def: $vgpr16
; %bb.112:                              ;   in Loop: Header=BB109_109 Depth=2
	s_andn2_saveexec_b64 s[18:19], s[18:19]
	s_cbranch_execz .LBB109_116
; %bb.113:                              ;   in Loop: Header=BB109_109 Depth=2
	v_pk_mov_b32 v[14:15], s[30:31], s[30:31] op_sel:[0,1]
	ds_cmpst_rtn_b64 v[14:15], v16, v[14:15], v[8:9]
	s_mov_b64 s[20:21], -1
	s_waitcnt lgkmcnt(0)
	v_cmp_eq_u64_e32 vcc, s[30:31], v[14:15]
	s_and_saveexec_b64 s[22:23], vcc
	s_cbranch_execz .LBB109_115
; %bb.114:                              ;   in Loop: Header=BB109_109 Depth=2
	v_lshl_add_u32 v14, v10, 5, v43
	ds_add_f64 v14, v[12:13] offset:24
	s_xor_b64 s[20:21], exec, -1
.LBB109_115:                            ;   in Loop: Header=BB109_109 Depth=2
	s_or_b64 exec, exec, s[22:23]
	s_andn2_b64 s[16:17], s[16:17], exec
	s_and_b64 s[20:21], s[20:21], exec
	s_or_b64 s[16:17], s[16:17], s[20:21]
.LBB109_116:                            ;   in Loop: Header=BB109_109 Depth=2
	s_or_b64 exec, exec, s[18:19]
	s_and_b64 s[16:17], s[16:17], exec
.LBB109_117:                            ;   in Loop: Header=BB109_109 Depth=2
	s_andn2_saveexec_b64 s[8:9], s[8:9]
	s_cbranch_execz .LBB109_108
; %bb.118:                              ;   in Loop: Header=BB109_109 Depth=2
	v_lshl_add_u32 v14, v10, 5, v43
	ds_add_f64 v14, v[12:13] offset:24
	s_andn2_b64 s[16:17], s[16:17], exec
	s_branch .LBB109_108
.LBB109_119:
	s_or_b64 exec, exec, s[0:1]
.LBB109_120:
	v_mov_b32_e32 v1, s15
	v_add_co_u32_e32 v0, vcc, s14, v6
	v_addc_co_u32_e32 v1, vcc, v1, v7, vcc
	s_waitcnt lgkmcnt(0)
	global_load_dwordx2 v[0:1], v[0:1], off
	s_cmp_eq_u32 s33, 0
	s_mov_b32 s3, 0
	v_lshl_add_u32 v2, v42, 5, v43
	s_cselect_b32 s6, 8, 16
	s_cselect_b32 s7, 16, 8
	s_mov_b64 s[0:1], 0
	s_waitcnt vmcnt(0)
	v_subrev_co_u32_e32 v3, vcc, s2, v0
	v_subbrev_co_u32_e32 v4, vcc, 0, v1, vcc
	s_branch .LBB109_122
.LBB109_121:                            ;   in Loop: Header=BB109_122 Depth=1
	s_or_b64 exec, exec, s[4:5]
	v_add_co_u32_e32 v25, vcc, 16, v25
	s_xor_b64 s[4:5], vcc, -1
	s_and_b64 s[4:5], exec, s[4:5]
	v_add_u32_e32 v2, 0x200, v2
	s_or_b64 s[0:1], s[4:5], s[0:1]
	v_add_u32_e32 v40, 0x80, v40
	s_andn2_b64 exec, exec, s[0:1]
	s_cbranch_execz .LBB109_124
.LBB109_122:                            ; =>This Inner Loop Header: Depth=1
	ds_read_b64 v[0:1], v40
	s_waitcnt lgkmcnt(0)
	v_cmp_gt_i64_e32 vcc, s[30:31], v[0:1]
	s_and_saveexec_b64 s[4:5], vcc
	s_cbranch_execz .LBB109_121
; %bb.123:                              ;   in Loop: Header=BB109_122 Depth=1
	ds_read_b128 v[6:9], v41
	ds_read_b128 v[10:13], v41 offset:16
	ds_read_b128 v[14:17], v41 offset:32
	;; [unrolled: 1-line block ×3, first 2 shown]
	s_waitcnt lgkmcnt(3)
	v_cmp_gt_i64_e32 vcc, v[0:1], v[6:7]
	v_cndmask_b32_e64 v5, 0, 1, vcc
	v_add_co_u32_e32 v5, vcc, v3, v5
	v_addc_co_u32_e32 v6, vcc, 0, v4, vcc
	v_cmp_gt_i64_e32 vcc, v[0:1], v[8:9]
	v_cndmask_b32_e64 v7, 0, 1, vcc
	v_add_co_u32_e32 v5, vcc, v5, v7
	v_addc_co_u32_e32 v6, vcc, 0, v6, vcc
	s_waitcnt lgkmcnt(2)
	v_cmp_gt_i64_e32 vcc, v[0:1], v[10:11]
	v_cndmask_b32_e64 v7, 0, 1, vcc
	v_add_co_u32_e32 v5, vcc, v5, v7
	v_addc_co_u32_e32 v6, vcc, 0, v6, vcc
	v_cmp_gt_i64_e32 vcc, v[0:1], v[12:13]
	v_cndmask_b32_e64 v7, 0, 1, vcc
	v_add_co_u32_e32 v5, vcc, v5, v7
	v_addc_co_u32_e32 v6, vcc, 0, v6, vcc
	;; [unrolled: 9-line block ×3, first 2 shown]
	s_waitcnt lgkmcnt(0)
	v_cmp_gt_i64_e32 vcc, v[0:1], v[18:19]
	v_cndmask_b32_e64 v7, 0, 1, vcc
	v_add_co_u32_e32 v5, vcc, v5, v7
	v_addc_co_u32_e32 v10, vcc, 0, v6, vcc
	ds_read_b128 v[6:9], v41 offset:64
	v_cmp_gt_i64_e32 vcc, v[0:1], v[20:21]
	v_cndmask_b32_e64 v11, 0, 1, vcc
	v_add_co_u32_e32 v5, vcc, v5, v11
	v_addc_co_u32_e32 v14, vcc, 0, v10, vcc
	ds_read_b128 v[10:13], v41 offset:80
	s_waitcnt lgkmcnt(1)
	v_cmp_gt_i64_e32 vcc, v[0:1], v[6:7]
	v_cndmask_b32_e64 v6, 0, 1, vcc
	v_add_co_u32_e32 v5, vcc, v5, v6
	v_addc_co_u32_e32 v6, vcc, 0, v14, vcc
	v_cmp_gt_i64_e32 vcc, v[0:1], v[8:9]
	v_cndmask_b32_e64 v7, 0, 1, vcc
	v_add_co_u32_e32 v5, vcc, v5, v7
	v_addc_co_u32_e32 v6, vcc, 0, v6, vcc
	s_waitcnt lgkmcnt(0)
	v_cmp_gt_i64_e32 vcc, v[0:1], v[10:11]
	v_cndmask_b32_e64 v7, 0, 1, vcc
	v_add_co_u32_e32 v5, vcc, v5, v7
	v_addc_co_u32_e32 v10, vcc, 0, v6, vcc
	ds_read_b128 v[6:9], v41 offset:96
	v_cmp_gt_i64_e32 vcc, v[0:1], v[12:13]
	v_cndmask_b32_e64 v11, 0, 1, vcc
	v_add_co_u32_e32 v5, vcc, v5, v11
	v_addc_co_u32_e32 v14, vcc, 0, v10, vcc
	ds_read_b128 v[10:13], v41 offset:112
	s_waitcnt lgkmcnt(1)
	v_cmp_gt_i64_e32 vcc, v[0:1], v[6:7]
	v_cndmask_b32_e64 v6, 0, 1, vcc
	v_add_co_u32_e32 v5, vcc, v5, v6
	v_addc_co_u32_e32 v6, vcc, 0, v14, vcc
	v_cmp_gt_i64_e32 vcc, v[0:1], v[8:9]
	v_cndmask_b32_e64 v7, 0, 1, vcc
	v_add_co_u32_e32 v5, vcc, v5, v7
	v_addc_co_u32_e32 v6, vcc, 0, v6, vcc
	;; [unrolled: 20-line block ×6, first 2 shown]
	s_waitcnt lgkmcnt(0)
	v_cmp_gt_i64_e32 vcc, v[0:1], v[10:11]
	v_cndmask_b32_e64 v7, 0, 1, vcc
	v_add_co_u32_e32 v5, vcc, v5, v7
	v_addc_co_u32_e32 v6, vcc, 0, v6, vcc
	v_cmp_gt_i64_e32 vcc, v[0:1], v[12:13]
	v_cndmask_b32_e64 v7, 0, 1, vcc
	v_add_co_u32_e32 v10, vcc, v5, v7
	v_addc_co_u32_e32 v11, vcc, 0, v6, vcc
	v_mov_b32_e32 v5, s3
	v_add_co_u32_e32 v0, vcc, s2, v0
	v_addc_co_u32_e32 v1, vcc, v1, v5, vcc
	v_lshlrev_b64 v[6:7], 3, v[10:11]
	v_mov_b32_e32 v5, s25
	v_add_co_u32_e32 v12, vcc, s24, v6
	v_addc_co_u32_e32 v13, vcc, v5, v7, vcc
	ds_read2_b64 v[6:9], v2 offset1:3
	global_store_dwordx2 v[12:13], v[0:1], off
	v_lshlrev_b64 v[0:1], 5, v[10:11]
	v_add_u32_e32 v12, s6, v2
	v_mov_b32_e32 v5, s27
	s_waitcnt lgkmcnt(0)
	v_mov_b32_e32 v10, v6
	v_add_u32_e32 v6, s7, v2
	v_mov_b32_e32 v11, v7
	ds_read_b64 v[12:13], v12
	ds_read_b64 v[6:7], v6
	v_add_co_u32_e32 v0, vcc, s26, v0
	v_addc_co_u32_e32 v1, vcc, v5, v1, vcc
	s_waitcnt lgkmcnt(1)
	global_store_dwordx4 v[0:1], v[10:13], off
	s_waitcnt lgkmcnt(0)
	global_store_dwordx4 v[0:1], v[6:9], off offset:16
	s_branch .LBB109_121
.LBB109_124:
	s_endpgm
	.section	.rodata,"a",@progbits
	.p2align	6, 0x0
	.amdhsa_kernel _ZN9rocsparseL27bsrgemm_fill_wf_per_row_2x2ILj256ELj16ELj32ELj137ElldEEv20rocsparse_direction_T4_S2_PKS2_S4_NS_24const_host_device_scalarIT5_EEPKT3_S4_PKS6_SA_S4_SC_S7_SA_S4_SC_SA_PS2_PS6_21rocsparse_index_base_SF_SF_SF_bbb
		.amdhsa_group_segment_fixed_size 20480
		.amdhsa_private_segment_fixed_size 0
		.amdhsa_kernarg_size 172
		.amdhsa_user_sgpr_count 6
		.amdhsa_user_sgpr_private_segment_buffer 1
		.amdhsa_user_sgpr_dispatch_ptr 0
		.amdhsa_user_sgpr_queue_ptr 0
		.amdhsa_user_sgpr_kernarg_segment_ptr 1
		.amdhsa_user_sgpr_dispatch_id 0
		.amdhsa_user_sgpr_flat_scratch_init 0
		.amdhsa_user_sgpr_kernarg_preload_length 0
		.amdhsa_user_sgpr_kernarg_preload_offset 0
		.amdhsa_user_sgpr_private_segment_size 0
		.amdhsa_uses_dynamic_stack 0
		.amdhsa_system_sgpr_private_segment_wavefront_offset 0
		.amdhsa_system_sgpr_workgroup_id_x 1
		.amdhsa_system_sgpr_workgroup_id_y 0
		.amdhsa_system_sgpr_workgroup_id_z 0
		.amdhsa_system_sgpr_workgroup_info 0
		.amdhsa_system_vgpr_workitem_id 0
		.amdhsa_next_free_vgpr 47
		.amdhsa_next_free_sgpr 55
		.amdhsa_accum_offset 48
		.amdhsa_reserve_vcc 1
		.amdhsa_reserve_flat_scratch 0
		.amdhsa_float_round_mode_32 0
		.amdhsa_float_round_mode_16_64 0
		.amdhsa_float_denorm_mode_32 3
		.amdhsa_float_denorm_mode_16_64 3
		.amdhsa_dx10_clamp 1
		.amdhsa_ieee_mode 1
		.amdhsa_fp16_overflow 0
		.amdhsa_tg_split 0
		.amdhsa_exception_fp_ieee_invalid_op 0
		.amdhsa_exception_fp_denorm_src 0
		.amdhsa_exception_fp_ieee_div_zero 0
		.amdhsa_exception_fp_ieee_overflow 0
		.amdhsa_exception_fp_ieee_underflow 0
		.amdhsa_exception_fp_ieee_inexact 0
		.amdhsa_exception_int_div_zero 0
	.end_amdhsa_kernel
	.section	.text._ZN9rocsparseL27bsrgemm_fill_wf_per_row_2x2ILj256ELj16ELj32ELj137ElldEEv20rocsparse_direction_T4_S2_PKS2_S4_NS_24const_host_device_scalarIT5_EEPKT3_S4_PKS6_SA_S4_SC_S7_SA_S4_SC_SA_PS2_PS6_21rocsparse_index_base_SF_SF_SF_bbb,"axG",@progbits,_ZN9rocsparseL27bsrgemm_fill_wf_per_row_2x2ILj256ELj16ELj32ELj137ElldEEv20rocsparse_direction_T4_S2_PKS2_S4_NS_24const_host_device_scalarIT5_EEPKT3_S4_PKS6_SA_S4_SC_S7_SA_S4_SC_SA_PS2_PS6_21rocsparse_index_base_SF_SF_SF_bbb,comdat
.Lfunc_end109:
	.size	_ZN9rocsparseL27bsrgemm_fill_wf_per_row_2x2ILj256ELj16ELj32ELj137ElldEEv20rocsparse_direction_T4_S2_PKS2_S4_NS_24const_host_device_scalarIT5_EEPKT3_S4_PKS6_SA_S4_SC_S7_SA_S4_SC_SA_PS2_PS6_21rocsparse_index_base_SF_SF_SF_bbb, .Lfunc_end109-_ZN9rocsparseL27bsrgemm_fill_wf_per_row_2x2ILj256ELj16ELj32ELj137ElldEEv20rocsparse_direction_T4_S2_PKS2_S4_NS_24const_host_device_scalarIT5_EEPKT3_S4_PKS6_SA_S4_SC_S7_SA_S4_SC_SA_PS2_PS6_21rocsparse_index_base_SF_SF_SF_bbb
                                        ; -- End function
	.section	.AMDGPU.csdata,"",@progbits
; Kernel info:
; codeLenInByte = 4392
; NumSgprs: 59
; NumVgprs: 47
; NumAgprs: 0
; TotalNumVgprs: 47
; ScratchSize: 0
; MemoryBound: 0
; FloatMode: 240
; IeeeMode: 1
; LDSByteSize: 20480 bytes/workgroup (compile time only)
; SGPRBlocks: 7
; VGPRBlocks: 5
; NumSGPRsForWavesPerEU: 59
; NumVGPRsForWavesPerEU: 47
; AccumOffset: 48
; Occupancy: 3
; WaveLimiterHint : 1
; COMPUTE_PGM_RSRC2:SCRATCH_EN: 0
; COMPUTE_PGM_RSRC2:USER_SGPR: 6
; COMPUTE_PGM_RSRC2:TRAP_HANDLER: 0
; COMPUTE_PGM_RSRC2:TGID_X_EN: 1
; COMPUTE_PGM_RSRC2:TGID_Y_EN: 0
; COMPUTE_PGM_RSRC2:TGID_Z_EN: 0
; COMPUTE_PGM_RSRC2:TIDIG_COMP_CNT: 0
; COMPUTE_PGM_RSRC3_GFX90A:ACCUM_OFFSET: 11
; COMPUTE_PGM_RSRC3_GFX90A:TG_SPLIT: 0
	.section	.text._ZN9rocsparseL30bsrgemm_fill_block_per_row_2x2ILj256ELj16ELj64ELj137ElldEEv20rocsparse_direction_T4_S2_PKS2_S4_NS_24const_host_device_scalarIT5_EEPKT3_S4_PKS6_SA_S4_SC_S7_SA_S4_SC_SA_PS2_PS6_21rocsparse_index_base_SF_SF_SF_bbb,"axG",@progbits,_ZN9rocsparseL30bsrgemm_fill_block_per_row_2x2ILj256ELj16ELj64ELj137ElldEEv20rocsparse_direction_T4_S2_PKS2_S4_NS_24const_host_device_scalarIT5_EEPKT3_S4_PKS6_SA_S4_SC_S7_SA_S4_SC_SA_PS2_PS6_21rocsparse_index_base_SF_SF_SF_bbb,comdat
	.globl	_ZN9rocsparseL30bsrgemm_fill_block_per_row_2x2ILj256ELj16ELj64ELj137ElldEEv20rocsparse_direction_T4_S2_PKS2_S4_NS_24const_host_device_scalarIT5_EEPKT3_S4_PKS6_SA_S4_SC_S7_SA_S4_SC_SA_PS2_PS6_21rocsparse_index_base_SF_SF_SF_bbb ; -- Begin function _ZN9rocsparseL30bsrgemm_fill_block_per_row_2x2ILj256ELj16ELj64ELj137ElldEEv20rocsparse_direction_T4_S2_PKS2_S4_NS_24const_host_device_scalarIT5_EEPKT3_S4_PKS6_SA_S4_SC_S7_SA_S4_SC_SA_PS2_PS6_21rocsparse_index_base_SF_SF_SF_bbb
	.p2align	8
	.type	_ZN9rocsparseL30bsrgemm_fill_block_per_row_2x2ILj256ELj16ELj64ELj137ElldEEv20rocsparse_direction_T4_S2_PKS2_S4_NS_24const_host_device_scalarIT5_EEPKT3_S4_PKS6_SA_S4_SC_S7_SA_S4_SC_SA_PS2_PS6_21rocsparse_index_base_SF_SF_SF_bbb,@function
_ZN9rocsparseL30bsrgemm_fill_block_per_row_2x2ILj256ELj16ELj64ELj137ElldEEv20rocsparse_direction_T4_S2_PKS2_S4_NS_24const_host_device_scalarIT5_EEPKT3_S4_PKS6_SA_S4_SC_S7_SA_S4_SC_SA_PS2_PS6_21rocsparse_index_base_SF_SF_SF_bbb: ; @_ZN9rocsparseL30bsrgemm_fill_block_per_row_2x2ILj256ELj16ELj64ELj137ElldEEv20rocsparse_direction_T4_S2_PKS2_S4_NS_24const_host_device_scalarIT5_EEPKT3_S4_PKS6_SA_S4_SC_S7_SA_S4_SC_SA_PS2_PS6_21rocsparse_index_base_SF_SF_SF_bbb
; %bb.0:
	s_load_dword s7, s[4:5], 0xa8
	s_load_dwordx2 s[10:11], s[4:5], 0x28
	s_load_dwordx2 s[0:1], s[4:5], 0x60
	s_waitcnt lgkmcnt(0)
	s_and_b32 s8, 1, s7
	s_bitcmp1_b32 s7, 16
	s_cselect_b64 s[2:3], -1, 0
	s_cmp_eq_u32 s8, 1
	s_cselect_b64 s[8:9], -1, 0
	s_and_b64 s[12:13], s[8:9], exec
	s_cselect_b32 s13, s11, 0
	s_cselect_b32 s12, s10, 0
	s_xor_b64 s[14:15], s[8:9], -1
	s_or_b64 s[14:15], s[14:15], s[2:3]
	s_and_b64 vcc, exec, s[14:15]
	v_pk_mov_b32 v[4:5], s[12:13], s[12:13] op_sel:[0,1]
	s_cbranch_vccnz .LBB110_2
; %bb.1:
	v_pk_mov_b32 v[2:3], s[10:11], s[10:11] op_sel:[0,1]
	flat_load_dwordx2 v[4:5], v[2:3]
.LBB110_2:
	s_bitcmp1_b32 s7, 8
	s_cselect_b64 s[20:21], -1, 0
	s_and_b64 s[10:11], s[20:21], exec
	s_cselect_b32 s11, s1, 0
	s_cselect_b32 s10, s0, 0
	s_xor_b64 s[12:13], s[20:21], -1
	s_or_b64 s[2:3], s[12:13], s[2:3]
	s_and_b64 vcc, exec, s[2:3]
	v_pk_mov_b32 v[2:3], s[10:11], s[10:11] op_sel:[0,1]
	s_cbranch_vccnz .LBB110_4
; %bb.3:
	v_pk_mov_b32 v[2:3], s[0:1], s[0:1] op_sel:[0,1]
	flat_load_dwordx2 v[2:3], v[2:3]
.LBB110_4:
	s_load_dwordx2 s[2:3], s[4:5], 0x10
	v_cmp_gt_u32_e64 s[0:1], 64, v0
	v_lshl_add_u32 v1, v0, 3, 0
	s_and_saveexec_b64 s[10:11], s[0:1]
	s_cbranch_execz .LBB110_6
; %bb.5:
	s_waitcnt lgkmcnt(0)
	v_pk_mov_b32 v[6:7], s[2:3], s[2:3] op_sel:[0,1]
	ds_write_b64 v1, v[6:7]
.LBB110_6:
	s_or_b64 exec, exec, s[10:11]
	s_load_dwordx4 s[16:19], s[4:5], 0x98
	s_load_dwordx2 s[10:11], s[4:5], 0x20
	s_movk_i32 s7, 0x100
	v_cmp_gt_u32_e32 vcc, s7, v0
	s_and_saveexec_b64 s[12:13], vcc
	s_cbranch_execz .LBB110_8
; %bb.7:
	v_mov_b32_e32 v6, 0
	v_mov_b32_e32 v7, v6
	ds_write_b64 v1, v[6:7] offset:512
.LBB110_8:
	s_or_b64 exec, exec, s[12:13]
	s_waitcnt lgkmcnt(0)
	s_cmp_eq_u64 s[10:11], 0
	s_mov_b32 s7, 0
	s_barrier
	s_cbranch_scc1 .LBB110_10
; %bb.9:
	s_load_dwordx2 s[12:13], s[4:5], 0x18
	s_waitcnt lgkmcnt(0)
	s_load_dwordx2 s[12:13], s[12:13], 0x0
	s_waitcnt lgkmcnt(0)
	s_lshl_b64 s[12:13], s[12:13], 3
	s_add_u32 s10, s10, s12
	s_addc_u32 s11, s11, s13
	s_lshl_b64 s[6:7], s[6:7], 3
	s_add_u32 s6, s10, s6
	s_addc_u32 s7, s11, s7
	s_load_dwordx2 s[6:7], s[6:7], 0x0
.LBB110_10:
	s_nop 0
	s_load_dword s33, s[4:5], 0x0
	s_andn2_b64 vcc, exec, s[8:9]
	s_cbranch_vccnz .LBB110_66
; %bb.11:
	s_load_dwordx2 s[8:9], s[4:5], 0x30
	s_waitcnt lgkmcnt(0)
	s_lshl_b64 s[10:11], s[6:7], 3
	v_lshrrev_b32_e32 v6, 4, v0
	v_subrev_co_u32_e32 v6, vcc, s16, v6
	s_add_u32 s8, s8, s10
	s_addc_u32 s9, s9, s11
	s_load_dwordx4 s[8:11], s[8:9], 0x0
	v_subb_co_u32_e64 v7, s[12:13], 0, 0, vcc
	s_mov_b32 s28, 0
	s_waitcnt lgkmcnt(0)
	s_sub_u32 s22, s10, s16
	v_mov_b32_e32 v8, s9
	v_add_co_u32_e32 v6, vcc, s8, v6
	s_subb_u32 s23, s11, 0
	v_addc_co_u32_e32 v7, vcc, v8, v7, vcc
	v_cmp_gt_i64_e32 vcc, s[22:23], v[6:7]
	s_and_saveexec_b64 s[24:25], vcc
	s_cbranch_execz .LBB110_65
; %bb.12:
	s_load_dwordx2 s[26:27], s[4:5], 0x58
	s_load_dwordx8 s[8:15], s[4:5], 0x38
	v_and_b32_e32 v8, 15, v0
	v_subrev_co_u32_e32 v23, vcc, s17, v8
	s_mov_b32 s46, s16
	s_cmp_eq_u32 s33, 0
	s_mov_b32 s47, s17
	v_subb_co_u32_e64 v37, s[16:17], 0, 0, vcc
	s_mov_b32 s48, s28
	s_cselect_b32 s49, 1, 2
	s_cselect_b32 s50, 2, 1
	s_mov_b64 s[16:17], 0
	s_waitcnt lgkmcnt(0)
	v_mov_b32_e32 v40, s9
	v_mov_b32_e32 v41, s28
	;; [unrolled: 1-line block ×4, first 2 shown]
	s_branch .LBB110_14
.LBB110_13:                             ;   in Loop: Header=BB110_14 Depth=1
	s_or_b64 exec, exec, s[28:29]
	v_add_co_u32_e32 v6, vcc, 16, v6
	v_addc_co_u32_e32 v7, vcc, 0, v7, vcc
	v_cmp_le_i64_e32 vcc, s[22:23], v[6:7]
	s_or_b64 s[16:17], vcc, s[16:17]
	s_andn2_b64 exec, exec, s[16:17]
	s_cbranch_execz .LBB110_65
.LBB110_14:                             ; =>This Loop Header: Depth=1
                                        ;     Child Loop BB110_17 Depth 2
                                        ;       Child Loop BB110_19 Depth 3
                                        ;       Child Loop BB110_31 Depth 3
	;; [unrolled: 1-line block ×4, first 2 shown]
	v_lshlrev_b64 v[8:9], 3, v[6:7]
	v_add_co_u32_e32 v8, vcc, s8, v8
	v_addc_co_u32_e32 v9, vcc, v40, v9, vcc
	global_load_dwordx2 v[8:9], v[8:9], off
	s_waitcnt vmcnt(0)
	v_subrev_co_u32_e32 v8, vcc, s46, v8
	v_subb_co_u32_e32 v9, vcc, v9, v41, vcc
	v_lshlrev_b64 v[8:9], 3, v[8:9]
	v_add_co_u32_e32 v8, vcc, s12, v8
	v_addc_co_u32_e32 v9, vcc, v42, v9, vcc
	global_load_dwordx4 v[10:13], v[8:9], off
	s_waitcnt vmcnt(0)
	v_subrev_co_u32_e32 v8, vcc, s47, v12
	v_subb_co_u32_e32 v9, vcc, v13, v43, vcc
	v_add_co_u32_e32 v10, vcc, v10, v23
	v_addc_co_u32_e32 v11, vcc, v11, v37, vcc
	v_cmp_lt_i64_e32 vcc, v[10:11], v[8:9]
	s_and_saveexec_b64 s[28:29], vcc
	s_cbranch_execz .LBB110_13
; %bb.15:                               ;   in Loop: Header=BB110_14 Depth=1
	v_lshlrev_b64 v[12:13], 2, v[6:7]
	v_lshlrev_b64 v[16:17], 5, v[6:7]
	v_or_b32_e32 v15, 0, v13
	v_or_b32_e32 v14, s49, v12
	;; [unrolled: 1-line block ×4, first 2 shown]
	v_mov_b32_e32 v18, s11
	v_add_co_u32_e32 v16, vcc, s10, v16
	v_addc_co_u32_e32 v17, vcc, v18, v17, vcc
	v_lshlrev_b64 v[12:13], 3, v[12:13]
	v_add_co_u32_e32 v12, vcc, s10, v12
	v_addc_co_u32_e32 v13, vcc, v18, v13, vcc
	v_lshlrev_b64 v[14:15], 3, v[14:15]
	v_add_co_u32_e32 v14, vcc, s10, v14
	v_addc_co_u32_e32 v15, vcc, v18, v15, vcc
	global_load_dwordx2 v[18:19], v[16:17], off offset:24
	global_load_dwordx2 v[20:21], v[12:13], off
	global_load_dwordx2 v[24:25], v[14:15], off
	;; [unrolled: 1-line block ×3, first 2 shown]
	s_mov_b64 s[30:31], 0
	s_waitcnt vmcnt(3)
	v_mul_f64 v[12:13], v[4:5], v[18:19]
	s_waitcnt vmcnt(2)
	v_mul_f64 v[14:15], v[4:5], v[20:21]
	;; [unrolled: 2-line block ×4, first 2 shown]
	s_branch .LBB110_17
.LBB110_16:                             ;   in Loop: Header=BB110_17 Depth=2
	s_or_b64 exec, exec, s[34:35]
	v_add_co_u32_e32 v10, vcc, 16, v10
	v_addc_co_u32_e32 v11, vcc, 0, v11, vcc
	v_cmp_ge_i64_e32 vcc, v[10:11], v[8:9]
	s_or_b64 s[30:31], vcc, s[30:31]
	s_andn2_b64 exec, exec, s[30:31]
	s_cbranch_execz .LBB110_13
.LBB110_17:                             ;   Parent Loop BB110_14 Depth=1
                                        ; =>  This Loop Header: Depth=2
                                        ;       Child Loop BB110_19 Depth 3
                                        ;       Child Loop BB110_31 Depth 3
                                        ;       Child Loop BB110_43 Depth 3
                                        ;       Child Loop BB110_55 Depth 3
	v_lshlrev_b64 v[20:21], 3, v[10:11]
	v_mov_b32_e32 v22, s15
	v_add_co_u32_e32 v20, vcc, s14, v20
	v_addc_co_u32_e32 v21, vcc, v22, v21, vcc
	v_lshlrev_b64 v[24:25], 2, v[10:11]
	v_lshlrev_b64 v[28:29], 5, v[10:11]
	v_or_b32_e32 v27, 0, v25
	v_or_b32_e32 v26, s49, v24
	;; [unrolled: 1-line block ×4, first 2 shown]
	v_mov_b32_e32 v22, s27
	v_add_co_u32_e32 v32, vcc, s26, v28
	v_addc_co_u32_e32 v33, vcc, v22, v29, vcc
	v_lshlrev_b64 v[24:25], 3, v[24:25]
	global_load_dwordx2 v[20:21], v[20:21], off
	v_add_co_u32_e32 v24, vcc, s26, v24
	v_lshlrev_b64 v[26:27], 3, v[26:27]
	v_addc_co_u32_e32 v25, vcc, v22, v25, vcc
	global_load_dwordx2 v[28:29], v[32:33], off
	global_load_dwordx2 v[30:31], v[24:25], off
	v_add_co_u32_e32 v34, vcc, s26, v26
	v_addc_co_u32_e32 v35, vcc, v22, v27, vcc
	global_load_dwordx2 v[24:25], v[34:35], off
	global_load_dwordx2 v[26:27], v[32:33], off offset:24
	v_mov_b32_e32 v22, s48
	s_mov_b64 s[34:35], 0
	s_waitcnt vmcnt(4)
	v_subrev_co_u32_e32 v20, vcc, s47, v20
	v_subb_co_u32_e32 v21, vcc, v21, v22, vcc
	v_lshl_add_u32 v22, v20, 3, v20
	v_and_b32_e32 v22, 63, v22
	v_pk_mov_b32 v[34:35], v[22:23], v[22:23] op_sel:[0,1]
	s_waitcnt vmcnt(2)
	v_mul_f64 v[32:33], v[16:17], v[30:31]
	v_fmac_f64_e32 v[32:33], v[18:19], v[28:29]
	s_branch .LBB110_19
.LBB110_18:                             ;   in Loop: Header=BB110_19 Depth=3
	s_or_b64 exec, exec, s[36:37]
	s_xor_b64 s[36:37], s[38:39], -1
	s_and_b64 s[36:37], exec, s[36:37]
	s_or_b64 s[34:35], s[36:37], s[34:35]
	s_andn2_b64 exec, exec, s[34:35]
	s_cbranch_execz .LBB110_29
.LBB110_19:                             ;   Parent Loop BB110_14 Depth=1
                                        ;     Parent Loop BB110_17 Depth=2
                                        ; =>    This Inner Loop Header: Depth=3
	v_lshl_add_u32 v36, v34, 3, 0
	ds_read_b64 v[38:39], v36
                                        ; implicit-def: $sgpr38_sgpr39
	s_waitcnt lgkmcnt(0)
	v_cmp_ne_u64_e32 vcc, v[38:39], v[20:21]
	s_and_saveexec_b64 s[36:37], vcc
	s_xor_b64 s[36:37], exec, s[36:37]
	s_cbranch_execz .LBB110_27
; %bb.20:                               ;   in Loop: Header=BB110_19 Depth=3
	v_cmp_ne_u64_e32 vcc, s[2:3], v[38:39]
                                        ; implicit-def: $sgpr38_sgpr39
	s_and_saveexec_b64 s[40:41], vcc
	s_xor_b64 s[40:41], exec, s[40:41]
; %bb.21:                               ;   in Loop: Header=BB110_19 Depth=3
	v_add_u32_e32 v34, 1, v34
	v_and_b32_e32 v34, 63, v34
	s_mov_b64 s[38:39], -1
                                        ; implicit-def: $vgpr36
; %bb.22:                               ;   in Loop: Header=BB110_19 Depth=3
	s_andn2_saveexec_b64 s[40:41], s[40:41]
	s_cbranch_execz .LBB110_26
; %bb.23:                               ;   in Loop: Header=BB110_19 Depth=3
	v_pk_mov_b32 v[38:39], s[2:3], s[2:3] op_sel:[0,1]
	ds_cmpst_rtn_b64 v[38:39], v36, v[38:39], v[20:21]
	s_mov_b64 s[42:43], -1
	s_waitcnt lgkmcnt(0)
	v_cmp_eq_u64_e32 vcc, s[2:3], v[38:39]
	s_and_saveexec_b64 s[44:45], vcc
	s_cbranch_execz .LBB110_25
; %bb.24:                               ;   in Loop: Header=BB110_19 Depth=3
	v_mad_u64_u32 v[38:39], s[42:43], v34, 24, v[36:37]
	ds_add_f64 v38, v[32:33] offset:512
	s_xor_b64 s[42:43], exec, -1
.LBB110_25:                             ;   in Loop: Header=BB110_19 Depth=3
	s_or_b64 exec, exec, s[44:45]
	s_andn2_b64 s[38:39], s[38:39], exec
	s_and_b64 s[42:43], s[42:43], exec
	s_or_b64 s[38:39], s[38:39], s[42:43]
.LBB110_26:                             ;   in Loop: Header=BB110_19 Depth=3
	s_or_b64 exec, exec, s[40:41]
	s_and_b64 s[38:39], s[38:39], exec
                                        ; implicit-def: $vgpr36
.LBB110_27:                             ;   in Loop: Header=BB110_19 Depth=3
	s_andn2_saveexec_b64 s[36:37], s[36:37]
	s_cbranch_execz .LBB110_18
; %bb.28:                               ;   in Loop: Header=BB110_19 Depth=3
	v_mad_u64_u32 v[38:39], s[40:41], v34, 24, v[36:37]
	ds_add_f64 v38, v[32:33] offset:512
	s_andn2_b64 s[38:39], s[38:39], exec
	s_branch .LBB110_18
.LBB110_29:                             ;   in Loop: Header=BB110_17 Depth=2
	s_or_b64 exec, exec, s[34:35]
	s_waitcnt vmcnt(0)
	v_mul_f64 v[32:33], v[16:17], v[26:27]
	v_fmac_f64_e32 v[32:33], v[18:19], v[24:25]
	s_mov_b64 s[34:35], 0
	v_pk_mov_b32 v[34:35], v[22:23], v[22:23] op_sel:[0,1]
	s_branch .LBB110_31
.LBB110_30:                             ;   in Loop: Header=BB110_31 Depth=3
	s_or_b64 exec, exec, s[36:37]
	s_xor_b64 s[36:37], s[38:39], -1
	s_and_b64 s[36:37], exec, s[36:37]
	s_or_b64 s[34:35], s[36:37], s[34:35]
	s_andn2_b64 exec, exec, s[34:35]
	s_cbranch_execz .LBB110_41
.LBB110_31:                             ;   Parent Loop BB110_14 Depth=1
                                        ;     Parent Loop BB110_17 Depth=2
                                        ; =>    This Inner Loop Header: Depth=3
	v_lshl_add_u32 v36, v34, 3, 0
	ds_read_b64 v[38:39], v36
                                        ; implicit-def: $sgpr38_sgpr39
	s_waitcnt lgkmcnt(0)
	v_cmp_ne_u64_e32 vcc, v[38:39], v[20:21]
	s_and_saveexec_b64 s[36:37], vcc
	s_xor_b64 s[36:37], exec, s[36:37]
	s_cbranch_execz .LBB110_39
; %bb.32:                               ;   in Loop: Header=BB110_31 Depth=3
	v_cmp_ne_u64_e32 vcc, s[2:3], v[38:39]
                                        ; implicit-def: $sgpr38_sgpr39
	s_and_saveexec_b64 s[40:41], vcc
	s_xor_b64 s[40:41], exec, s[40:41]
; %bb.33:                               ;   in Loop: Header=BB110_31 Depth=3
	v_add_u32_e32 v34, 1, v34
	v_and_b32_e32 v34, 63, v34
	s_mov_b64 s[38:39], -1
                                        ; implicit-def: $vgpr36
; %bb.34:                               ;   in Loop: Header=BB110_31 Depth=3
	s_andn2_saveexec_b64 s[40:41], s[40:41]
	s_cbranch_execz .LBB110_38
; %bb.35:                               ;   in Loop: Header=BB110_31 Depth=3
	v_pk_mov_b32 v[38:39], s[2:3], s[2:3] op_sel:[0,1]
	ds_cmpst_rtn_b64 v[38:39], v36, v[38:39], v[20:21]
	s_mov_b64 s[42:43], -1
	s_waitcnt lgkmcnt(0)
	v_cmp_eq_u64_e32 vcc, s[2:3], v[38:39]
	s_and_saveexec_b64 s[44:45], vcc
	s_cbranch_execz .LBB110_37
; %bb.36:                               ;   in Loop: Header=BB110_31 Depth=3
	v_mad_u64_u32 v[38:39], s[42:43], v34, 24, v[36:37]
	ds_add_f64 v38, v[32:33] offset:520
	s_xor_b64 s[42:43], exec, -1
.LBB110_37:                             ;   in Loop: Header=BB110_31 Depth=3
	s_or_b64 exec, exec, s[44:45]
	s_andn2_b64 s[38:39], s[38:39], exec
	s_and_b64 s[42:43], s[42:43], exec
	s_or_b64 s[38:39], s[38:39], s[42:43]
.LBB110_38:                             ;   in Loop: Header=BB110_31 Depth=3
	s_or_b64 exec, exec, s[40:41]
	s_and_b64 s[38:39], s[38:39], exec
                                        ; implicit-def: $vgpr36
.LBB110_39:                             ;   in Loop: Header=BB110_31 Depth=3
	s_andn2_saveexec_b64 s[36:37], s[36:37]
	s_cbranch_execz .LBB110_30
; %bb.40:                               ;   in Loop: Header=BB110_31 Depth=3
	v_mad_u64_u32 v[38:39], s[40:41], v34, 24, v[36:37]
	ds_add_f64 v38, v[32:33] offset:520
	s_andn2_b64 s[38:39], s[38:39], exec
	s_branch .LBB110_30
.LBB110_41:                             ;   in Loop: Header=BB110_17 Depth=2
	s_or_b64 exec, exec, s[34:35]
	v_mul_f64 v[30:31], v[12:13], v[30:31]
	v_fmac_f64_e32 v[30:31], v[14:15], v[28:29]
	s_mov_b64 s[34:35], 0
	v_pk_mov_b32 v[28:29], v[22:23], v[22:23] op_sel:[0,1]
	s_branch .LBB110_43
.LBB110_42:                             ;   in Loop: Header=BB110_43 Depth=3
	s_or_b64 exec, exec, s[36:37]
	s_xor_b64 s[36:37], s[38:39], -1
	s_and_b64 s[36:37], exec, s[36:37]
	s_or_b64 s[34:35], s[36:37], s[34:35]
	s_andn2_b64 exec, exec, s[34:35]
	s_cbranch_execz .LBB110_53
.LBB110_43:                             ;   Parent Loop BB110_14 Depth=1
                                        ;     Parent Loop BB110_17 Depth=2
                                        ; =>    This Inner Loop Header: Depth=3
	v_lshl_add_u32 v32, v28, 3, 0
	ds_read_b64 v[34:35], v32
                                        ; implicit-def: $sgpr38_sgpr39
	s_waitcnt lgkmcnt(0)
	v_cmp_ne_u64_e32 vcc, v[34:35], v[20:21]
	s_and_saveexec_b64 s[36:37], vcc
	s_xor_b64 s[36:37], exec, s[36:37]
	s_cbranch_execz .LBB110_51
; %bb.44:                               ;   in Loop: Header=BB110_43 Depth=3
	v_cmp_ne_u64_e32 vcc, s[2:3], v[34:35]
                                        ; implicit-def: $sgpr38_sgpr39
	s_and_saveexec_b64 s[40:41], vcc
	s_xor_b64 s[40:41], exec, s[40:41]
; %bb.45:                               ;   in Loop: Header=BB110_43 Depth=3
	v_add_u32_e32 v28, 1, v28
	v_and_b32_e32 v28, 63, v28
	s_mov_b64 s[38:39], -1
                                        ; implicit-def: $vgpr32
; %bb.46:                               ;   in Loop: Header=BB110_43 Depth=3
	s_andn2_saveexec_b64 s[40:41], s[40:41]
	s_cbranch_execz .LBB110_50
; %bb.47:                               ;   in Loop: Header=BB110_43 Depth=3
	v_pk_mov_b32 v[34:35], s[2:3], s[2:3] op_sel:[0,1]
	ds_cmpst_rtn_b64 v[34:35], v32, v[34:35], v[20:21]
	s_mov_b64 s[42:43], -1
	s_waitcnt lgkmcnt(0)
	v_cmp_eq_u64_e32 vcc, s[2:3], v[34:35]
	s_and_saveexec_b64 s[44:45], vcc
	s_cbranch_execz .LBB110_49
; %bb.48:                               ;   in Loop: Header=BB110_43 Depth=3
	v_mad_u64_u32 v[32:33], s[42:43], v28, 24, v[32:33]
	ds_add_f64 v32, v[30:31] offset:528
	s_xor_b64 s[42:43], exec, -1
.LBB110_49:                             ;   in Loop: Header=BB110_43 Depth=3
	s_or_b64 exec, exec, s[44:45]
	s_andn2_b64 s[38:39], s[38:39], exec
	s_and_b64 s[42:43], s[42:43], exec
	s_or_b64 s[38:39], s[38:39], s[42:43]
.LBB110_50:                             ;   in Loop: Header=BB110_43 Depth=3
	s_or_b64 exec, exec, s[40:41]
	s_and_b64 s[38:39], s[38:39], exec
                                        ; implicit-def: $vgpr32
.LBB110_51:                             ;   in Loop: Header=BB110_43 Depth=3
	s_andn2_saveexec_b64 s[36:37], s[36:37]
	s_cbranch_execz .LBB110_42
; %bb.52:                               ;   in Loop: Header=BB110_43 Depth=3
	v_mad_u64_u32 v[32:33], s[40:41], v28, 24, v[32:33]
	ds_add_f64 v32, v[30:31] offset:528
	s_andn2_b64 s[38:39], s[38:39], exec
	s_branch .LBB110_42
.LBB110_53:                             ;   in Loop: Header=BB110_17 Depth=2
	s_or_b64 exec, exec, s[34:35]
	v_mul_f64 v[26:27], v[12:13], v[26:27]
	v_fmac_f64_e32 v[26:27], v[14:15], v[24:25]
	s_mov_b64 s[34:35], 0
	s_branch .LBB110_55
.LBB110_54:                             ;   in Loop: Header=BB110_55 Depth=3
	s_or_b64 exec, exec, s[36:37]
	s_xor_b64 s[36:37], s[38:39], -1
	s_and_b64 s[36:37], exec, s[36:37]
	s_or_b64 s[34:35], s[36:37], s[34:35]
	s_andn2_b64 exec, exec, s[34:35]
	s_cbranch_execz .LBB110_16
.LBB110_55:                             ;   Parent Loop BB110_14 Depth=1
                                        ;     Parent Loop BB110_17 Depth=2
                                        ; =>    This Inner Loop Header: Depth=3
	v_lshl_add_u32 v24, v22, 3, 0
	ds_read_b64 v[28:29], v24
                                        ; implicit-def: $sgpr38_sgpr39
	s_waitcnt lgkmcnt(0)
	v_cmp_ne_u64_e32 vcc, v[28:29], v[20:21]
	s_and_saveexec_b64 s[36:37], vcc
	s_xor_b64 s[36:37], exec, s[36:37]
	s_cbranch_execz .LBB110_63
; %bb.56:                               ;   in Loop: Header=BB110_55 Depth=3
	v_cmp_ne_u64_e32 vcc, s[2:3], v[28:29]
                                        ; implicit-def: $sgpr38_sgpr39
	s_and_saveexec_b64 s[40:41], vcc
	s_xor_b64 s[40:41], exec, s[40:41]
; %bb.57:                               ;   in Loop: Header=BB110_55 Depth=3
	v_add_u32_e32 v22, 1, v22
	v_and_b32_e32 v22, 63, v22
	s_mov_b64 s[38:39], -1
                                        ; implicit-def: $vgpr24
; %bb.58:                               ;   in Loop: Header=BB110_55 Depth=3
	s_andn2_saveexec_b64 s[40:41], s[40:41]
	s_cbranch_execz .LBB110_62
; %bb.59:                               ;   in Loop: Header=BB110_55 Depth=3
	v_pk_mov_b32 v[28:29], s[2:3], s[2:3] op_sel:[0,1]
	ds_cmpst_rtn_b64 v[28:29], v24, v[28:29], v[20:21]
	s_mov_b64 s[42:43], -1
	s_waitcnt lgkmcnt(0)
	v_cmp_eq_u64_e32 vcc, s[2:3], v[28:29]
	s_and_saveexec_b64 s[44:45], vcc
	s_cbranch_execz .LBB110_61
; %bb.60:                               ;   in Loop: Header=BB110_55 Depth=3
	v_mad_u64_u32 v[24:25], s[42:43], v22, 24, v[24:25]
	ds_add_f64 v24, v[26:27] offset:536
	s_xor_b64 s[42:43], exec, -1
.LBB110_61:                             ;   in Loop: Header=BB110_55 Depth=3
	s_or_b64 exec, exec, s[44:45]
	s_andn2_b64 s[38:39], s[38:39], exec
	s_and_b64 s[42:43], s[42:43], exec
	s_or_b64 s[38:39], s[38:39], s[42:43]
.LBB110_62:                             ;   in Loop: Header=BB110_55 Depth=3
	s_or_b64 exec, exec, s[40:41]
	s_and_b64 s[38:39], s[38:39], exec
                                        ; implicit-def: $vgpr24
.LBB110_63:                             ;   in Loop: Header=BB110_55 Depth=3
	s_andn2_saveexec_b64 s[36:37], s[36:37]
	s_cbranch_execz .LBB110_54
; %bb.64:                               ;   in Loop: Header=BB110_55 Depth=3
	v_mad_u64_u32 v[24:25], s[40:41], v22, 24, v[24:25]
	ds_add_f64 v24, v[26:27] offset:536
	s_andn2_b64 s[38:39], s[38:39], exec
	s_branch .LBB110_54
.LBB110_65:
	s_or_b64 exec, exec, s[24:25]
.LBB110_66:
	s_andn2_b64 vcc, exec, s[20:21]
	s_waitcnt lgkmcnt(0)
	s_barrier
	s_cbranch_vccnz .LBB110_119
; %bb.67:
	s_load_dwordx2 s[8:9], s[4:5], 0x68
	s_lshl_b64 s[10:11], s[6:7], 3
	s_waitcnt vmcnt(0)
	v_subrev_co_u32_e32 v4, vcc, s19, v0
	v_subb_co_u32_e64 v5, s[12:13], 0, 0, vcc
	s_waitcnt lgkmcnt(0)
	s_add_u32 s8, s8, s10
	s_addc_u32 s9, s9, s11
	s_load_dwordx4 s[8:11], s[8:9], 0x0
	s_mov_b32 s20, 0
	s_waitcnt lgkmcnt(0)
	s_sub_u32 s12, s10, s19
	v_mov_b32_e32 v6, s9
	v_add_co_u32_e32 v4, vcc, s8, v4
	s_subb_u32 s13, s11, 0
	v_addc_co_u32_e32 v5, vcc, v6, v5, vcc
	v_cmp_gt_i64_e32 vcc, s[12:13], v[4:5]
	s_and_saveexec_b64 s[14:15], vcc
	s_cbranch_execz .LBB110_118
; %bb.68:
	s_load_dwordx4 s[8:11], s[4:5], 0x70
	s_cmp_eq_u32 s33, 0
	s_mov_b32 s34, s19
	s_mov_b64 s[16:17], 0
	s_cselect_b32 s19, 1, 2
	s_cselect_b32 s35, 2, 1
	s_waitcnt lgkmcnt(0)
	v_mov_b32_e32 v9, s11
	v_mov_b32_e32 v24, s9
	v_mov_b32_e32 v25, s20
	s_branch .LBB110_70
.LBB110_69:                             ;   in Loop: Header=BB110_70 Depth=1
	s_or_b64 exec, exec, s[20:21]
	v_add_co_u32_e32 v4, vcc, 0x100, v4
	v_addc_co_u32_e32 v5, vcc, 0, v5, vcc
	v_cmp_le_i64_e32 vcc, s[12:13], v[4:5]
	s_or_b64 s[16:17], vcc, s[16:17]
	s_andn2_b64 exec, exec, s[16:17]
	s_cbranch_execz .LBB110_118
.LBB110_70:                             ; =>This Loop Header: Depth=1
                                        ;     Child Loop BB110_72 Depth 2
                                        ;     Child Loop BB110_84 Depth 2
	;; [unrolled: 1-line block ×4, first 2 shown]
	v_lshlrev_b64 v[6:7], 2, v[4:5]
	v_lshlrev_b64 v[12:13], 5, v[4:5]
	v_or_b32_e32 v11, 0, v7
	v_or_b32_e32 v10, s19, v6
	v_add_co_u32_e32 v16, vcc, s10, v12
	v_addc_co_u32_e32 v17, vcc, v9, v13, vcc
	v_lshlrev_b64 v[10:11], 3, v[10:11]
	v_add_co_u32_e32 v20, vcc, s10, v10
	v_addc_co_u32_e32 v21, vcc, v9, v11, vcc
	v_lshlrev_b64 v[10:11], 3, v[4:5]
	v_add_co_u32_e32 v10, vcc, s8, v10
	v_or_b32_e32 v7, 0, v7
	v_or_b32_e32 v6, s35, v6
	v_addc_co_u32_e32 v11, vcc, v24, v11, vcc
	v_lshlrev_b64 v[6:7], 3, v[6:7]
	global_load_dwordx2 v[22:23], v[10:11], off
	v_add_co_u32_e32 v6, vcc, s10, v6
	v_addc_co_u32_e32 v7, vcc, v9, v7, vcc
	global_load_dwordx2 v[18:19], v[16:17], off
	global_load_dwordx2 v[12:13], v[6:7], off
	;; [unrolled: 1-line block ×3, first 2 shown]
	global_load_dwordx2 v[10:11], v[16:17], off offset:24
	s_mov_b64 s[20:21], 0
	s_waitcnt vmcnt(4)
	v_subrev_co_u32_e32 v6, vcc, s34, v22
	v_lshl_add_u32 v8, v6, 3, v6
	v_and_b32_e32 v8, 63, v8
	v_subb_co_u32_e32 v7, vcc, v23, v25, vcc
	s_waitcnt vmcnt(3)
	v_mul_f64 v[16:17], v[2:3], v[18:19]
	v_pk_mov_b32 v[18:19], v[8:9], v[8:9] op_sel:[0,1]
	s_branch .LBB110_72
.LBB110_71:                             ;   in Loop: Header=BB110_72 Depth=2
	s_or_b64 exec, exec, s[22:23]
	s_xor_b64 s[22:23], s[24:25], -1
	s_and_b64 s[22:23], exec, s[22:23]
	s_or_b64 s[20:21], s[22:23], s[20:21]
	s_andn2_b64 exec, exec, s[20:21]
	s_cbranch_execz .LBB110_82
.LBB110_72:                             ;   Parent Loop BB110_70 Depth=1
                                        ; =>  This Inner Loop Header: Depth=2
	v_lshl_add_u32 v20, v18, 3, 0
	ds_read_b64 v[22:23], v20
                                        ; implicit-def: $sgpr24_sgpr25
	s_waitcnt lgkmcnt(0)
	v_cmp_ne_u64_e32 vcc, v[22:23], v[6:7]
	s_and_saveexec_b64 s[22:23], vcc
	s_xor_b64 s[22:23], exec, s[22:23]
	s_cbranch_execz .LBB110_80
; %bb.73:                               ;   in Loop: Header=BB110_72 Depth=2
	v_cmp_ne_u64_e32 vcc, s[2:3], v[22:23]
                                        ; implicit-def: $sgpr24_sgpr25
	s_and_saveexec_b64 s[26:27], vcc
	s_xor_b64 s[26:27], exec, s[26:27]
; %bb.74:                               ;   in Loop: Header=BB110_72 Depth=2
	v_add_u32_e32 v18, 1, v18
	v_and_b32_e32 v18, 63, v18
	s_mov_b64 s[24:25], -1
                                        ; implicit-def: $vgpr20
; %bb.75:                               ;   in Loop: Header=BB110_72 Depth=2
	s_andn2_saveexec_b64 s[26:27], s[26:27]
	s_cbranch_execz .LBB110_79
; %bb.76:                               ;   in Loop: Header=BB110_72 Depth=2
	v_pk_mov_b32 v[22:23], s[2:3], s[2:3] op_sel:[0,1]
	ds_cmpst_rtn_b64 v[22:23], v20, v[22:23], v[6:7]
	s_mov_b64 s[28:29], -1
	s_waitcnt lgkmcnt(0)
	v_cmp_eq_u64_e32 vcc, s[2:3], v[22:23]
	s_and_saveexec_b64 s[30:31], vcc
	s_cbranch_execz .LBB110_78
; %bb.77:                               ;   in Loop: Header=BB110_72 Depth=2
	v_mad_u64_u32 v[20:21], s[28:29], v18, 24, v[20:21]
	ds_add_f64 v20, v[16:17] offset:512
	s_xor_b64 s[28:29], exec, -1
.LBB110_78:                             ;   in Loop: Header=BB110_72 Depth=2
	s_or_b64 exec, exec, s[30:31]
	s_andn2_b64 s[24:25], s[24:25], exec
	s_and_b64 s[28:29], s[28:29], exec
	s_or_b64 s[24:25], s[24:25], s[28:29]
.LBB110_79:                             ;   in Loop: Header=BB110_72 Depth=2
	s_or_b64 exec, exec, s[26:27]
	s_and_b64 s[24:25], s[24:25], exec
                                        ; implicit-def: $vgpr20
.LBB110_80:                             ;   in Loop: Header=BB110_72 Depth=2
	s_andn2_saveexec_b64 s[22:23], s[22:23]
	s_cbranch_execz .LBB110_71
; %bb.81:                               ;   in Loop: Header=BB110_72 Depth=2
	v_mad_u64_u32 v[20:21], s[26:27], v18, 24, v[20:21]
	ds_add_f64 v20, v[16:17] offset:512
	s_andn2_b64 s[24:25], s[24:25], exec
	s_branch .LBB110_71
.LBB110_82:                             ;   in Loop: Header=BB110_70 Depth=1
	s_or_b64 exec, exec, s[20:21]
	s_waitcnt vmcnt(1)
	v_mul_f64 v[14:15], v[2:3], v[14:15]
	s_mov_b64 s[20:21], 0
	v_pk_mov_b32 v[16:17], v[8:9], v[8:9] op_sel:[0,1]
	s_branch .LBB110_84
.LBB110_83:                             ;   in Loop: Header=BB110_84 Depth=2
	s_or_b64 exec, exec, s[22:23]
	s_xor_b64 s[22:23], s[24:25], -1
	s_and_b64 s[22:23], exec, s[22:23]
	s_or_b64 s[20:21], s[22:23], s[20:21]
	s_andn2_b64 exec, exec, s[20:21]
	s_cbranch_execz .LBB110_94
.LBB110_84:                             ;   Parent Loop BB110_70 Depth=1
                                        ; =>  This Inner Loop Header: Depth=2
	v_lshl_add_u32 v18, v16, 3, 0
	ds_read_b64 v[20:21], v18
                                        ; implicit-def: $sgpr24_sgpr25
	s_waitcnt lgkmcnt(0)
	v_cmp_ne_u64_e32 vcc, v[20:21], v[6:7]
	s_and_saveexec_b64 s[22:23], vcc
	s_xor_b64 s[22:23], exec, s[22:23]
	s_cbranch_execz .LBB110_92
; %bb.85:                               ;   in Loop: Header=BB110_84 Depth=2
	v_cmp_ne_u64_e32 vcc, s[2:3], v[20:21]
                                        ; implicit-def: $sgpr24_sgpr25
	s_and_saveexec_b64 s[26:27], vcc
	s_xor_b64 s[26:27], exec, s[26:27]
; %bb.86:                               ;   in Loop: Header=BB110_84 Depth=2
	v_add_u32_e32 v16, 1, v16
	v_and_b32_e32 v16, 63, v16
	s_mov_b64 s[24:25], -1
                                        ; implicit-def: $vgpr18
; %bb.87:                               ;   in Loop: Header=BB110_84 Depth=2
	s_andn2_saveexec_b64 s[26:27], s[26:27]
	s_cbranch_execz .LBB110_91
; %bb.88:                               ;   in Loop: Header=BB110_84 Depth=2
	v_pk_mov_b32 v[20:21], s[2:3], s[2:3] op_sel:[0,1]
	ds_cmpst_rtn_b64 v[20:21], v18, v[20:21], v[6:7]
	s_mov_b64 s[28:29], -1
	s_waitcnt lgkmcnt(0)
	v_cmp_eq_u64_e32 vcc, s[2:3], v[20:21]
	s_and_saveexec_b64 s[30:31], vcc
	s_cbranch_execz .LBB110_90
; %bb.89:                               ;   in Loop: Header=BB110_84 Depth=2
	v_mad_u64_u32 v[18:19], s[28:29], v16, 24, v[18:19]
	ds_add_f64 v18, v[14:15] offset:520
	s_xor_b64 s[28:29], exec, -1
.LBB110_90:                             ;   in Loop: Header=BB110_84 Depth=2
	s_or_b64 exec, exec, s[30:31]
	s_andn2_b64 s[24:25], s[24:25], exec
	s_and_b64 s[28:29], s[28:29], exec
	s_or_b64 s[24:25], s[24:25], s[28:29]
.LBB110_91:                             ;   in Loop: Header=BB110_84 Depth=2
	s_or_b64 exec, exec, s[26:27]
	s_and_b64 s[24:25], s[24:25], exec
                                        ; implicit-def: $vgpr18
.LBB110_92:                             ;   in Loop: Header=BB110_84 Depth=2
	s_andn2_saveexec_b64 s[22:23], s[22:23]
	s_cbranch_execz .LBB110_83
; %bb.93:                               ;   in Loop: Header=BB110_84 Depth=2
	v_mad_u64_u32 v[18:19], s[26:27], v16, 24, v[18:19]
	ds_add_f64 v18, v[14:15] offset:520
	s_andn2_b64 s[24:25], s[24:25], exec
	s_branch .LBB110_83
.LBB110_94:                             ;   in Loop: Header=BB110_70 Depth=1
	s_or_b64 exec, exec, s[20:21]
	v_mul_f64 v[12:13], v[2:3], v[12:13]
	s_mov_b64 s[20:21], 0
	v_pk_mov_b32 v[14:15], v[8:9], v[8:9] op_sel:[0,1]
	s_branch .LBB110_96
.LBB110_95:                             ;   in Loop: Header=BB110_96 Depth=2
	s_or_b64 exec, exec, s[22:23]
	s_xor_b64 s[22:23], s[24:25], -1
	s_and_b64 s[22:23], exec, s[22:23]
	s_or_b64 s[20:21], s[22:23], s[20:21]
	s_andn2_b64 exec, exec, s[20:21]
	s_cbranch_execz .LBB110_106
.LBB110_96:                             ;   Parent Loop BB110_70 Depth=1
                                        ; =>  This Inner Loop Header: Depth=2
	v_lshl_add_u32 v16, v14, 3, 0
	ds_read_b64 v[18:19], v16
                                        ; implicit-def: $sgpr24_sgpr25
	s_waitcnt lgkmcnt(0)
	v_cmp_ne_u64_e32 vcc, v[18:19], v[6:7]
	s_and_saveexec_b64 s[22:23], vcc
	s_xor_b64 s[22:23], exec, s[22:23]
	s_cbranch_execz .LBB110_104
; %bb.97:                               ;   in Loop: Header=BB110_96 Depth=2
	v_cmp_ne_u64_e32 vcc, s[2:3], v[18:19]
                                        ; implicit-def: $sgpr24_sgpr25
	s_and_saveexec_b64 s[26:27], vcc
	s_xor_b64 s[26:27], exec, s[26:27]
; %bb.98:                               ;   in Loop: Header=BB110_96 Depth=2
	v_add_u32_e32 v14, 1, v14
	v_and_b32_e32 v14, 63, v14
	s_mov_b64 s[24:25], -1
                                        ; implicit-def: $vgpr16
; %bb.99:                               ;   in Loop: Header=BB110_96 Depth=2
	s_andn2_saveexec_b64 s[26:27], s[26:27]
	s_cbranch_execz .LBB110_103
; %bb.100:                              ;   in Loop: Header=BB110_96 Depth=2
	v_pk_mov_b32 v[18:19], s[2:3], s[2:3] op_sel:[0,1]
	ds_cmpst_rtn_b64 v[18:19], v16, v[18:19], v[6:7]
	s_mov_b64 s[28:29], -1
	s_waitcnt lgkmcnt(0)
	v_cmp_eq_u64_e32 vcc, s[2:3], v[18:19]
	s_and_saveexec_b64 s[30:31], vcc
	s_cbranch_execz .LBB110_102
; %bb.101:                              ;   in Loop: Header=BB110_96 Depth=2
	v_mad_u64_u32 v[16:17], s[28:29], v14, 24, v[16:17]
	ds_add_f64 v16, v[12:13] offset:528
	s_xor_b64 s[28:29], exec, -1
.LBB110_102:                            ;   in Loop: Header=BB110_96 Depth=2
	s_or_b64 exec, exec, s[30:31]
	s_andn2_b64 s[24:25], s[24:25], exec
	s_and_b64 s[28:29], s[28:29], exec
	s_or_b64 s[24:25], s[24:25], s[28:29]
.LBB110_103:                            ;   in Loop: Header=BB110_96 Depth=2
	s_or_b64 exec, exec, s[26:27]
	s_and_b64 s[24:25], s[24:25], exec
                                        ; implicit-def: $vgpr16
.LBB110_104:                            ;   in Loop: Header=BB110_96 Depth=2
	s_andn2_saveexec_b64 s[22:23], s[22:23]
	s_cbranch_execz .LBB110_95
; %bb.105:                              ;   in Loop: Header=BB110_96 Depth=2
	v_mad_u64_u32 v[16:17], s[26:27], v14, 24, v[16:17]
	ds_add_f64 v16, v[12:13] offset:528
	s_andn2_b64 s[24:25], s[24:25], exec
	s_branch .LBB110_95
.LBB110_106:                            ;   in Loop: Header=BB110_70 Depth=1
	s_or_b64 exec, exec, s[20:21]
	s_waitcnt vmcnt(0)
	v_mul_f64 v[10:11], v[2:3], v[10:11]
	s_mov_b64 s[20:21], 0
	s_branch .LBB110_108
.LBB110_107:                            ;   in Loop: Header=BB110_108 Depth=2
	s_or_b64 exec, exec, s[22:23]
	s_xor_b64 s[22:23], s[24:25], -1
	s_and_b64 s[22:23], exec, s[22:23]
	s_or_b64 s[20:21], s[22:23], s[20:21]
	s_andn2_b64 exec, exec, s[20:21]
	s_cbranch_execz .LBB110_69
.LBB110_108:                            ;   Parent Loop BB110_70 Depth=1
                                        ; =>  This Inner Loop Header: Depth=2
	v_lshl_add_u32 v12, v8, 3, 0
	ds_read_b64 v[14:15], v12
                                        ; implicit-def: $sgpr24_sgpr25
	s_waitcnt lgkmcnt(0)
	v_cmp_ne_u64_e32 vcc, v[14:15], v[6:7]
	s_and_saveexec_b64 s[22:23], vcc
	s_xor_b64 s[22:23], exec, s[22:23]
	s_cbranch_execz .LBB110_116
; %bb.109:                              ;   in Loop: Header=BB110_108 Depth=2
	v_cmp_ne_u64_e32 vcc, s[2:3], v[14:15]
                                        ; implicit-def: $sgpr24_sgpr25
	s_and_saveexec_b64 s[26:27], vcc
	s_xor_b64 s[26:27], exec, s[26:27]
; %bb.110:                              ;   in Loop: Header=BB110_108 Depth=2
	v_add_u32_e32 v8, 1, v8
	v_and_b32_e32 v8, 63, v8
	s_mov_b64 s[24:25], -1
                                        ; implicit-def: $vgpr12
; %bb.111:                              ;   in Loop: Header=BB110_108 Depth=2
	s_andn2_saveexec_b64 s[26:27], s[26:27]
	s_cbranch_execz .LBB110_115
; %bb.112:                              ;   in Loop: Header=BB110_108 Depth=2
	v_pk_mov_b32 v[14:15], s[2:3], s[2:3] op_sel:[0,1]
	ds_cmpst_rtn_b64 v[14:15], v12, v[14:15], v[6:7]
	s_mov_b64 s[28:29], -1
	s_waitcnt lgkmcnt(0)
	v_cmp_eq_u64_e32 vcc, s[2:3], v[14:15]
	s_and_saveexec_b64 s[30:31], vcc
	s_cbranch_execz .LBB110_114
; %bb.113:                              ;   in Loop: Header=BB110_108 Depth=2
	v_mad_u64_u32 v[12:13], s[28:29], v8, 24, v[12:13]
	ds_add_f64 v12, v[10:11] offset:536
	s_xor_b64 s[28:29], exec, -1
.LBB110_114:                            ;   in Loop: Header=BB110_108 Depth=2
	s_or_b64 exec, exec, s[30:31]
	s_andn2_b64 s[24:25], s[24:25], exec
	s_and_b64 s[28:29], s[28:29], exec
	s_or_b64 s[24:25], s[24:25], s[28:29]
.LBB110_115:                            ;   in Loop: Header=BB110_108 Depth=2
	s_or_b64 exec, exec, s[26:27]
	s_and_b64 s[24:25], s[24:25], exec
                                        ; implicit-def: $vgpr12
.LBB110_116:                            ;   in Loop: Header=BB110_108 Depth=2
	s_andn2_saveexec_b64 s[22:23], s[22:23]
	s_cbranch_execz .LBB110_107
; %bb.117:                              ;   in Loop: Header=BB110_108 Depth=2
	v_mad_u64_u32 v[12:13], s[26:27], v8, 24, v[12:13]
	ds_add_f64 v12, v[10:11] offset:536
	s_andn2_b64 s[24:25], s[24:25], exec
	s_branch .LBB110_107
.LBB110_118:
	s_or_b64 exec, exec, s[14:15]
.LBB110_119:
	s_waitcnt lgkmcnt(0)
	s_barrier
	s_and_saveexec_b64 s[8:9], s[0:1]
	s_cbranch_execz .LBB110_122
; %bb.120:
	s_waitcnt vmcnt(0)
	ds_read_b64 v[2:3], v1
	s_waitcnt lgkmcnt(0)
	v_cmp_gt_i64_e32 vcc, s[2:3], v[2:3]
	s_and_b64 exec, exec, vcc
	s_cbranch_execz .LBB110_122
; %bb.121:
	s_load_dwordx4 s[0:3], s[4:5], 0x80
	s_lshl_b64 s[6:7], s[6:7], 3
	v_mov_b32_e32 v1, 0
	ds_read2_b64 v[4:7], v1 offset1:1
	s_waitcnt lgkmcnt(0)
	s_add_u32 s6, s0, s6
	s_addc_u32 s7, s1, s7
	s_load_dwordx2 s[8:9], s[6:7], 0x0
	s_load_dwordx2 s[0:1], s[4:5], 0x90
	v_cmp_gt_i64_e32 vcc, v[2:3], v[4:5]
	v_cndmask_b32_e64 v4, 0, 1, vcc
	ds_read2_b64 v[8:11], v1 offset0:2 offset1:3
	s_waitcnt lgkmcnt(0)
	s_sub_u32 s5, s8, s18
	s_subb_u32 s6, s9, 0
	v_mov_b32_e32 v5, s6
	v_add_co_u32_e32 v4, vcc, s5, v4
	v_addc_co_u32_e32 v5, vcc, 0, v5, vcc
	v_cmp_gt_i64_e32 vcc, v[2:3], v[6:7]
	v_cndmask_b32_e64 v6, 0, 1, vcc
	v_add_co_u32_e32 v4, vcc, v4, v6
	v_addc_co_u32_e32 v5, vcc, 0, v5, vcc
	v_cmp_gt_i64_e32 vcc, v[2:3], v[8:9]
	v_cndmask_b32_e64 v6, 0, 1, vcc
	v_add_co_u32_e32 v8, vcc, v4, v6
	v_addc_co_u32_e32 v9, vcc, 0, v5, vcc
	ds_read2_b64 v[4:7], v1 offset0:4 offset1:5
	v_cmp_gt_i64_e32 vcc, v[2:3], v[10:11]
	v_cndmask_b32_e64 v10, 0, 1, vcc
	v_add_co_u32_e32 v12, vcc, v8, v10
	v_addc_co_u32_e32 v13, vcc, 0, v9, vcc
	ds_read2_b64 v[8:11], v1 offset0:6 offset1:7
	s_waitcnt lgkmcnt(1)
	v_cmp_gt_i64_e32 vcc, v[2:3], v[4:5]
	v_cndmask_b32_e64 v4, 0, 1, vcc
	v_add_co_u32_e32 v4, vcc, v12, v4
	v_addc_co_u32_e32 v5, vcc, 0, v13, vcc
	v_cmp_gt_i64_e32 vcc, v[2:3], v[6:7]
	v_cndmask_b32_e64 v6, 0, 1, vcc
	v_add_co_u32_e32 v4, vcc, v4, v6
	v_addc_co_u32_e32 v5, vcc, 0, v5, vcc
	s_waitcnt lgkmcnt(0)
	v_cmp_gt_i64_e32 vcc, v[2:3], v[8:9]
	v_cndmask_b32_e64 v6, 0, 1, vcc
	v_add_co_u32_e32 v8, vcc, v4, v6
	v_addc_co_u32_e32 v9, vcc, 0, v5, vcc
	ds_read2_b64 v[4:7], v1 offset0:8 offset1:9
	v_cmp_gt_i64_e32 vcc, v[2:3], v[10:11]
	v_cndmask_b32_e64 v10, 0, 1, vcc
	v_add_co_u32_e32 v12, vcc, v8, v10
	v_addc_co_u32_e32 v13, vcc, 0, v9, vcc
	ds_read2_b64 v[8:11], v1 offset0:10 offset1:11
	s_waitcnt lgkmcnt(1)
	v_cmp_gt_i64_e32 vcc, v[2:3], v[4:5]
	v_cndmask_b32_e64 v4, 0, 1, vcc
	v_add_co_u32_e32 v4, vcc, v12, v4
	v_addc_co_u32_e32 v5, vcc, 0, v13, vcc
	v_cmp_gt_i64_e32 vcc, v[2:3], v[6:7]
	v_cndmask_b32_e64 v6, 0, 1, vcc
	v_add_co_u32_e32 v4, vcc, v4, v6
	v_addc_co_u32_e32 v5, vcc, 0, v5, vcc
	s_waitcnt lgkmcnt(0)
	;; [unrolled: 20-line block ×15, first 2 shown]
	v_cmp_gt_i64_e32 vcc, v[2:3], v[8:9]
	v_cndmask_b32_e64 v5, 0, 1, vcc
	v_add_co_u32_e32 v1, vcc, v1, v5
	v_addc_co_u32_e32 v5, vcc, 0, v4, vcc
	v_cmp_gt_i64_e32 vcc, v[2:3], v[10:11]
	v_cndmask_b32_e64 v4, 0, 1, vcc
	v_add_co_u32_e32 v4, vcc, v1, v4
	v_addc_co_u32_e32 v5, vcc, 0, v5, vcc
	v_add_co_u32_e32 v2, vcc, s18, v2
	v_addc_co_u32_e32 v3, vcc, 0, v3, vcc
	v_lshlrev_b64 v[6:7], 3, v[4:5]
	s_add_i32 s4, 0, 0x200
	v_mov_b32_e32 v1, s3
	v_add_co_u32_e32 v6, vcc, s2, v6
	s_cmp_eq_u32 s33, 0
	v_addc_co_u32_e32 v7, vcc, v1, v7, vcc
	global_store_dwordx2 v[6:7], v[2:3], off
	v_lshlrev_b32_e32 v2, 2, v0
	v_lshlrev_b32_e32 v3, 5, v0
	v_mov_b32_e32 v10, s1
	s_cselect_b32 s1, 1, 2
	s_cselect_b32 s2, 2, 1
	v_add_u32_e32 v0, 0, v3
	v_add_u32_e32 v6, s4, v3
	v_or_b32_e32 v3, s1, v2
	v_or_b32_e32 v2, s2, v2
	v_lshl_add_u32 v3, v3, 3, 0
	v_lshl_add_u32 v2, v2, 3, 0
	ds_read_b64 v[0:1], v0 offset:512
	v_lshlrev_b64 v[8:9], 5, v[4:5]
	ds_read_b64 v[4:5], v2 offset:512
	ds_read_b64 v[2:3], v3 offset:512
	;; [unrolled: 1-line block ×3, first 2 shown]
	v_add_co_u32_e32 v8, vcc, s0, v8
	v_addc_co_u32_e32 v9, vcc, v10, v9, vcc
	s_waitcnt lgkmcnt(1)
	global_store_dwordx4 v[8:9], v[0:3], off
	s_waitcnt lgkmcnt(0)
	global_store_dwordx4 v[8:9], v[4:7], off offset:16
.LBB110_122:
	s_endpgm
	.section	.rodata,"a",@progbits
	.p2align	6, 0x0
	.amdhsa_kernel _ZN9rocsparseL30bsrgemm_fill_block_per_row_2x2ILj256ELj16ELj64ELj137ElldEEv20rocsparse_direction_T4_S2_PKS2_S4_NS_24const_host_device_scalarIT5_EEPKT3_S4_PKS6_SA_S4_SC_S7_SA_S4_SC_SA_PS2_PS6_21rocsparse_index_base_SF_SF_SF_bbb
		.amdhsa_group_segment_fixed_size 0
		.amdhsa_private_segment_fixed_size 0
		.amdhsa_kernarg_size 172
		.amdhsa_user_sgpr_count 6
		.amdhsa_user_sgpr_private_segment_buffer 1
		.amdhsa_user_sgpr_dispatch_ptr 0
		.amdhsa_user_sgpr_queue_ptr 0
		.amdhsa_user_sgpr_kernarg_segment_ptr 1
		.amdhsa_user_sgpr_dispatch_id 0
		.amdhsa_user_sgpr_flat_scratch_init 0
		.amdhsa_user_sgpr_kernarg_preload_length 0
		.amdhsa_user_sgpr_kernarg_preload_offset 0
		.amdhsa_user_sgpr_private_segment_size 0
		.amdhsa_uses_dynamic_stack 0
		.amdhsa_system_sgpr_private_segment_wavefront_offset 0
		.amdhsa_system_sgpr_workgroup_id_x 1
		.amdhsa_system_sgpr_workgroup_id_y 0
		.amdhsa_system_sgpr_workgroup_id_z 0
		.amdhsa_system_sgpr_workgroup_info 0
		.amdhsa_system_vgpr_workitem_id 0
		.amdhsa_next_free_vgpr 44
		.amdhsa_next_free_sgpr 51
		.amdhsa_accum_offset 44
		.amdhsa_reserve_vcc 1
		.amdhsa_reserve_flat_scratch 0
		.amdhsa_float_round_mode_32 0
		.amdhsa_float_round_mode_16_64 0
		.amdhsa_float_denorm_mode_32 3
		.amdhsa_float_denorm_mode_16_64 3
		.amdhsa_dx10_clamp 1
		.amdhsa_ieee_mode 1
		.amdhsa_fp16_overflow 0
		.amdhsa_tg_split 0
		.amdhsa_exception_fp_ieee_invalid_op 0
		.amdhsa_exception_fp_denorm_src 0
		.amdhsa_exception_fp_ieee_div_zero 0
		.amdhsa_exception_fp_ieee_overflow 0
		.amdhsa_exception_fp_ieee_underflow 0
		.amdhsa_exception_fp_ieee_inexact 0
		.amdhsa_exception_int_div_zero 0
	.end_amdhsa_kernel
	.section	.text._ZN9rocsparseL30bsrgemm_fill_block_per_row_2x2ILj256ELj16ELj64ELj137ElldEEv20rocsparse_direction_T4_S2_PKS2_S4_NS_24const_host_device_scalarIT5_EEPKT3_S4_PKS6_SA_S4_SC_S7_SA_S4_SC_SA_PS2_PS6_21rocsparse_index_base_SF_SF_SF_bbb,"axG",@progbits,_ZN9rocsparseL30bsrgemm_fill_block_per_row_2x2ILj256ELj16ELj64ELj137ElldEEv20rocsparse_direction_T4_S2_PKS2_S4_NS_24const_host_device_scalarIT5_EEPKT3_S4_PKS6_SA_S4_SC_S7_SA_S4_SC_SA_PS2_PS6_21rocsparse_index_base_SF_SF_SF_bbb,comdat
.Lfunc_end110:
	.size	_ZN9rocsparseL30bsrgemm_fill_block_per_row_2x2ILj256ELj16ELj64ELj137ElldEEv20rocsparse_direction_T4_S2_PKS2_S4_NS_24const_host_device_scalarIT5_EEPKT3_S4_PKS6_SA_S4_SC_S7_SA_S4_SC_SA_PS2_PS6_21rocsparse_index_base_SF_SF_SF_bbb, .Lfunc_end110-_ZN9rocsparseL30bsrgemm_fill_block_per_row_2x2ILj256ELj16ELj64ELj137ElldEEv20rocsparse_direction_T4_S2_PKS2_S4_NS_24const_host_device_scalarIT5_EEPKT3_S4_PKS6_SA_S4_SC_S7_SA_S4_SC_SA_PS2_PS6_21rocsparse_index_base_SF_SF_SF_bbb
                                        ; -- End function
	.section	.AMDGPU.csdata,"",@progbits
; Kernel info:
; codeLenInByte = 5160
; NumSgprs: 55
; NumVgprs: 44
; NumAgprs: 0
; TotalNumVgprs: 44
; ScratchSize: 0
; MemoryBound: 0
; FloatMode: 240
; IeeeMode: 1
; LDSByteSize: 0 bytes/workgroup (compile time only)
; SGPRBlocks: 6
; VGPRBlocks: 5
; NumSGPRsForWavesPerEU: 55
; NumVGPRsForWavesPerEU: 44
; AccumOffset: 44
; Occupancy: 8
; WaveLimiterHint : 1
; COMPUTE_PGM_RSRC2:SCRATCH_EN: 0
; COMPUTE_PGM_RSRC2:USER_SGPR: 6
; COMPUTE_PGM_RSRC2:TRAP_HANDLER: 0
; COMPUTE_PGM_RSRC2:TGID_X_EN: 1
; COMPUTE_PGM_RSRC2:TGID_Y_EN: 0
; COMPUTE_PGM_RSRC2:TGID_Z_EN: 0
; COMPUTE_PGM_RSRC2:TIDIG_COMP_CNT: 0
; COMPUTE_PGM_RSRC3_GFX90A:ACCUM_OFFSET: 10
; COMPUTE_PGM_RSRC3_GFX90A:TG_SPLIT: 0
	.section	.text._ZN9rocsparseL30bsrgemm_fill_block_per_row_2x2ILj256ELj16ELj128ELj137ElldEEv20rocsparse_direction_T4_S2_PKS2_S4_NS_24const_host_device_scalarIT5_EEPKT3_S4_PKS6_SA_S4_SC_S7_SA_S4_SC_SA_PS2_PS6_21rocsparse_index_base_SF_SF_SF_bbb,"axG",@progbits,_ZN9rocsparseL30bsrgemm_fill_block_per_row_2x2ILj256ELj16ELj128ELj137ElldEEv20rocsparse_direction_T4_S2_PKS2_S4_NS_24const_host_device_scalarIT5_EEPKT3_S4_PKS6_SA_S4_SC_S7_SA_S4_SC_SA_PS2_PS6_21rocsparse_index_base_SF_SF_SF_bbb,comdat
	.globl	_ZN9rocsparseL30bsrgemm_fill_block_per_row_2x2ILj256ELj16ELj128ELj137ElldEEv20rocsparse_direction_T4_S2_PKS2_S4_NS_24const_host_device_scalarIT5_EEPKT3_S4_PKS6_SA_S4_SC_S7_SA_S4_SC_SA_PS2_PS6_21rocsparse_index_base_SF_SF_SF_bbb ; -- Begin function _ZN9rocsparseL30bsrgemm_fill_block_per_row_2x2ILj256ELj16ELj128ELj137ElldEEv20rocsparse_direction_T4_S2_PKS2_S4_NS_24const_host_device_scalarIT5_EEPKT3_S4_PKS6_SA_S4_SC_S7_SA_S4_SC_SA_PS2_PS6_21rocsparse_index_base_SF_SF_SF_bbb
	.p2align	8
	.type	_ZN9rocsparseL30bsrgemm_fill_block_per_row_2x2ILj256ELj16ELj128ELj137ElldEEv20rocsparse_direction_T4_S2_PKS2_S4_NS_24const_host_device_scalarIT5_EEPKT3_S4_PKS6_SA_S4_SC_S7_SA_S4_SC_SA_PS2_PS6_21rocsparse_index_base_SF_SF_SF_bbb,@function
_ZN9rocsparseL30bsrgemm_fill_block_per_row_2x2ILj256ELj16ELj128ELj137ElldEEv20rocsparse_direction_T4_S2_PKS2_S4_NS_24const_host_device_scalarIT5_EEPKT3_S4_PKS6_SA_S4_SC_S7_SA_S4_SC_SA_PS2_PS6_21rocsparse_index_base_SF_SF_SF_bbb: ; @_ZN9rocsparseL30bsrgemm_fill_block_per_row_2x2ILj256ELj16ELj128ELj137ElldEEv20rocsparse_direction_T4_S2_PKS2_S4_NS_24const_host_device_scalarIT5_EEPKT3_S4_PKS6_SA_S4_SC_S7_SA_S4_SC_SA_PS2_PS6_21rocsparse_index_base_SF_SF_SF_bbb
; %bb.0:
	s_load_dword s7, s[4:5], 0xa8
	s_load_dwordx2 s[8:9], s[4:5], 0x28
	s_load_dwordx2 s[0:1], s[4:5], 0x60
	s_waitcnt lgkmcnt(0)
	s_and_b32 s10, 1, s7
	s_bitcmp1_b32 s7, 16
	s_cselect_b64 s[2:3], -1, 0
	s_cmp_eq_u32 s10, 1
	s_cselect_b64 s[44:45], -1, 0
	s_and_b64 s[10:11], s[44:45], exec
	s_cselect_b32 s11, s9, 0
	s_cselect_b32 s10, s8, 0
	s_xor_b64 s[12:13], s[44:45], -1
	s_or_b64 s[12:13], s[12:13], s[2:3]
	s_and_b64 vcc, exec, s[12:13]
	v_pk_mov_b32 v[4:5], s[10:11], s[10:11] op_sel:[0,1]
	s_cbranch_vccnz .LBB111_2
; %bb.1:
	v_pk_mov_b32 v[2:3], s[8:9], s[8:9] op_sel:[0,1]
	flat_load_dwordx2 v[4:5], v[2:3]
.LBB111_2:
	s_bitcmp1_b32 s7, 8
	s_cselect_b64 s[34:35], -1, 0
	s_and_b64 s[8:9], s[34:35], exec
	s_cselect_b32 s9, s1, 0
	s_cselect_b32 s8, s0, 0
	s_xor_b64 s[10:11], s[34:35], -1
	s_or_b64 s[2:3], s[10:11], s[2:3]
	s_and_b64 vcc, exec, s[2:3]
	v_pk_mov_b32 v[2:3], s[8:9], s[8:9] op_sel:[0,1]
	s_cbranch_vccnz .LBB111_4
; %bb.3:
	v_pk_mov_b32 v[2:3], s[0:1], s[0:1] op_sel:[0,1]
	flat_load_dwordx2 v[2:3], v[2:3]
.LBB111_4:
	s_load_dwordx4 s[28:31], s[4:5], 0x98
	s_load_dwordx2 s[2:3], s[4:5], 0x10
	s_movk_i32 s0, 0x80
	v_cmp_gt_u32_e64 s[0:1], s0, v0
	v_lshl_add_u32 v1, v0, 3, 0
	s_and_saveexec_b64 s[8:9], s[0:1]
	s_cbranch_execz .LBB111_6
; %bb.5:
	s_waitcnt lgkmcnt(0)
	v_pk_mov_b32 v[6:7], s[2:3], s[2:3] op_sel:[0,1]
	ds_write_b64 v1, v[6:7]
.LBB111_6:
	s_or_b64 exec, exec, s[8:9]
	s_load_dwordx4 s[24:27], s[4:5], 0x88
	s_load_dwordx8 s[8:15], s[4:5], 0x68
	s_load_dwordx4 s[36:39], s[4:5], 0x50
	s_load_dwordx4 s[40:43], s[4:5], 0x18
	s_load_dwordx8 s[16:23], s[4:5], 0x30
	s_movk_i32 s7, 0x200
	v_cmp_gt_u32_e32 vcc, s7, v0
	s_and_saveexec_b64 s[46:47], vcc
	s_cbranch_execz .LBB111_9
; %bb.7:
	v_mov_b32_e32 v6, 0
	v_add_u32_e32 v8, 0x400, v1
	v_or_b32_e32 v9, 0xffffff00, v0
	s_mov_b64 s[48:49], 0
	v_mov_b32_e32 v7, v6
.LBB111_8:                              ; =>This Inner Loop Header: Depth=1
	v_add_co_u32_e32 v9, vcc, 0x100, v9
	s_xor_b64 s[50:51], vcc, -1
	s_and_b64 s[50:51], exec, s[50:51]
	ds_write_b64 v8, v[6:7]
	s_or_b64 s[48:49], s[50:51], s[48:49]
	v_add_u32_e32 v8, 0x800, v8
	s_andn2_b64 exec, exec, s[48:49]
	s_cbranch_execnz .LBB111_8
.LBB111_9:
	s_or_b64 exec, exec, s[46:47]
	s_waitcnt lgkmcnt(0)
	s_cmp_lg_u64 s[42:43], 0
	s_mov_b32 s7, 0
	s_barrier
	s_cbranch_scc0 .LBB111_11
; %bb.10:
	s_load_dwordx2 s[40:41], s[40:41], 0x0
	s_waitcnt lgkmcnt(0)
	s_lshl_b64 s[40:41], s[40:41], 3
	s_add_u32 s33, s42, s40
	s_addc_u32 s40, s43, s41
	s_lshl_b64 s[6:7], s[6:7], 3
	s_add_u32 s6, s33, s6
	s_addc_u32 s7, s40, s7
	s_load_dwordx2 s[6:7], s[6:7], 0x0
.LBB111_11:
	s_nop 0
	s_load_dword s33, s[4:5], 0x0
	s_andn2_b64 vcc, exec, s[44:45]
	s_cbranch_vccnz .LBB111_67
; %bb.12:
	s_waitcnt lgkmcnt(0)
	s_lshl_b64 s[4:5], s[6:7], 3
	s_add_u32 s4, s16, s4
	s_addc_u32 s5, s17, s5
	s_load_dwordx4 s[44:47], s[4:5], 0x0
	v_lshrrev_b32_e32 v6, 4, v0
	v_subrev_co_u32_e32 v6, vcc, s28, v6
	v_subb_co_u32_e64 v7, s[16:17], 0, 0, vcc
	s_waitcnt lgkmcnt(0)
	s_sub_u32 s4, s46, s28
	v_mov_b32_e32 v8, s45
	v_add_co_u32_e32 v6, vcc, s44, v6
	s_subb_u32 s5, s47, 0
	v_addc_co_u32_e32 v7, vcc, v8, v7, vcc
	s_mov_b32 s40, 0
	v_cmp_gt_i64_e32 vcc, s[4:5], v[6:7]
	s_and_saveexec_b64 s[16:17], vcc
	s_cbranch_execz .LBB111_66
; %bb.13:
	v_and_b32_e32 v8, 15, v0
	v_subrev_co_u32_e32 v23, vcc, s29, v8
	s_mov_b32 s56, s28
	s_cmp_eq_u32 s33, 0
	s_mov_b32 s57, s29
	v_subb_co_u32_e64 v37, s[28:29], 0, 0, vcc
	s_mov_b32 s58, s40
	s_cselect_b32 s59, 1, 2
	s_cselect_b32 s60, 2, 1
	s_mov_b64 s[28:29], 0
	v_mov_b32_e32 v40, s19
	v_mov_b32_e32 v41, s40
	;; [unrolled: 1-line block ×4, first 2 shown]
	s_branch .LBB111_15
.LBB111_14:                             ;   in Loop: Header=BB111_15 Depth=1
	s_or_b64 exec, exec, s[40:41]
	v_add_co_u32_e32 v6, vcc, 16, v6
	v_addc_co_u32_e32 v7, vcc, 0, v7, vcc
	v_cmp_le_i64_e32 vcc, s[4:5], v[6:7]
	s_or_b64 s[28:29], vcc, s[28:29]
	s_andn2_b64 exec, exec, s[28:29]
	s_cbranch_execz .LBB111_66
.LBB111_15:                             ; =>This Loop Header: Depth=1
                                        ;     Child Loop BB111_18 Depth 2
                                        ;       Child Loop BB111_20 Depth 3
                                        ;       Child Loop BB111_32 Depth 3
	;; [unrolled: 1-line block ×4, first 2 shown]
	v_lshlrev_b64 v[8:9], 3, v[6:7]
	v_add_co_u32_e32 v8, vcc, s18, v8
	v_addc_co_u32_e32 v9, vcc, v40, v9, vcc
	global_load_dwordx2 v[8:9], v[8:9], off
	s_waitcnt vmcnt(0)
	v_subrev_co_u32_e32 v8, vcc, s56, v8
	v_subb_co_u32_e32 v9, vcc, v9, v41, vcc
	v_lshlrev_b64 v[8:9], 3, v[8:9]
	v_add_co_u32_e32 v8, vcc, s22, v8
	v_addc_co_u32_e32 v9, vcc, v42, v9, vcc
	global_load_dwordx4 v[10:13], v[8:9], off
	s_waitcnt vmcnt(0)
	v_subrev_co_u32_e32 v8, vcc, s57, v12
	v_subb_co_u32_e32 v9, vcc, v13, v43, vcc
	v_add_co_u32_e32 v10, vcc, v10, v23
	v_addc_co_u32_e32 v11, vcc, v11, v37, vcc
	v_cmp_lt_i64_e32 vcc, v[10:11], v[8:9]
	s_and_saveexec_b64 s[40:41], vcc
	s_cbranch_execz .LBB111_14
; %bb.16:                               ;   in Loop: Header=BB111_15 Depth=1
	v_lshlrev_b64 v[12:13], 2, v[6:7]
	v_lshlrev_b64 v[16:17], 5, v[6:7]
	v_or_b32_e32 v15, 0, v13
	v_or_b32_e32 v14, s59, v12
	;; [unrolled: 1-line block ×4, first 2 shown]
	v_mov_b32_e32 v18, s21
	v_add_co_u32_e32 v16, vcc, s20, v16
	v_addc_co_u32_e32 v17, vcc, v18, v17, vcc
	v_lshlrev_b64 v[12:13], 3, v[12:13]
	v_add_co_u32_e32 v12, vcc, s20, v12
	v_addc_co_u32_e32 v13, vcc, v18, v13, vcc
	v_lshlrev_b64 v[14:15], 3, v[14:15]
	v_add_co_u32_e32 v14, vcc, s20, v14
	v_addc_co_u32_e32 v15, vcc, v18, v15, vcc
	global_load_dwordx2 v[18:19], v[16:17], off offset:24
	global_load_dwordx2 v[20:21], v[12:13], off
	global_load_dwordx2 v[24:25], v[14:15], off
	;; [unrolled: 1-line block ×3, first 2 shown]
	s_mov_b64 s[42:43], 0
	s_waitcnt vmcnt(3)
	v_mul_f64 v[12:13], v[4:5], v[18:19]
	s_waitcnt vmcnt(2)
	v_mul_f64 v[14:15], v[4:5], v[20:21]
	;; [unrolled: 2-line block ×4, first 2 shown]
	s_branch .LBB111_18
.LBB111_17:                             ;   in Loop: Header=BB111_18 Depth=2
	s_or_b64 exec, exec, s[44:45]
	v_add_co_u32_e32 v10, vcc, 16, v10
	v_addc_co_u32_e32 v11, vcc, 0, v11, vcc
	v_cmp_ge_i64_e32 vcc, v[10:11], v[8:9]
	s_or_b64 s[42:43], vcc, s[42:43]
	s_andn2_b64 exec, exec, s[42:43]
	s_cbranch_execz .LBB111_14
.LBB111_18:                             ;   Parent Loop BB111_15 Depth=1
                                        ; =>  This Loop Header: Depth=2
                                        ;       Child Loop BB111_20 Depth 3
                                        ;       Child Loop BB111_32 Depth 3
	;; [unrolled: 1-line block ×4, first 2 shown]
	v_lshlrev_b64 v[20:21], 3, v[10:11]
	v_mov_b32_e32 v22, s37
	v_add_co_u32_e32 v20, vcc, s36, v20
	v_addc_co_u32_e32 v21, vcc, v22, v21, vcc
	v_lshlrev_b64 v[24:25], 2, v[10:11]
	v_lshlrev_b64 v[28:29], 5, v[10:11]
	v_or_b32_e32 v27, 0, v25
	v_or_b32_e32 v26, s59, v24
	;; [unrolled: 1-line block ×4, first 2 shown]
	v_mov_b32_e32 v22, s39
	v_add_co_u32_e32 v32, vcc, s38, v28
	v_addc_co_u32_e32 v33, vcc, v22, v29, vcc
	v_lshlrev_b64 v[24:25], 3, v[24:25]
	global_load_dwordx2 v[20:21], v[20:21], off
	v_add_co_u32_e32 v24, vcc, s38, v24
	v_lshlrev_b64 v[26:27], 3, v[26:27]
	v_addc_co_u32_e32 v25, vcc, v22, v25, vcc
	global_load_dwordx2 v[28:29], v[32:33], off
	global_load_dwordx2 v[30:31], v[24:25], off
	v_add_co_u32_e32 v24, vcc, s38, v26
	v_addc_co_u32_e32 v25, vcc, v22, v27, vcc
	global_load_dwordx2 v[24:25], v[24:25], off
	s_nop 0
	global_load_dwordx2 v[26:27], v[32:33], off offset:24
	v_mov_b32_e32 v22, s58
	s_mov_b64 s[44:45], 0
	s_waitcnt vmcnt(4)
	v_subrev_co_u32_e32 v20, vcc, s57, v20
	v_subb_co_u32_e32 v21, vcc, v21, v22, vcc
	v_lshl_add_u32 v22, v20, 3, v20
	v_and_b32_e32 v22, 0x7f, v22
	v_pk_mov_b32 v[34:35], v[22:23], v[22:23] op_sel:[0,1]
	s_waitcnt vmcnt(2)
	v_mul_f64 v[32:33], v[16:17], v[30:31]
	v_fmac_f64_e32 v[32:33], v[18:19], v[28:29]
	s_branch .LBB111_20
.LBB111_19:                             ;   in Loop: Header=BB111_20 Depth=3
	s_or_b64 exec, exec, s[46:47]
	s_xor_b64 s[46:47], s[48:49], -1
	s_and_b64 s[46:47], exec, s[46:47]
	s_or_b64 s[44:45], s[46:47], s[44:45]
	s_andn2_b64 exec, exec, s[44:45]
	s_cbranch_execz .LBB111_30
.LBB111_20:                             ;   Parent Loop BB111_15 Depth=1
                                        ;     Parent Loop BB111_18 Depth=2
                                        ; =>    This Inner Loop Header: Depth=3
	v_lshl_add_u32 v36, v34, 3, 0
	ds_read_b64 v[38:39], v36
                                        ; implicit-def: $sgpr48_sgpr49
	s_waitcnt lgkmcnt(0)
	v_cmp_ne_u64_e32 vcc, v[38:39], v[20:21]
	s_and_saveexec_b64 s[46:47], vcc
	s_xor_b64 s[46:47], exec, s[46:47]
	s_cbranch_execz .LBB111_28
; %bb.21:                               ;   in Loop: Header=BB111_20 Depth=3
	v_cmp_ne_u64_e32 vcc, s[2:3], v[38:39]
                                        ; implicit-def: $sgpr48_sgpr49
	s_and_saveexec_b64 s[50:51], vcc
	s_xor_b64 s[50:51], exec, s[50:51]
; %bb.22:                               ;   in Loop: Header=BB111_20 Depth=3
	v_add_u32_e32 v34, 1, v34
	v_and_b32_e32 v34, 0x7f, v34
	s_mov_b64 s[48:49], -1
                                        ; implicit-def: $vgpr36
; %bb.23:                               ;   in Loop: Header=BB111_20 Depth=3
	s_andn2_saveexec_b64 s[50:51], s[50:51]
	s_cbranch_execz .LBB111_27
; %bb.24:                               ;   in Loop: Header=BB111_20 Depth=3
	v_pk_mov_b32 v[38:39], s[2:3], s[2:3] op_sel:[0,1]
	ds_cmpst_rtn_b64 v[38:39], v36, v[38:39], v[20:21]
	s_mov_b64 s[52:53], -1
	s_waitcnt lgkmcnt(0)
	v_cmp_eq_u64_e32 vcc, s[2:3], v[38:39]
	s_and_saveexec_b64 s[54:55], vcc
	s_cbranch_execz .LBB111_26
; %bb.25:                               ;   in Loop: Header=BB111_20 Depth=3
	v_mad_u64_u32 v[38:39], s[52:53], v34, 24, v[36:37]
	ds_add_f64 v38, v[32:33] offset:1024
	s_xor_b64 s[52:53], exec, -1
.LBB111_26:                             ;   in Loop: Header=BB111_20 Depth=3
	s_or_b64 exec, exec, s[54:55]
	s_andn2_b64 s[48:49], s[48:49], exec
	s_and_b64 s[52:53], s[52:53], exec
	s_or_b64 s[48:49], s[48:49], s[52:53]
.LBB111_27:                             ;   in Loop: Header=BB111_20 Depth=3
	s_or_b64 exec, exec, s[50:51]
	s_and_b64 s[48:49], s[48:49], exec
                                        ; implicit-def: $vgpr36
.LBB111_28:                             ;   in Loop: Header=BB111_20 Depth=3
	s_andn2_saveexec_b64 s[46:47], s[46:47]
	s_cbranch_execz .LBB111_19
; %bb.29:                               ;   in Loop: Header=BB111_20 Depth=3
	v_mad_u64_u32 v[38:39], s[50:51], v34, 24, v[36:37]
	ds_add_f64 v38, v[32:33] offset:1024
	s_andn2_b64 s[48:49], s[48:49], exec
	s_branch .LBB111_19
.LBB111_30:                             ;   in Loop: Header=BB111_18 Depth=2
	s_or_b64 exec, exec, s[44:45]
	s_waitcnt vmcnt(0)
	v_mul_f64 v[32:33], v[16:17], v[26:27]
	v_fmac_f64_e32 v[32:33], v[18:19], v[24:25]
	s_mov_b64 s[44:45], 0
	v_pk_mov_b32 v[34:35], v[22:23], v[22:23] op_sel:[0,1]
	s_branch .LBB111_32
.LBB111_31:                             ;   in Loop: Header=BB111_32 Depth=3
	s_or_b64 exec, exec, s[46:47]
	s_xor_b64 s[46:47], s[48:49], -1
	s_and_b64 s[46:47], exec, s[46:47]
	s_or_b64 s[44:45], s[46:47], s[44:45]
	s_andn2_b64 exec, exec, s[44:45]
	s_cbranch_execz .LBB111_42
.LBB111_32:                             ;   Parent Loop BB111_15 Depth=1
                                        ;     Parent Loop BB111_18 Depth=2
                                        ; =>    This Inner Loop Header: Depth=3
	v_lshl_add_u32 v36, v34, 3, 0
	ds_read_b64 v[38:39], v36
                                        ; implicit-def: $sgpr48_sgpr49
	s_waitcnt lgkmcnt(0)
	v_cmp_ne_u64_e32 vcc, v[38:39], v[20:21]
	s_and_saveexec_b64 s[46:47], vcc
	s_xor_b64 s[46:47], exec, s[46:47]
	s_cbranch_execz .LBB111_40
; %bb.33:                               ;   in Loop: Header=BB111_32 Depth=3
	v_cmp_ne_u64_e32 vcc, s[2:3], v[38:39]
                                        ; implicit-def: $sgpr48_sgpr49
	s_and_saveexec_b64 s[50:51], vcc
	s_xor_b64 s[50:51], exec, s[50:51]
; %bb.34:                               ;   in Loop: Header=BB111_32 Depth=3
	v_add_u32_e32 v34, 1, v34
	v_and_b32_e32 v34, 0x7f, v34
	s_mov_b64 s[48:49], -1
                                        ; implicit-def: $vgpr36
; %bb.35:                               ;   in Loop: Header=BB111_32 Depth=3
	s_andn2_saveexec_b64 s[50:51], s[50:51]
	s_cbranch_execz .LBB111_39
; %bb.36:                               ;   in Loop: Header=BB111_32 Depth=3
	v_pk_mov_b32 v[38:39], s[2:3], s[2:3] op_sel:[0,1]
	ds_cmpst_rtn_b64 v[38:39], v36, v[38:39], v[20:21]
	s_mov_b64 s[52:53], -1
	s_waitcnt lgkmcnt(0)
	v_cmp_eq_u64_e32 vcc, s[2:3], v[38:39]
	s_and_saveexec_b64 s[54:55], vcc
	s_cbranch_execz .LBB111_38
; %bb.37:                               ;   in Loop: Header=BB111_32 Depth=3
	v_mad_u64_u32 v[38:39], s[52:53], v34, 24, v[36:37]
	ds_add_f64 v38, v[32:33] offset:1032
	s_xor_b64 s[52:53], exec, -1
.LBB111_38:                             ;   in Loop: Header=BB111_32 Depth=3
	s_or_b64 exec, exec, s[54:55]
	s_andn2_b64 s[48:49], s[48:49], exec
	s_and_b64 s[52:53], s[52:53], exec
	s_or_b64 s[48:49], s[48:49], s[52:53]
.LBB111_39:                             ;   in Loop: Header=BB111_32 Depth=3
	s_or_b64 exec, exec, s[50:51]
	s_and_b64 s[48:49], s[48:49], exec
                                        ; implicit-def: $vgpr36
.LBB111_40:                             ;   in Loop: Header=BB111_32 Depth=3
	s_andn2_saveexec_b64 s[46:47], s[46:47]
	s_cbranch_execz .LBB111_31
; %bb.41:                               ;   in Loop: Header=BB111_32 Depth=3
	v_mad_u64_u32 v[38:39], s[50:51], v34, 24, v[36:37]
	ds_add_f64 v38, v[32:33] offset:1032
	s_andn2_b64 s[48:49], s[48:49], exec
	s_branch .LBB111_31
.LBB111_42:                             ;   in Loop: Header=BB111_18 Depth=2
	s_or_b64 exec, exec, s[44:45]
	v_mul_f64 v[30:31], v[12:13], v[30:31]
	v_fmac_f64_e32 v[30:31], v[14:15], v[28:29]
	s_mov_b64 s[44:45], 0
	v_pk_mov_b32 v[28:29], v[22:23], v[22:23] op_sel:[0,1]
	s_branch .LBB111_44
.LBB111_43:                             ;   in Loop: Header=BB111_44 Depth=3
	s_or_b64 exec, exec, s[46:47]
	s_xor_b64 s[46:47], s[48:49], -1
	s_and_b64 s[46:47], exec, s[46:47]
	s_or_b64 s[44:45], s[46:47], s[44:45]
	s_andn2_b64 exec, exec, s[44:45]
	s_cbranch_execz .LBB111_54
.LBB111_44:                             ;   Parent Loop BB111_15 Depth=1
                                        ;     Parent Loop BB111_18 Depth=2
                                        ; =>    This Inner Loop Header: Depth=3
	v_lshl_add_u32 v32, v28, 3, 0
	ds_read_b64 v[34:35], v32
                                        ; implicit-def: $sgpr48_sgpr49
	s_waitcnt lgkmcnt(0)
	v_cmp_ne_u64_e32 vcc, v[34:35], v[20:21]
	s_and_saveexec_b64 s[46:47], vcc
	s_xor_b64 s[46:47], exec, s[46:47]
	s_cbranch_execz .LBB111_52
; %bb.45:                               ;   in Loop: Header=BB111_44 Depth=3
	v_cmp_ne_u64_e32 vcc, s[2:3], v[34:35]
                                        ; implicit-def: $sgpr48_sgpr49
	s_and_saveexec_b64 s[50:51], vcc
	s_xor_b64 s[50:51], exec, s[50:51]
; %bb.46:                               ;   in Loop: Header=BB111_44 Depth=3
	v_add_u32_e32 v28, 1, v28
	v_and_b32_e32 v28, 0x7f, v28
	s_mov_b64 s[48:49], -1
                                        ; implicit-def: $vgpr32
; %bb.47:                               ;   in Loop: Header=BB111_44 Depth=3
	s_andn2_saveexec_b64 s[50:51], s[50:51]
	s_cbranch_execz .LBB111_51
; %bb.48:                               ;   in Loop: Header=BB111_44 Depth=3
	v_pk_mov_b32 v[34:35], s[2:3], s[2:3] op_sel:[0,1]
	ds_cmpst_rtn_b64 v[34:35], v32, v[34:35], v[20:21]
	s_mov_b64 s[52:53], -1
	s_waitcnt lgkmcnt(0)
	v_cmp_eq_u64_e32 vcc, s[2:3], v[34:35]
	s_and_saveexec_b64 s[54:55], vcc
	s_cbranch_execz .LBB111_50
; %bb.49:                               ;   in Loop: Header=BB111_44 Depth=3
	v_mad_u64_u32 v[32:33], s[52:53], v28, 24, v[32:33]
	ds_add_f64 v32, v[30:31] offset:1040
	s_xor_b64 s[52:53], exec, -1
.LBB111_50:                             ;   in Loop: Header=BB111_44 Depth=3
	s_or_b64 exec, exec, s[54:55]
	s_andn2_b64 s[48:49], s[48:49], exec
	s_and_b64 s[52:53], s[52:53], exec
	s_or_b64 s[48:49], s[48:49], s[52:53]
.LBB111_51:                             ;   in Loop: Header=BB111_44 Depth=3
	s_or_b64 exec, exec, s[50:51]
	s_and_b64 s[48:49], s[48:49], exec
                                        ; implicit-def: $vgpr32
.LBB111_52:                             ;   in Loop: Header=BB111_44 Depth=3
	s_andn2_saveexec_b64 s[46:47], s[46:47]
	s_cbranch_execz .LBB111_43
; %bb.53:                               ;   in Loop: Header=BB111_44 Depth=3
	v_mad_u64_u32 v[32:33], s[50:51], v28, 24, v[32:33]
	ds_add_f64 v32, v[30:31] offset:1040
	s_andn2_b64 s[48:49], s[48:49], exec
	s_branch .LBB111_43
.LBB111_54:                             ;   in Loop: Header=BB111_18 Depth=2
	s_or_b64 exec, exec, s[44:45]
	v_mul_f64 v[26:27], v[12:13], v[26:27]
	v_fmac_f64_e32 v[26:27], v[14:15], v[24:25]
	s_mov_b64 s[44:45], 0
	s_branch .LBB111_56
.LBB111_55:                             ;   in Loop: Header=BB111_56 Depth=3
	s_or_b64 exec, exec, s[46:47]
	s_xor_b64 s[46:47], s[48:49], -1
	s_and_b64 s[46:47], exec, s[46:47]
	s_or_b64 s[44:45], s[46:47], s[44:45]
	s_andn2_b64 exec, exec, s[44:45]
	s_cbranch_execz .LBB111_17
.LBB111_56:                             ;   Parent Loop BB111_15 Depth=1
                                        ;     Parent Loop BB111_18 Depth=2
                                        ; =>    This Inner Loop Header: Depth=3
	v_lshl_add_u32 v24, v22, 3, 0
	ds_read_b64 v[28:29], v24
                                        ; implicit-def: $sgpr48_sgpr49
	s_waitcnt lgkmcnt(0)
	v_cmp_ne_u64_e32 vcc, v[28:29], v[20:21]
	s_and_saveexec_b64 s[46:47], vcc
	s_xor_b64 s[46:47], exec, s[46:47]
	s_cbranch_execz .LBB111_64
; %bb.57:                               ;   in Loop: Header=BB111_56 Depth=3
	v_cmp_ne_u64_e32 vcc, s[2:3], v[28:29]
                                        ; implicit-def: $sgpr48_sgpr49
	s_and_saveexec_b64 s[50:51], vcc
	s_xor_b64 s[50:51], exec, s[50:51]
; %bb.58:                               ;   in Loop: Header=BB111_56 Depth=3
	v_add_u32_e32 v22, 1, v22
	v_and_b32_e32 v22, 0x7f, v22
	s_mov_b64 s[48:49], -1
                                        ; implicit-def: $vgpr24
; %bb.59:                               ;   in Loop: Header=BB111_56 Depth=3
	s_andn2_saveexec_b64 s[50:51], s[50:51]
	s_cbranch_execz .LBB111_63
; %bb.60:                               ;   in Loop: Header=BB111_56 Depth=3
	v_pk_mov_b32 v[28:29], s[2:3], s[2:3] op_sel:[0,1]
	ds_cmpst_rtn_b64 v[28:29], v24, v[28:29], v[20:21]
	s_mov_b64 s[52:53], -1
	s_waitcnt lgkmcnt(0)
	v_cmp_eq_u64_e32 vcc, s[2:3], v[28:29]
	s_and_saveexec_b64 s[54:55], vcc
	s_cbranch_execz .LBB111_62
; %bb.61:                               ;   in Loop: Header=BB111_56 Depth=3
	v_mad_u64_u32 v[24:25], s[52:53], v22, 24, v[24:25]
	ds_add_f64 v24, v[26:27] offset:1048
	s_xor_b64 s[52:53], exec, -1
.LBB111_62:                             ;   in Loop: Header=BB111_56 Depth=3
	s_or_b64 exec, exec, s[54:55]
	s_andn2_b64 s[48:49], s[48:49], exec
	s_and_b64 s[52:53], s[52:53], exec
	s_or_b64 s[48:49], s[48:49], s[52:53]
.LBB111_63:                             ;   in Loop: Header=BB111_56 Depth=3
	s_or_b64 exec, exec, s[50:51]
	s_and_b64 s[48:49], s[48:49], exec
                                        ; implicit-def: $vgpr24
.LBB111_64:                             ;   in Loop: Header=BB111_56 Depth=3
	s_andn2_saveexec_b64 s[46:47], s[46:47]
	s_cbranch_execz .LBB111_55
; %bb.65:                               ;   in Loop: Header=BB111_56 Depth=3
	v_mad_u64_u32 v[24:25], s[50:51], v22, 24, v[24:25]
	ds_add_f64 v24, v[26:27] offset:1048
	s_andn2_b64 s[48:49], s[48:49], exec
	s_branch .LBB111_55
.LBB111_66:
	s_or_b64 exec, exec, s[16:17]
.LBB111_67:
	s_andn2_b64 vcc, exec, s[34:35]
	s_waitcnt lgkmcnt(0)
	s_barrier
	s_cbranch_vccnz .LBB111_120
; %bb.68:
	s_lshl_b64 s[4:5], s[6:7], 3
	s_add_u32 s4, s8, s4
	s_addc_u32 s5, s9, s5
	s_load_dwordx4 s[20:23], s[4:5], 0x0
	s_waitcnt vmcnt(0)
	v_subrev_co_u32_e32 v4, vcc, s31, v0
	v_subb_co_u32_e64 v5, s[8:9], 0, 0, vcc
	s_waitcnt lgkmcnt(0)
	s_sub_u32 s4, s22, s31
	v_mov_b32_e32 v6, s21
	v_add_co_u32_e32 v4, vcc, s20, v4
	s_subb_u32 s5, s23, 0
	v_addc_co_u32_e32 v5, vcc, v6, v5, vcc
	s_mov_b32 s18, 0
	v_cmp_gt_i64_e32 vcc, s[4:5], v[4:5]
	s_and_saveexec_b64 s[8:9], vcc
	s_cbranch_execz .LBB111_119
; %bb.69:
	s_cmp_eq_u32 s33, 0
	s_mov_b32 s38, s31
	s_cselect_b32 s31, 1, 2
	s_cselect_b32 s39, 2, 1
	s_mov_b64 s[16:17], 0
	v_mov_b32_e32 v9, s13
	v_mov_b32_e32 v24, s11
	;; [unrolled: 1-line block ×3, first 2 shown]
	s_branch .LBB111_71
.LBB111_70:                             ;   in Loop: Header=BB111_71 Depth=1
	s_or_b64 exec, exec, s[18:19]
	v_add_co_u32_e32 v4, vcc, 0x100, v4
	v_addc_co_u32_e32 v5, vcc, 0, v5, vcc
	v_cmp_le_i64_e32 vcc, s[4:5], v[4:5]
	s_or_b64 s[16:17], vcc, s[16:17]
	s_andn2_b64 exec, exec, s[16:17]
	s_cbranch_execz .LBB111_119
.LBB111_71:                             ; =>This Loop Header: Depth=1
                                        ;     Child Loop BB111_73 Depth 2
                                        ;     Child Loop BB111_85 Depth 2
	;; [unrolled: 1-line block ×4, first 2 shown]
	v_lshlrev_b64 v[6:7], 2, v[4:5]
	v_lshlrev_b64 v[12:13], 5, v[4:5]
	v_or_b32_e32 v11, 0, v7
	v_or_b32_e32 v10, s31, v6
	v_add_co_u32_e32 v16, vcc, s12, v12
	v_addc_co_u32_e32 v17, vcc, v9, v13, vcc
	v_lshlrev_b64 v[10:11], 3, v[10:11]
	v_add_co_u32_e32 v20, vcc, s12, v10
	v_addc_co_u32_e32 v21, vcc, v9, v11, vcc
	v_lshlrev_b64 v[10:11], 3, v[4:5]
	v_add_co_u32_e32 v10, vcc, s10, v10
	v_or_b32_e32 v7, 0, v7
	v_or_b32_e32 v6, s39, v6
	v_addc_co_u32_e32 v11, vcc, v24, v11, vcc
	v_lshlrev_b64 v[6:7], 3, v[6:7]
	global_load_dwordx2 v[22:23], v[10:11], off
	v_add_co_u32_e32 v6, vcc, s12, v6
	v_addc_co_u32_e32 v7, vcc, v9, v7, vcc
	global_load_dwordx2 v[18:19], v[16:17], off
	global_load_dwordx2 v[12:13], v[6:7], off
	global_load_dwordx2 v[14:15], v[20:21], off
	global_load_dwordx2 v[10:11], v[16:17], off offset:24
	s_mov_b64 s[18:19], 0
	s_waitcnt vmcnt(4)
	v_subrev_co_u32_e32 v6, vcc, s38, v22
	v_lshl_add_u32 v8, v6, 3, v6
	v_and_b32_e32 v8, 0x7f, v8
	v_subb_co_u32_e32 v7, vcc, v23, v25, vcc
	s_waitcnt vmcnt(3)
	v_mul_f64 v[16:17], v[2:3], v[18:19]
	v_pk_mov_b32 v[18:19], v[8:9], v[8:9] op_sel:[0,1]
	s_branch .LBB111_73
.LBB111_72:                             ;   in Loop: Header=BB111_73 Depth=2
	s_or_b64 exec, exec, s[20:21]
	s_xor_b64 s[20:21], s[22:23], -1
	s_and_b64 s[20:21], exec, s[20:21]
	s_or_b64 s[18:19], s[20:21], s[18:19]
	s_andn2_b64 exec, exec, s[18:19]
	s_cbranch_execz .LBB111_83
.LBB111_73:                             ;   Parent Loop BB111_71 Depth=1
                                        ; =>  This Inner Loop Header: Depth=2
	v_lshl_add_u32 v20, v18, 3, 0
	ds_read_b64 v[22:23], v20
                                        ; implicit-def: $sgpr22_sgpr23
	s_waitcnt lgkmcnt(0)
	v_cmp_ne_u64_e32 vcc, v[22:23], v[6:7]
	s_and_saveexec_b64 s[20:21], vcc
	s_xor_b64 s[20:21], exec, s[20:21]
	s_cbranch_execz .LBB111_81
; %bb.74:                               ;   in Loop: Header=BB111_73 Depth=2
	v_cmp_ne_u64_e32 vcc, s[2:3], v[22:23]
                                        ; implicit-def: $sgpr22_sgpr23
	s_and_saveexec_b64 s[28:29], vcc
	s_xor_b64 s[28:29], exec, s[28:29]
; %bb.75:                               ;   in Loop: Header=BB111_73 Depth=2
	v_add_u32_e32 v18, 1, v18
	v_and_b32_e32 v18, 0x7f, v18
	s_mov_b64 s[22:23], -1
                                        ; implicit-def: $vgpr20
; %bb.76:                               ;   in Loop: Header=BB111_73 Depth=2
	s_andn2_saveexec_b64 s[28:29], s[28:29]
	s_cbranch_execz .LBB111_80
; %bb.77:                               ;   in Loop: Header=BB111_73 Depth=2
	v_pk_mov_b32 v[22:23], s[2:3], s[2:3] op_sel:[0,1]
	ds_cmpst_rtn_b64 v[22:23], v20, v[22:23], v[6:7]
	s_mov_b64 s[34:35], -1
	s_waitcnt lgkmcnt(0)
	v_cmp_eq_u64_e32 vcc, s[2:3], v[22:23]
	s_and_saveexec_b64 s[36:37], vcc
	s_cbranch_execz .LBB111_79
; %bb.78:                               ;   in Loop: Header=BB111_73 Depth=2
	v_mad_u64_u32 v[20:21], s[34:35], v18, 24, v[20:21]
	ds_add_f64 v20, v[16:17] offset:1024
	s_xor_b64 s[34:35], exec, -1
.LBB111_79:                             ;   in Loop: Header=BB111_73 Depth=2
	s_or_b64 exec, exec, s[36:37]
	s_andn2_b64 s[22:23], s[22:23], exec
	s_and_b64 s[34:35], s[34:35], exec
	s_or_b64 s[22:23], s[22:23], s[34:35]
.LBB111_80:                             ;   in Loop: Header=BB111_73 Depth=2
	s_or_b64 exec, exec, s[28:29]
	s_and_b64 s[22:23], s[22:23], exec
                                        ; implicit-def: $vgpr20
.LBB111_81:                             ;   in Loop: Header=BB111_73 Depth=2
	s_andn2_saveexec_b64 s[20:21], s[20:21]
	s_cbranch_execz .LBB111_72
; %bb.82:                               ;   in Loop: Header=BB111_73 Depth=2
	v_mad_u64_u32 v[20:21], s[28:29], v18, 24, v[20:21]
	ds_add_f64 v20, v[16:17] offset:1024
	s_andn2_b64 s[22:23], s[22:23], exec
	s_branch .LBB111_72
.LBB111_83:                             ;   in Loop: Header=BB111_71 Depth=1
	s_or_b64 exec, exec, s[18:19]
	s_waitcnt vmcnt(1)
	v_mul_f64 v[14:15], v[2:3], v[14:15]
	s_mov_b64 s[18:19], 0
	v_pk_mov_b32 v[16:17], v[8:9], v[8:9] op_sel:[0,1]
	s_branch .LBB111_85
.LBB111_84:                             ;   in Loop: Header=BB111_85 Depth=2
	s_or_b64 exec, exec, s[20:21]
	s_xor_b64 s[20:21], s[22:23], -1
	s_and_b64 s[20:21], exec, s[20:21]
	s_or_b64 s[18:19], s[20:21], s[18:19]
	s_andn2_b64 exec, exec, s[18:19]
	s_cbranch_execz .LBB111_95
.LBB111_85:                             ;   Parent Loop BB111_71 Depth=1
                                        ; =>  This Inner Loop Header: Depth=2
	v_lshl_add_u32 v18, v16, 3, 0
	ds_read_b64 v[20:21], v18
                                        ; implicit-def: $sgpr22_sgpr23
	s_waitcnt lgkmcnt(0)
	v_cmp_ne_u64_e32 vcc, v[20:21], v[6:7]
	s_and_saveexec_b64 s[20:21], vcc
	s_xor_b64 s[20:21], exec, s[20:21]
	s_cbranch_execz .LBB111_93
; %bb.86:                               ;   in Loop: Header=BB111_85 Depth=2
	v_cmp_ne_u64_e32 vcc, s[2:3], v[20:21]
                                        ; implicit-def: $sgpr22_sgpr23
	s_and_saveexec_b64 s[28:29], vcc
	s_xor_b64 s[28:29], exec, s[28:29]
; %bb.87:                               ;   in Loop: Header=BB111_85 Depth=2
	v_add_u32_e32 v16, 1, v16
	v_and_b32_e32 v16, 0x7f, v16
	s_mov_b64 s[22:23], -1
                                        ; implicit-def: $vgpr18
; %bb.88:                               ;   in Loop: Header=BB111_85 Depth=2
	s_andn2_saveexec_b64 s[28:29], s[28:29]
	s_cbranch_execz .LBB111_92
; %bb.89:                               ;   in Loop: Header=BB111_85 Depth=2
	v_pk_mov_b32 v[20:21], s[2:3], s[2:3] op_sel:[0,1]
	ds_cmpst_rtn_b64 v[20:21], v18, v[20:21], v[6:7]
	s_mov_b64 s[34:35], -1
	s_waitcnt lgkmcnt(0)
	v_cmp_eq_u64_e32 vcc, s[2:3], v[20:21]
	s_and_saveexec_b64 s[36:37], vcc
	s_cbranch_execz .LBB111_91
; %bb.90:                               ;   in Loop: Header=BB111_85 Depth=2
	v_mad_u64_u32 v[18:19], s[34:35], v16, 24, v[18:19]
	ds_add_f64 v18, v[14:15] offset:1032
	s_xor_b64 s[34:35], exec, -1
.LBB111_91:                             ;   in Loop: Header=BB111_85 Depth=2
	s_or_b64 exec, exec, s[36:37]
	s_andn2_b64 s[22:23], s[22:23], exec
	s_and_b64 s[34:35], s[34:35], exec
	s_or_b64 s[22:23], s[22:23], s[34:35]
.LBB111_92:                             ;   in Loop: Header=BB111_85 Depth=2
	s_or_b64 exec, exec, s[28:29]
	s_and_b64 s[22:23], s[22:23], exec
                                        ; implicit-def: $vgpr18
.LBB111_93:                             ;   in Loop: Header=BB111_85 Depth=2
	s_andn2_saveexec_b64 s[20:21], s[20:21]
	s_cbranch_execz .LBB111_84
; %bb.94:                               ;   in Loop: Header=BB111_85 Depth=2
	v_mad_u64_u32 v[18:19], s[28:29], v16, 24, v[18:19]
	ds_add_f64 v18, v[14:15] offset:1032
	s_andn2_b64 s[22:23], s[22:23], exec
	s_branch .LBB111_84
.LBB111_95:                             ;   in Loop: Header=BB111_71 Depth=1
	s_or_b64 exec, exec, s[18:19]
	v_mul_f64 v[12:13], v[2:3], v[12:13]
	s_mov_b64 s[18:19], 0
	v_pk_mov_b32 v[14:15], v[8:9], v[8:9] op_sel:[0,1]
	s_branch .LBB111_97
.LBB111_96:                             ;   in Loop: Header=BB111_97 Depth=2
	s_or_b64 exec, exec, s[20:21]
	s_xor_b64 s[20:21], s[22:23], -1
	s_and_b64 s[20:21], exec, s[20:21]
	s_or_b64 s[18:19], s[20:21], s[18:19]
	s_andn2_b64 exec, exec, s[18:19]
	s_cbranch_execz .LBB111_107
.LBB111_97:                             ;   Parent Loop BB111_71 Depth=1
                                        ; =>  This Inner Loop Header: Depth=2
	v_lshl_add_u32 v16, v14, 3, 0
	ds_read_b64 v[18:19], v16
                                        ; implicit-def: $sgpr22_sgpr23
	s_waitcnt lgkmcnt(0)
	v_cmp_ne_u64_e32 vcc, v[18:19], v[6:7]
	s_and_saveexec_b64 s[20:21], vcc
	s_xor_b64 s[20:21], exec, s[20:21]
	s_cbranch_execz .LBB111_105
; %bb.98:                               ;   in Loop: Header=BB111_97 Depth=2
	v_cmp_ne_u64_e32 vcc, s[2:3], v[18:19]
                                        ; implicit-def: $sgpr22_sgpr23
	s_and_saveexec_b64 s[28:29], vcc
	s_xor_b64 s[28:29], exec, s[28:29]
; %bb.99:                               ;   in Loop: Header=BB111_97 Depth=2
	v_add_u32_e32 v14, 1, v14
	v_and_b32_e32 v14, 0x7f, v14
	s_mov_b64 s[22:23], -1
                                        ; implicit-def: $vgpr16
; %bb.100:                              ;   in Loop: Header=BB111_97 Depth=2
	s_andn2_saveexec_b64 s[28:29], s[28:29]
	s_cbranch_execz .LBB111_104
; %bb.101:                              ;   in Loop: Header=BB111_97 Depth=2
	v_pk_mov_b32 v[18:19], s[2:3], s[2:3] op_sel:[0,1]
	ds_cmpst_rtn_b64 v[18:19], v16, v[18:19], v[6:7]
	s_mov_b64 s[34:35], -1
	s_waitcnt lgkmcnt(0)
	v_cmp_eq_u64_e32 vcc, s[2:3], v[18:19]
	s_and_saveexec_b64 s[36:37], vcc
	s_cbranch_execz .LBB111_103
; %bb.102:                              ;   in Loop: Header=BB111_97 Depth=2
	v_mad_u64_u32 v[16:17], s[34:35], v14, 24, v[16:17]
	ds_add_f64 v16, v[12:13] offset:1040
	s_xor_b64 s[34:35], exec, -1
.LBB111_103:                            ;   in Loop: Header=BB111_97 Depth=2
	s_or_b64 exec, exec, s[36:37]
	s_andn2_b64 s[22:23], s[22:23], exec
	s_and_b64 s[34:35], s[34:35], exec
	s_or_b64 s[22:23], s[22:23], s[34:35]
.LBB111_104:                            ;   in Loop: Header=BB111_97 Depth=2
	s_or_b64 exec, exec, s[28:29]
	s_and_b64 s[22:23], s[22:23], exec
                                        ; implicit-def: $vgpr16
.LBB111_105:                            ;   in Loop: Header=BB111_97 Depth=2
	s_andn2_saveexec_b64 s[20:21], s[20:21]
	s_cbranch_execz .LBB111_96
; %bb.106:                              ;   in Loop: Header=BB111_97 Depth=2
	v_mad_u64_u32 v[16:17], s[28:29], v14, 24, v[16:17]
	ds_add_f64 v16, v[12:13] offset:1040
	s_andn2_b64 s[22:23], s[22:23], exec
	s_branch .LBB111_96
.LBB111_107:                            ;   in Loop: Header=BB111_71 Depth=1
	s_or_b64 exec, exec, s[18:19]
	s_waitcnt vmcnt(0)
	v_mul_f64 v[10:11], v[2:3], v[10:11]
	s_mov_b64 s[18:19], 0
	s_branch .LBB111_109
.LBB111_108:                            ;   in Loop: Header=BB111_109 Depth=2
	s_or_b64 exec, exec, s[20:21]
	s_xor_b64 s[20:21], s[22:23], -1
	s_and_b64 s[20:21], exec, s[20:21]
	s_or_b64 s[18:19], s[20:21], s[18:19]
	s_andn2_b64 exec, exec, s[18:19]
	s_cbranch_execz .LBB111_70
.LBB111_109:                            ;   Parent Loop BB111_71 Depth=1
                                        ; =>  This Inner Loop Header: Depth=2
	v_lshl_add_u32 v12, v8, 3, 0
	ds_read_b64 v[14:15], v12
                                        ; implicit-def: $sgpr22_sgpr23
	s_waitcnt lgkmcnt(0)
	v_cmp_ne_u64_e32 vcc, v[14:15], v[6:7]
	s_and_saveexec_b64 s[20:21], vcc
	s_xor_b64 s[20:21], exec, s[20:21]
	s_cbranch_execz .LBB111_117
; %bb.110:                              ;   in Loop: Header=BB111_109 Depth=2
	v_cmp_ne_u64_e32 vcc, s[2:3], v[14:15]
                                        ; implicit-def: $sgpr22_sgpr23
	s_and_saveexec_b64 s[28:29], vcc
	s_xor_b64 s[28:29], exec, s[28:29]
; %bb.111:                              ;   in Loop: Header=BB111_109 Depth=2
	v_add_u32_e32 v8, 1, v8
	v_and_b32_e32 v8, 0x7f, v8
	s_mov_b64 s[22:23], -1
                                        ; implicit-def: $vgpr12
; %bb.112:                              ;   in Loop: Header=BB111_109 Depth=2
	s_andn2_saveexec_b64 s[28:29], s[28:29]
	s_cbranch_execz .LBB111_116
; %bb.113:                              ;   in Loop: Header=BB111_109 Depth=2
	v_pk_mov_b32 v[14:15], s[2:3], s[2:3] op_sel:[0,1]
	ds_cmpst_rtn_b64 v[14:15], v12, v[14:15], v[6:7]
	s_mov_b64 s[34:35], -1
	s_waitcnt lgkmcnt(0)
	v_cmp_eq_u64_e32 vcc, s[2:3], v[14:15]
	s_and_saveexec_b64 s[36:37], vcc
	s_cbranch_execz .LBB111_115
; %bb.114:                              ;   in Loop: Header=BB111_109 Depth=2
	v_mad_u64_u32 v[12:13], s[34:35], v8, 24, v[12:13]
	ds_add_f64 v12, v[10:11] offset:1048
	s_xor_b64 s[34:35], exec, -1
.LBB111_115:                            ;   in Loop: Header=BB111_109 Depth=2
	s_or_b64 exec, exec, s[36:37]
	s_andn2_b64 s[22:23], s[22:23], exec
	s_and_b64 s[34:35], s[34:35], exec
	s_or_b64 s[22:23], s[22:23], s[34:35]
.LBB111_116:                            ;   in Loop: Header=BB111_109 Depth=2
	s_or_b64 exec, exec, s[28:29]
	s_and_b64 s[22:23], s[22:23], exec
                                        ; implicit-def: $vgpr12
.LBB111_117:                            ;   in Loop: Header=BB111_109 Depth=2
	s_andn2_saveexec_b64 s[20:21], s[20:21]
	s_cbranch_execz .LBB111_108
; %bb.118:                              ;   in Loop: Header=BB111_109 Depth=2
	v_mad_u64_u32 v[12:13], s[28:29], v8, 24, v[12:13]
	ds_add_f64 v12, v[10:11] offset:1048
	s_andn2_b64 s[22:23], s[22:23], exec
	s_branch .LBB111_108
.LBB111_119:
	s_or_b64 exec, exec, s[8:9]
.LBB111_120:
	s_waitcnt lgkmcnt(0)
	s_barrier
	s_and_saveexec_b64 s[4:5], s[0:1]
	s_cbranch_execz .LBB111_125
; %bb.121:
	s_waitcnt vmcnt(0)
	ds_read_b64 v[2:3], v1
	s_mov_b32 s0, 0
	s_waitcnt lgkmcnt(0)
	v_cmp_gt_i64_e32 vcc, s[2:3], v[2:3]
	s_and_b64 exec, exec, vcc
	s_cbranch_execz .LBB111_125
; %bb.122:
	s_lshl_b64 s[2:3], s[6:7], 3
	s_add_u32 s2, s14, s2
	s_addc_u32 s3, s15, s3
	s_load_dwordx2 s[2:3], s[2:3], 0x0
	s_mov_b32 s1, s0
	s_waitcnt lgkmcnt(0)
	s_sub_u32 s2, s2, s30
	s_subb_u32 s3, s3, 0
	v_pk_mov_b32 v[4:5], s[2:3], s[2:3] op_sel:[0,1]
.LBB111_123:                            ; =>This Inner Loop Header: Depth=1
	s_add_i32 s2, s1, 0
	v_mov_b32_e32 v1, s2
	ds_read2_b64 v[6:9], v1 offset1:1
	ds_read2_b64 v[10:13], v1 offset0:2 offset1:3
	ds_read2_b64 v[14:17], v1 offset0:4 offset1:5
	;; [unrolled: 1-line block ×7, first 2 shown]
	s_waitcnt lgkmcnt(7)
	v_cmp_gt_i64_e32 vcc, v[2:3], v[6:7]
	v_cndmask_b32_e64 v1, 0, 1, vcc
	v_cmp_gt_i64_e32 vcc, v[2:3], v[8:9]
	v_cndmask_b32_e64 v6, 0, 1, vcc
	s_waitcnt lgkmcnt(6)
	v_cmp_gt_i64_e32 vcc, v[2:3], v[10:11]
	v_cndmask_b32_e64 v7, 0, 1, vcc
	v_cmp_gt_i64_e32 vcc, v[2:3], v[12:13]
	v_cndmask_b32_e64 v8, 0, 1, vcc
	;; [unrolled: 5-line block ×8, first 2 shown]
	v_add_co_u32_e32 v1, vcc, v4, v1
	v_addc_co_u32_e32 v4, vcc, 0, v5, vcc
	v_add_co_u32_e32 v1, vcc, v1, v6
	v_addc_co_u32_e32 v4, vcc, 0, v4, vcc
	;; [unrolled: 2-line block ×15, first 2 shown]
	s_addk_i32 s1, 0x80
	v_add_co_u32_e32 v4, vcc, v1, v20
	s_cmpk_lg_i32 s1, 0x400
	v_addc_co_u32_e32 v5, vcc, 0, v5, vcc
	s_cbranch_scc1 .LBB111_123
; %bb.124:
	v_mov_b32_e32 v1, s0
	v_add_co_u32_e32 v2, vcc, s30, v2
	v_addc_co_u32_e32 v3, vcc, v3, v1, vcc
	v_lshlrev_b64 v[6:7], 3, v[4:5]
	v_mov_b32_e32 v1, s25
	v_add_co_u32_e32 v6, vcc, s24, v6
	s_add_i32 s1, 0, 0x400
	v_addc_co_u32_e32 v7, vcc, v1, v7, vcc
	s_cmp_eq_u32 s33, 0
	global_store_dwordx2 v[6:7], v[2:3], off
	v_lshlrev_b32_e32 v3, 5, v0
	v_lshlrev_b32_e32 v2, 2, v0
	v_add_u32_e32 v6, s1, v3
	s_cselect_b32 s0, 1, 2
	s_cselect_b32 s1, 2, 1
	v_add_u32_e32 v0, 0, v3
	v_or_b32_e32 v3, s0, v2
	v_or_b32_e32 v2, s1, v2
	v_lshl_add_u32 v3, v3, 3, 0
	v_lshl_add_u32 v2, v2, 3, 0
	ds_read_b64 v[0:1], v0 offset:1024
	v_lshlrev_b64 v[8:9], 5, v[4:5]
	ds_read_b64 v[4:5], v2 offset:1024
	ds_read_b64 v[2:3], v3 offset:1024
	;; [unrolled: 1-line block ×3, first 2 shown]
	v_mov_b32_e32 v10, s27
	v_add_co_u32_e32 v8, vcc, s26, v8
	v_addc_co_u32_e32 v9, vcc, v10, v9, vcc
	s_waitcnt lgkmcnt(1)
	global_store_dwordx4 v[8:9], v[0:3], off
	s_waitcnt lgkmcnt(0)
	global_store_dwordx4 v[8:9], v[4:7], off offset:16
.LBB111_125:
	s_endpgm
	.section	.rodata,"a",@progbits
	.p2align	6, 0x0
	.amdhsa_kernel _ZN9rocsparseL30bsrgemm_fill_block_per_row_2x2ILj256ELj16ELj128ELj137ElldEEv20rocsparse_direction_T4_S2_PKS2_S4_NS_24const_host_device_scalarIT5_EEPKT3_S4_PKS6_SA_S4_SC_S7_SA_S4_SC_SA_PS2_PS6_21rocsparse_index_base_SF_SF_SF_bbb
		.amdhsa_group_segment_fixed_size 0
		.amdhsa_private_segment_fixed_size 0
		.amdhsa_kernarg_size 172
		.amdhsa_user_sgpr_count 6
		.amdhsa_user_sgpr_private_segment_buffer 1
		.amdhsa_user_sgpr_dispatch_ptr 0
		.amdhsa_user_sgpr_queue_ptr 0
		.amdhsa_user_sgpr_kernarg_segment_ptr 1
		.amdhsa_user_sgpr_dispatch_id 0
		.amdhsa_user_sgpr_flat_scratch_init 0
		.amdhsa_user_sgpr_kernarg_preload_length 0
		.amdhsa_user_sgpr_kernarg_preload_offset 0
		.amdhsa_user_sgpr_private_segment_size 0
		.amdhsa_uses_dynamic_stack 0
		.amdhsa_system_sgpr_private_segment_wavefront_offset 0
		.amdhsa_system_sgpr_workgroup_id_x 1
		.amdhsa_system_sgpr_workgroup_id_y 0
		.amdhsa_system_sgpr_workgroup_id_z 0
		.amdhsa_system_sgpr_workgroup_info 0
		.amdhsa_system_vgpr_workitem_id 0
		.amdhsa_next_free_vgpr 44
		.amdhsa_next_free_sgpr 61
		.amdhsa_accum_offset 44
		.amdhsa_reserve_vcc 1
		.amdhsa_reserve_flat_scratch 0
		.amdhsa_float_round_mode_32 0
		.amdhsa_float_round_mode_16_64 0
		.amdhsa_float_denorm_mode_32 3
		.amdhsa_float_denorm_mode_16_64 3
		.amdhsa_dx10_clamp 1
		.amdhsa_ieee_mode 1
		.amdhsa_fp16_overflow 0
		.amdhsa_tg_split 0
		.amdhsa_exception_fp_ieee_invalid_op 0
		.amdhsa_exception_fp_denorm_src 0
		.amdhsa_exception_fp_ieee_div_zero 0
		.amdhsa_exception_fp_ieee_overflow 0
		.amdhsa_exception_fp_ieee_underflow 0
		.amdhsa_exception_fp_ieee_inexact 0
		.amdhsa_exception_int_div_zero 0
	.end_amdhsa_kernel
	.section	.text._ZN9rocsparseL30bsrgemm_fill_block_per_row_2x2ILj256ELj16ELj128ELj137ElldEEv20rocsparse_direction_T4_S2_PKS2_S4_NS_24const_host_device_scalarIT5_EEPKT3_S4_PKS6_SA_S4_SC_S7_SA_S4_SC_SA_PS2_PS6_21rocsparse_index_base_SF_SF_SF_bbb,"axG",@progbits,_ZN9rocsparseL30bsrgemm_fill_block_per_row_2x2ILj256ELj16ELj128ELj137ElldEEv20rocsparse_direction_T4_S2_PKS2_S4_NS_24const_host_device_scalarIT5_EEPKT3_S4_PKS6_SA_S4_SC_S7_SA_S4_SC_SA_PS2_PS6_21rocsparse_index_base_SF_SF_SF_bbb,comdat
.Lfunc_end111:
	.size	_ZN9rocsparseL30bsrgemm_fill_block_per_row_2x2ILj256ELj16ELj128ELj137ElldEEv20rocsparse_direction_T4_S2_PKS2_S4_NS_24const_host_device_scalarIT5_EEPKT3_S4_PKS6_SA_S4_SC_S7_SA_S4_SC_SA_PS2_PS6_21rocsparse_index_base_SF_SF_SF_bbb, .Lfunc_end111-_ZN9rocsparseL30bsrgemm_fill_block_per_row_2x2ILj256ELj16ELj128ELj137ElldEEv20rocsparse_direction_T4_S2_PKS2_S4_NS_24const_host_device_scalarIT5_EEPKT3_S4_PKS6_SA_S4_SC_S7_SA_S4_SC_SA_PS2_PS6_21rocsparse_index_base_SF_SF_SF_bbb
                                        ; -- End function
	.section	.AMDGPU.csdata,"",@progbits
; Kernel info:
; codeLenInByte = 4004
; NumSgprs: 65
; NumVgprs: 44
; NumAgprs: 0
; TotalNumVgprs: 44
; ScratchSize: 0
; MemoryBound: 0
; FloatMode: 240
; IeeeMode: 1
; LDSByteSize: 0 bytes/workgroup (compile time only)
; SGPRBlocks: 8
; VGPRBlocks: 5
; NumSGPRsForWavesPerEU: 65
; NumVGPRsForWavesPerEU: 44
; AccumOffset: 44
; Occupancy: 8
; WaveLimiterHint : 1
; COMPUTE_PGM_RSRC2:SCRATCH_EN: 0
; COMPUTE_PGM_RSRC2:USER_SGPR: 6
; COMPUTE_PGM_RSRC2:TRAP_HANDLER: 0
; COMPUTE_PGM_RSRC2:TGID_X_EN: 1
; COMPUTE_PGM_RSRC2:TGID_Y_EN: 0
; COMPUTE_PGM_RSRC2:TGID_Z_EN: 0
; COMPUTE_PGM_RSRC2:TIDIG_COMP_CNT: 0
; COMPUTE_PGM_RSRC3_GFX90A:ACCUM_OFFSET: 10
; COMPUTE_PGM_RSRC3_GFX90A:TG_SPLIT: 0
	.section	.text._ZN9rocsparseL30bsrgemm_fill_block_per_row_2x2ILj256ELj16ELj256ELj137ElldEEv20rocsparse_direction_T4_S2_PKS2_S4_NS_24const_host_device_scalarIT5_EEPKT3_S4_PKS6_SA_S4_SC_S7_SA_S4_SC_SA_PS2_PS6_21rocsparse_index_base_SF_SF_SF_bbb,"axG",@progbits,_ZN9rocsparseL30bsrgemm_fill_block_per_row_2x2ILj256ELj16ELj256ELj137ElldEEv20rocsparse_direction_T4_S2_PKS2_S4_NS_24const_host_device_scalarIT5_EEPKT3_S4_PKS6_SA_S4_SC_S7_SA_S4_SC_SA_PS2_PS6_21rocsparse_index_base_SF_SF_SF_bbb,comdat
	.globl	_ZN9rocsparseL30bsrgemm_fill_block_per_row_2x2ILj256ELj16ELj256ELj137ElldEEv20rocsparse_direction_T4_S2_PKS2_S4_NS_24const_host_device_scalarIT5_EEPKT3_S4_PKS6_SA_S4_SC_S7_SA_S4_SC_SA_PS2_PS6_21rocsparse_index_base_SF_SF_SF_bbb ; -- Begin function _ZN9rocsparseL30bsrgemm_fill_block_per_row_2x2ILj256ELj16ELj256ELj137ElldEEv20rocsparse_direction_T4_S2_PKS2_S4_NS_24const_host_device_scalarIT5_EEPKT3_S4_PKS6_SA_S4_SC_S7_SA_S4_SC_SA_PS2_PS6_21rocsparse_index_base_SF_SF_SF_bbb
	.p2align	8
	.type	_ZN9rocsparseL30bsrgemm_fill_block_per_row_2x2ILj256ELj16ELj256ELj137ElldEEv20rocsparse_direction_T4_S2_PKS2_S4_NS_24const_host_device_scalarIT5_EEPKT3_S4_PKS6_SA_S4_SC_S7_SA_S4_SC_SA_PS2_PS6_21rocsparse_index_base_SF_SF_SF_bbb,@function
_ZN9rocsparseL30bsrgemm_fill_block_per_row_2x2ILj256ELj16ELj256ELj137ElldEEv20rocsparse_direction_T4_S2_PKS2_S4_NS_24const_host_device_scalarIT5_EEPKT3_S4_PKS6_SA_S4_SC_S7_SA_S4_SC_SA_PS2_PS6_21rocsparse_index_base_SF_SF_SF_bbb: ; @_ZN9rocsparseL30bsrgemm_fill_block_per_row_2x2ILj256ELj16ELj256ELj137ElldEEv20rocsparse_direction_T4_S2_PKS2_S4_NS_24const_host_device_scalarIT5_EEPKT3_S4_PKS6_SA_S4_SC_S7_SA_S4_SC_SA_PS2_PS6_21rocsparse_index_base_SF_SF_SF_bbb
; %bb.0:
	s_load_dword s7, s[4:5], 0xa8
	s_load_dwordx2 s[2:3], s[4:5], 0x28
	s_load_dwordx2 s[0:1], s[4:5], 0x60
	s_waitcnt lgkmcnt(0)
	s_and_b32 s10, 1, s7
	s_bitcmp1_b32 s7, 16
	s_cselect_b64 s[8:9], -1, 0
	s_cmp_eq_u32 s10, 1
	s_cselect_b64 s[34:35], -1, 0
	s_and_b64 s[10:11], s[34:35], exec
	s_cselect_b32 s11, s3, 0
	s_cselect_b32 s10, s2, 0
	s_xor_b64 s[12:13], s[34:35], -1
	s_or_b64 s[12:13], s[12:13], s[8:9]
	s_and_b64 vcc, exec, s[12:13]
	v_pk_mov_b32 v[4:5], s[10:11], s[10:11] op_sel:[0,1]
	s_cbranch_vccnz .LBB112_2
; %bb.1:
	v_pk_mov_b32 v[2:3], s[2:3], s[2:3] op_sel:[0,1]
	flat_load_dwordx2 v[4:5], v[2:3]
.LBB112_2:
	s_bitcmp1_b32 s7, 8
	s_load_dwordx4 s[28:31], s[4:5], 0x98
	s_cselect_b64 s[2:3], -1, 0
	s_and_b64 s[10:11], s[2:3], exec
	s_cselect_b32 s11, s1, 0
	s_cselect_b32 s10, s0, 0
	s_xor_b64 s[12:13], s[2:3], -1
	s_or_b64 s[8:9], s[12:13], s[8:9]
	s_and_b64 vcc, exec, s[8:9]
	v_pk_mov_b32 v[2:3], s[10:11], s[10:11] op_sel:[0,1]
	s_cbranch_vccnz .LBB112_4
; %bb.3:
	v_pk_mov_b32 v[2:3], s[0:1], s[0:1] op_sel:[0,1]
	flat_load_dwordx2 v[2:3], v[2:3]
.LBB112_4:
	s_load_dwordx4 s[24:27], s[4:5], 0x88
	s_load_dwordx8 s[8:15], s[4:5], 0x68
	s_load_dwordx4 s[40:43], s[4:5], 0x50
	s_load_dwordx4 s[36:39], s[4:5], 0x10
	s_load_dwordx2 s[44:45], s[4:5], 0x20
	s_load_dwordx8 s[16:23], s[4:5], 0x30
	s_movk_i32 s0, 0x100
	v_cmp_gt_u32_e64 s[0:1], s0, v0
	v_lshl_add_u32 v1, v0, 3, 0
	s_and_saveexec_b64 s[46:47], s[0:1]
	s_cbranch_execz .LBB112_6
; %bb.5:
	s_waitcnt lgkmcnt(0)
	v_pk_mov_b32 v[6:7], s[36:37], s[36:37] op_sel:[0,1]
	ds_write_b64 v1, v[6:7]
.LBB112_6:
	s_or_b64 exec, exec, s[46:47]
	v_mov_b32_e32 v6, 0
	v_add_u32_e32 v8, 0x800, v1
	v_or_b32_e32 v9, 0xffffff00, v0
	s_mov_b64 s[46:47], 0
	v_mov_b32_e32 v7, v6
	s_movk_i32 s7, 0x2ff
.LBB112_7:                              ; =>This Inner Loop Header: Depth=1
	v_add_u32_e32 v9, 0x100, v9
	v_cmp_lt_u32_e32 vcc, s7, v9
	ds_write_b64 v8, v[6:7]
	s_or_b64 s[46:47], vcc, s[46:47]
	v_add_u32_e32 v8, 0x800, v8
	s_andn2_b64 exec, exec, s[46:47]
	s_cbranch_execnz .LBB112_7
; %bb.8:
	s_or_b64 exec, exec, s[46:47]
	s_waitcnt lgkmcnt(0)
	s_cmp_lg_u64 s[44:45], 0
	s_mov_b32 s7, 0
	s_barrier
	s_cbranch_scc0 .LBB112_10
; %bb.9:
	s_load_dwordx2 s[38:39], s[38:39], 0x0
	s_waitcnt lgkmcnt(0)
	s_lshl_b64 s[38:39], s[38:39], 3
	s_add_u32 s33, s44, s38
	s_addc_u32 s38, s45, s39
	s_lshl_b64 s[6:7], s[6:7], 3
	s_add_u32 s6, s33, s6
	s_addc_u32 s7, s38, s7
	s_load_dwordx2 s[6:7], s[6:7], 0x0
.LBB112_10:
	s_nop 0
	s_load_dword s33, s[4:5], 0x0
	s_andn2_b64 vcc, exec, s[34:35]
	s_cbranch_vccnz .LBB112_66
; %bb.11:
	s_waitcnt lgkmcnt(0)
	s_lshl_b64 s[4:5], s[6:7], 3
	s_add_u32 s4, s16, s4
	s_addc_u32 s5, s17, s5
	s_load_dwordx4 s[44:47], s[4:5], 0x0
	v_lshrrev_b32_e32 v6, 4, v0
	v_subrev_co_u32_e32 v6, vcc, s28, v6
	v_subb_co_u32_e64 v7, s[16:17], 0, 0, vcc
	s_waitcnt lgkmcnt(0)
	s_sub_u32 s4, s46, s28
	v_mov_b32_e32 v8, s45
	v_add_co_u32_e32 v6, vcc, s44, v6
	s_subb_u32 s5, s47, 0
	v_addc_co_u32_e32 v7, vcc, v8, v7, vcc
	s_mov_b32 s34, 0
	v_cmp_gt_i64_e32 vcc, s[4:5], v[6:7]
	s_and_saveexec_b64 s[16:17], vcc
	s_cbranch_execz .LBB112_65
; %bb.12:
	v_and_b32_e32 v8, 15, v0
	v_subrev_co_u32_e32 v23, vcc, s29, v8
	s_mov_b32 s56, s28
	s_cmp_eq_u32 s33, 0
	s_mov_b32 s57, s29
	v_subb_co_u32_e64 v37, s[28:29], 0, 0, vcc
	s_mov_b32 s58, s34
	s_cselect_b32 s59, 1, 2
	s_cselect_b32 s60, 2, 1
	s_mov_b64 s[28:29], 0
	v_mov_b32_e32 v40, s19
	v_mov_b32_e32 v41, s34
	;; [unrolled: 1-line block ×4, first 2 shown]
	s_movk_i32 s19, 0x89
	s_branch .LBB112_14
.LBB112_13:                             ;   in Loop: Header=BB112_14 Depth=1
	s_or_b64 exec, exec, s[34:35]
	v_add_co_u32_e32 v6, vcc, 16, v6
	v_addc_co_u32_e32 v7, vcc, 0, v7, vcc
	v_cmp_le_i64_e32 vcc, s[4:5], v[6:7]
	s_or_b64 s[28:29], vcc, s[28:29]
	s_andn2_b64 exec, exec, s[28:29]
	s_cbranch_execz .LBB112_65
.LBB112_14:                             ; =>This Loop Header: Depth=1
                                        ;     Child Loop BB112_17 Depth 2
                                        ;       Child Loop BB112_19 Depth 3
                                        ;       Child Loop BB112_31 Depth 3
	;; [unrolled: 1-line block ×4, first 2 shown]
	v_lshlrev_b64 v[8:9], 3, v[6:7]
	v_add_co_u32_e32 v8, vcc, s18, v8
	v_addc_co_u32_e32 v9, vcc, v40, v9, vcc
	global_load_dwordx2 v[8:9], v[8:9], off
	s_waitcnt vmcnt(0)
	v_subrev_co_u32_e32 v8, vcc, s56, v8
	v_subb_co_u32_e32 v9, vcc, v9, v41, vcc
	v_lshlrev_b64 v[8:9], 3, v[8:9]
	v_add_co_u32_e32 v8, vcc, s22, v8
	v_addc_co_u32_e32 v9, vcc, v42, v9, vcc
	global_load_dwordx4 v[10:13], v[8:9], off
	s_waitcnt vmcnt(0)
	v_subrev_co_u32_e32 v8, vcc, s57, v12
	v_subb_co_u32_e32 v9, vcc, v13, v43, vcc
	v_add_co_u32_e32 v10, vcc, v10, v23
	v_addc_co_u32_e32 v11, vcc, v11, v37, vcc
	v_cmp_lt_i64_e32 vcc, v[10:11], v[8:9]
	s_and_saveexec_b64 s[34:35], vcc
	s_cbranch_execz .LBB112_13
; %bb.15:                               ;   in Loop: Header=BB112_14 Depth=1
	v_lshlrev_b64 v[12:13], 2, v[6:7]
	v_lshlrev_b64 v[16:17], 5, v[6:7]
	v_or_b32_e32 v15, 0, v13
	v_or_b32_e32 v14, s59, v12
	;; [unrolled: 1-line block ×4, first 2 shown]
	v_mov_b32_e32 v18, s21
	v_add_co_u32_e32 v16, vcc, s20, v16
	v_addc_co_u32_e32 v17, vcc, v18, v17, vcc
	v_lshlrev_b64 v[12:13], 3, v[12:13]
	v_add_co_u32_e32 v12, vcc, s20, v12
	v_addc_co_u32_e32 v13, vcc, v18, v13, vcc
	v_lshlrev_b64 v[14:15], 3, v[14:15]
	v_add_co_u32_e32 v14, vcc, s20, v14
	v_addc_co_u32_e32 v15, vcc, v18, v15, vcc
	global_load_dwordx2 v[18:19], v[16:17], off offset:24
	global_load_dwordx2 v[20:21], v[12:13], off
	global_load_dwordx2 v[24:25], v[14:15], off
	;; [unrolled: 1-line block ×3, first 2 shown]
	s_mov_b64 s[38:39], 0
	s_waitcnt vmcnt(3)
	v_mul_f64 v[12:13], v[4:5], v[18:19]
	s_waitcnt vmcnt(2)
	v_mul_f64 v[14:15], v[4:5], v[20:21]
	s_waitcnt vmcnt(1)
	v_mul_f64 v[16:17], v[4:5], v[24:25]
	s_waitcnt vmcnt(0)
	v_mul_f64 v[18:19], v[4:5], v[26:27]
	s_branch .LBB112_17
.LBB112_16:                             ;   in Loop: Header=BB112_17 Depth=2
	s_or_b64 exec, exec, s[44:45]
	v_add_co_u32_e32 v10, vcc, 16, v10
	v_addc_co_u32_e32 v11, vcc, 0, v11, vcc
	v_cmp_ge_i64_e32 vcc, v[10:11], v[8:9]
	s_or_b64 s[38:39], vcc, s[38:39]
	s_andn2_b64 exec, exec, s[38:39]
	s_cbranch_execz .LBB112_13
.LBB112_17:                             ;   Parent Loop BB112_14 Depth=1
                                        ; =>  This Loop Header: Depth=2
                                        ;       Child Loop BB112_19 Depth 3
                                        ;       Child Loop BB112_31 Depth 3
                                        ;       Child Loop BB112_43 Depth 3
                                        ;       Child Loop BB112_55 Depth 3
	v_lshlrev_b64 v[20:21], 3, v[10:11]
	v_mov_b32_e32 v22, s41
	v_add_co_u32_e32 v20, vcc, s40, v20
	v_addc_co_u32_e32 v21, vcc, v22, v21, vcc
	v_lshlrev_b64 v[24:25], 2, v[10:11]
	v_lshlrev_b64 v[28:29], 5, v[10:11]
	v_or_b32_e32 v27, 0, v25
	v_or_b32_e32 v26, s59, v24
	;; [unrolled: 1-line block ×4, first 2 shown]
	v_mov_b32_e32 v22, s43
	v_add_co_u32_e32 v32, vcc, s42, v28
	v_addc_co_u32_e32 v33, vcc, v22, v29, vcc
	v_lshlrev_b64 v[24:25], 3, v[24:25]
	global_load_dwordx2 v[20:21], v[20:21], off
	v_add_co_u32_e32 v24, vcc, s42, v24
	v_lshlrev_b64 v[26:27], 3, v[26:27]
	v_addc_co_u32_e32 v25, vcc, v22, v25, vcc
	global_load_dwordx2 v[28:29], v[32:33], off
	global_load_dwordx2 v[30:31], v[24:25], off
	v_add_co_u32_e32 v24, vcc, s42, v26
	v_addc_co_u32_e32 v25, vcc, v22, v27, vcc
	global_load_dwordx2 v[24:25], v[24:25], off
	s_nop 0
	global_load_dwordx2 v[26:27], v[32:33], off offset:24
	v_mov_b32_e32 v22, s58
	s_mov_b64 s[44:45], 0
	s_waitcnt vmcnt(4)
	v_subrev_co_u32_e32 v20, vcc, s57, v20
	v_subb_co_u32_e32 v21, vcc, v21, v22, vcc
	v_mul_lo_u32 v22, v20, s19
	v_and_b32_e32 v22, 0xff, v22
	v_pk_mov_b32 v[34:35], v[22:23], v[22:23] op_sel:[0,1]
	s_waitcnt vmcnt(2)
	v_mul_f64 v[32:33], v[16:17], v[30:31]
	v_fmac_f64_e32 v[32:33], v[18:19], v[28:29]
	s_branch .LBB112_19
.LBB112_18:                             ;   in Loop: Header=BB112_19 Depth=3
	s_or_b64 exec, exec, s[46:47]
	s_xor_b64 s[46:47], s[48:49], -1
	s_and_b64 s[46:47], exec, s[46:47]
	s_or_b64 s[44:45], s[46:47], s[44:45]
	s_andn2_b64 exec, exec, s[44:45]
	s_cbranch_execz .LBB112_29
.LBB112_19:                             ;   Parent Loop BB112_14 Depth=1
                                        ;     Parent Loop BB112_17 Depth=2
                                        ; =>    This Inner Loop Header: Depth=3
	v_lshl_add_u32 v36, v34, 3, 0
	ds_read_b64 v[38:39], v36
                                        ; implicit-def: $sgpr48_sgpr49
	s_waitcnt lgkmcnt(0)
	v_cmp_ne_u64_e32 vcc, v[38:39], v[20:21]
	s_and_saveexec_b64 s[46:47], vcc
	s_xor_b64 s[46:47], exec, s[46:47]
	s_cbranch_execz .LBB112_27
; %bb.20:                               ;   in Loop: Header=BB112_19 Depth=3
	v_cmp_ne_u64_e32 vcc, s[36:37], v[38:39]
                                        ; implicit-def: $sgpr48_sgpr49
	s_and_saveexec_b64 s[50:51], vcc
	s_xor_b64 s[50:51], exec, s[50:51]
; %bb.21:                               ;   in Loop: Header=BB112_19 Depth=3
	v_add_u32_e32 v34, 1, v34
	v_and_b32_e32 v34, 0xff, v34
	s_mov_b64 s[48:49], -1
                                        ; implicit-def: $vgpr36
; %bb.22:                               ;   in Loop: Header=BB112_19 Depth=3
	s_andn2_saveexec_b64 s[50:51], s[50:51]
	s_cbranch_execz .LBB112_26
; %bb.23:                               ;   in Loop: Header=BB112_19 Depth=3
	v_pk_mov_b32 v[38:39], s[36:37], s[36:37] op_sel:[0,1]
	ds_cmpst_rtn_b64 v[38:39], v36, v[38:39], v[20:21]
	s_mov_b64 s[52:53], -1
	s_waitcnt lgkmcnt(0)
	v_cmp_eq_u64_e32 vcc, s[36:37], v[38:39]
	s_and_saveexec_b64 s[54:55], vcc
	s_cbranch_execz .LBB112_25
; %bb.24:                               ;   in Loop: Header=BB112_19 Depth=3
	v_mad_u64_u32 v[38:39], s[52:53], v34, 24, v[36:37]
	ds_add_f64 v38, v[32:33] offset:2048
	s_xor_b64 s[52:53], exec, -1
.LBB112_25:                             ;   in Loop: Header=BB112_19 Depth=3
	s_or_b64 exec, exec, s[54:55]
	s_andn2_b64 s[48:49], s[48:49], exec
	s_and_b64 s[52:53], s[52:53], exec
	s_or_b64 s[48:49], s[48:49], s[52:53]
.LBB112_26:                             ;   in Loop: Header=BB112_19 Depth=3
	s_or_b64 exec, exec, s[50:51]
	s_and_b64 s[48:49], s[48:49], exec
                                        ; implicit-def: $vgpr36
.LBB112_27:                             ;   in Loop: Header=BB112_19 Depth=3
	s_andn2_saveexec_b64 s[46:47], s[46:47]
	s_cbranch_execz .LBB112_18
; %bb.28:                               ;   in Loop: Header=BB112_19 Depth=3
	v_mad_u64_u32 v[38:39], s[50:51], v34, 24, v[36:37]
	ds_add_f64 v38, v[32:33] offset:2048
	s_andn2_b64 s[48:49], s[48:49], exec
	s_branch .LBB112_18
.LBB112_29:                             ;   in Loop: Header=BB112_17 Depth=2
	s_or_b64 exec, exec, s[44:45]
	s_waitcnt vmcnt(0)
	v_mul_f64 v[32:33], v[16:17], v[26:27]
	v_fmac_f64_e32 v[32:33], v[18:19], v[24:25]
	s_mov_b64 s[44:45], 0
	v_pk_mov_b32 v[34:35], v[22:23], v[22:23] op_sel:[0,1]
	s_branch .LBB112_31
.LBB112_30:                             ;   in Loop: Header=BB112_31 Depth=3
	s_or_b64 exec, exec, s[46:47]
	s_xor_b64 s[46:47], s[48:49], -1
	s_and_b64 s[46:47], exec, s[46:47]
	s_or_b64 s[44:45], s[46:47], s[44:45]
	s_andn2_b64 exec, exec, s[44:45]
	s_cbranch_execz .LBB112_41
.LBB112_31:                             ;   Parent Loop BB112_14 Depth=1
                                        ;     Parent Loop BB112_17 Depth=2
                                        ; =>    This Inner Loop Header: Depth=3
	v_lshl_add_u32 v36, v34, 3, 0
	ds_read_b64 v[38:39], v36
                                        ; implicit-def: $sgpr48_sgpr49
	s_waitcnt lgkmcnt(0)
	v_cmp_ne_u64_e32 vcc, v[38:39], v[20:21]
	s_and_saveexec_b64 s[46:47], vcc
	s_xor_b64 s[46:47], exec, s[46:47]
	s_cbranch_execz .LBB112_39
; %bb.32:                               ;   in Loop: Header=BB112_31 Depth=3
	v_cmp_ne_u64_e32 vcc, s[36:37], v[38:39]
                                        ; implicit-def: $sgpr48_sgpr49
	s_and_saveexec_b64 s[50:51], vcc
	s_xor_b64 s[50:51], exec, s[50:51]
; %bb.33:                               ;   in Loop: Header=BB112_31 Depth=3
	v_add_u32_e32 v34, 1, v34
	v_and_b32_e32 v34, 0xff, v34
	s_mov_b64 s[48:49], -1
                                        ; implicit-def: $vgpr36
; %bb.34:                               ;   in Loop: Header=BB112_31 Depth=3
	s_andn2_saveexec_b64 s[50:51], s[50:51]
	s_cbranch_execz .LBB112_38
; %bb.35:                               ;   in Loop: Header=BB112_31 Depth=3
	v_pk_mov_b32 v[38:39], s[36:37], s[36:37] op_sel:[0,1]
	ds_cmpst_rtn_b64 v[38:39], v36, v[38:39], v[20:21]
	s_mov_b64 s[52:53], -1
	s_waitcnt lgkmcnt(0)
	v_cmp_eq_u64_e32 vcc, s[36:37], v[38:39]
	s_and_saveexec_b64 s[54:55], vcc
	s_cbranch_execz .LBB112_37
; %bb.36:                               ;   in Loop: Header=BB112_31 Depth=3
	v_mad_u64_u32 v[38:39], s[52:53], v34, 24, v[36:37]
	ds_add_f64 v38, v[32:33] offset:2056
	s_xor_b64 s[52:53], exec, -1
.LBB112_37:                             ;   in Loop: Header=BB112_31 Depth=3
	s_or_b64 exec, exec, s[54:55]
	s_andn2_b64 s[48:49], s[48:49], exec
	s_and_b64 s[52:53], s[52:53], exec
	s_or_b64 s[48:49], s[48:49], s[52:53]
.LBB112_38:                             ;   in Loop: Header=BB112_31 Depth=3
	s_or_b64 exec, exec, s[50:51]
	s_and_b64 s[48:49], s[48:49], exec
                                        ; implicit-def: $vgpr36
.LBB112_39:                             ;   in Loop: Header=BB112_31 Depth=3
	s_andn2_saveexec_b64 s[46:47], s[46:47]
	s_cbranch_execz .LBB112_30
; %bb.40:                               ;   in Loop: Header=BB112_31 Depth=3
	v_mad_u64_u32 v[38:39], s[50:51], v34, 24, v[36:37]
	ds_add_f64 v38, v[32:33] offset:2056
	s_andn2_b64 s[48:49], s[48:49], exec
	s_branch .LBB112_30
.LBB112_41:                             ;   in Loop: Header=BB112_17 Depth=2
	s_or_b64 exec, exec, s[44:45]
	v_mul_f64 v[30:31], v[12:13], v[30:31]
	v_fmac_f64_e32 v[30:31], v[14:15], v[28:29]
	s_mov_b64 s[44:45], 0
	v_pk_mov_b32 v[28:29], v[22:23], v[22:23] op_sel:[0,1]
	s_branch .LBB112_43
.LBB112_42:                             ;   in Loop: Header=BB112_43 Depth=3
	s_or_b64 exec, exec, s[46:47]
	s_xor_b64 s[46:47], s[48:49], -1
	s_and_b64 s[46:47], exec, s[46:47]
	s_or_b64 s[44:45], s[46:47], s[44:45]
	s_andn2_b64 exec, exec, s[44:45]
	s_cbranch_execz .LBB112_53
.LBB112_43:                             ;   Parent Loop BB112_14 Depth=1
                                        ;     Parent Loop BB112_17 Depth=2
                                        ; =>    This Inner Loop Header: Depth=3
	v_lshl_add_u32 v32, v28, 3, 0
	ds_read_b64 v[34:35], v32
                                        ; implicit-def: $sgpr48_sgpr49
	s_waitcnt lgkmcnt(0)
	v_cmp_ne_u64_e32 vcc, v[34:35], v[20:21]
	s_and_saveexec_b64 s[46:47], vcc
	s_xor_b64 s[46:47], exec, s[46:47]
	s_cbranch_execz .LBB112_51
; %bb.44:                               ;   in Loop: Header=BB112_43 Depth=3
	v_cmp_ne_u64_e32 vcc, s[36:37], v[34:35]
                                        ; implicit-def: $sgpr48_sgpr49
	s_and_saveexec_b64 s[50:51], vcc
	s_xor_b64 s[50:51], exec, s[50:51]
; %bb.45:                               ;   in Loop: Header=BB112_43 Depth=3
	v_add_u32_e32 v28, 1, v28
	v_and_b32_e32 v28, 0xff, v28
	s_mov_b64 s[48:49], -1
                                        ; implicit-def: $vgpr32
; %bb.46:                               ;   in Loop: Header=BB112_43 Depth=3
	s_andn2_saveexec_b64 s[50:51], s[50:51]
	s_cbranch_execz .LBB112_50
; %bb.47:                               ;   in Loop: Header=BB112_43 Depth=3
	v_pk_mov_b32 v[34:35], s[36:37], s[36:37] op_sel:[0,1]
	ds_cmpst_rtn_b64 v[34:35], v32, v[34:35], v[20:21]
	s_mov_b64 s[52:53], -1
	s_waitcnt lgkmcnt(0)
	v_cmp_eq_u64_e32 vcc, s[36:37], v[34:35]
	s_and_saveexec_b64 s[54:55], vcc
	s_cbranch_execz .LBB112_49
; %bb.48:                               ;   in Loop: Header=BB112_43 Depth=3
	v_mad_u64_u32 v[32:33], s[52:53], v28, 24, v[32:33]
	ds_add_f64 v32, v[30:31] offset:2064
	s_xor_b64 s[52:53], exec, -1
.LBB112_49:                             ;   in Loop: Header=BB112_43 Depth=3
	s_or_b64 exec, exec, s[54:55]
	s_andn2_b64 s[48:49], s[48:49], exec
	s_and_b64 s[52:53], s[52:53], exec
	s_or_b64 s[48:49], s[48:49], s[52:53]
.LBB112_50:                             ;   in Loop: Header=BB112_43 Depth=3
	s_or_b64 exec, exec, s[50:51]
	s_and_b64 s[48:49], s[48:49], exec
                                        ; implicit-def: $vgpr32
.LBB112_51:                             ;   in Loop: Header=BB112_43 Depth=3
	s_andn2_saveexec_b64 s[46:47], s[46:47]
	s_cbranch_execz .LBB112_42
; %bb.52:                               ;   in Loop: Header=BB112_43 Depth=3
	v_mad_u64_u32 v[32:33], s[50:51], v28, 24, v[32:33]
	ds_add_f64 v32, v[30:31] offset:2064
	s_andn2_b64 s[48:49], s[48:49], exec
	s_branch .LBB112_42
.LBB112_53:                             ;   in Loop: Header=BB112_17 Depth=2
	s_or_b64 exec, exec, s[44:45]
	v_mul_f64 v[26:27], v[12:13], v[26:27]
	v_fmac_f64_e32 v[26:27], v[14:15], v[24:25]
	s_mov_b64 s[44:45], 0
	s_branch .LBB112_55
.LBB112_54:                             ;   in Loop: Header=BB112_55 Depth=3
	s_or_b64 exec, exec, s[46:47]
	s_xor_b64 s[46:47], s[48:49], -1
	s_and_b64 s[46:47], exec, s[46:47]
	s_or_b64 s[44:45], s[46:47], s[44:45]
	s_andn2_b64 exec, exec, s[44:45]
	s_cbranch_execz .LBB112_16
.LBB112_55:                             ;   Parent Loop BB112_14 Depth=1
                                        ;     Parent Loop BB112_17 Depth=2
                                        ; =>    This Inner Loop Header: Depth=3
	v_lshl_add_u32 v24, v22, 3, 0
	ds_read_b64 v[28:29], v24
                                        ; implicit-def: $sgpr48_sgpr49
	s_waitcnt lgkmcnt(0)
	v_cmp_ne_u64_e32 vcc, v[28:29], v[20:21]
	s_and_saveexec_b64 s[46:47], vcc
	s_xor_b64 s[46:47], exec, s[46:47]
	s_cbranch_execz .LBB112_63
; %bb.56:                               ;   in Loop: Header=BB112_55 Depth=3
	v_cmp_ne_u64_e32 vcc, s[36:37], v[28:29]
                                        ; implicit-def: $sgpr48_sgpr49
	s_and_saveexec_b64 s[50:51], vcc
	s_xor_b64 s[50:51], exec, s[50:51]
; %bb.57:                               ;   in Loop: Header=BB112_55 Depth=3
	v_add_u32_e32 v22, 1, v22
	v_and_b32_e32 v22, 0xff, v22
	s_mov_b64 s[48:49], -1
                                        ; implicit-def: $vgpr24
; %bb.58:                               ;   in Loop: Header=BB112_55 Depth=3
	s_andn2_saveexec_b64 s[50:51], s[50:51]
	s_cbranch_execz .LBB112_62
; %bb.59:                               ;   in Loop: Header=BB112_55 Depth=3
	v_pk_mov_b32 v[28:29], s[36:37], s[36:37] op_sel:[0,1]
	ds_cmpst_rtn_b64 v[28:29], v24, v[28:29], v[20:21]
	s_mov_b64 s[52:53], -1
	s_waitcnt lgkmcnt(0)
	v_cmp_eq_u64_e32 vcc, s[36:37], v[28:29]
	s_and_saveexec_b64 s[54:55], vcc
	s_cbranch_execz .LBB112_61
; %bb.60:                               ;   in Loop: Header=BB112_55 Depth=3
	v_mad_u64_u32 v[24:25], s[52:53], v22, 24, v[24:25]
	ds_add_f64 v24, v[26:27] offset:2072
	s_xor_b64 s[52:53], exec, -1
.LBB112_61:                             ;   in Loop: Header=BB112_55 Depth=3
	s_or_b64 exec, exec, s[54:55]
	s_andn2_b64 s[48:49], s[48:49], exec
	s_and_b64 s[52:53], s[52:53], exec
	s_or_b64 s[48:49], s[48:49], s[52:53]
.LBB112_62:                             ;   in Loop: Header=BB112_55 Depth=3
	s_or_b64 exec, exec, s[50:51]
	s_and_b64 s[48:49], s[48:49], exec
                                        ; implicit-def: $vgpr24
.LBB112_63:                             ;   in Loop: Header=BB112_55 Depth=3
	s_andn2_saveexec_b64 s[46:47], s[46:47]
	s_cbranch_execz .LBB112_54
; %bb.64:                               ;   in Loop: Header=BB112_55 Depth=3
	v_mad_u64_u32 v[24:25], s[50:51], v22, 24, v[24:25]
	ds_add_f64 v24, v[26:27] offset:2072
	s_andn2_b64 s[48:49], s[48:49], exec
	s_branch .LBB112_54
.LBB112_65:
	s_or_b64 exec, exec, s[16:17]
.LBB112_66:
	s_andn2_b64 vcc, exec, s[2:3]
	s_waitcnt lgkmcnt(0)
	s_barrier
	s_cbranch_vccnz .LBB112_119
; %bb.67:
	s_lshl_b64 s[2:3], s[6:7], 3
	s_add_u32 s2, s8, s2
	s_addc_u32 s3, s9, s3
	s_load_dwordx4 s[20:23], s[2:3], 0x0
	s_waitcnt vmcnt(0)
	v_subrev_co_u32_e32 v4, vcc, s31, v0
	v_subb_co_u32_e64 v5, s[4:5], 0, 0, vcc
	s_waitcnt lgkmcnt(0)
	s_sub_u32 s2, s22, s31
	v_mov_b32_e32 v6, s21
	v_add_co_u32_e32 v4, vcc, s20, v4
	s_subb_u32 s3, s23, 0
	v_addc_co_u32_e32 v5, vcc, v6, v5, vcc
	s_mov_b32 s16, 0
	v_cmp_gt_i64_e32 vcc, s[2:3], v[4:5]
	s_and_saveexec_b64 s[4:5], vcc
	s_cbranch_execz .LBB112_118
; %bb.68:
	s_cmp_eq_u32 s33, 0
	s_mov_b32 s38, s31
	s_cselect_b32 s31, 1, 2
	s_cselect_b32 s39, 2, 1
	s_mov_b64 s[8:9], 0
	v_mov_b32_e32 v9, s13
	v_mov_b32_e32 v24, s11
	;; [unrolled: 1-line block ×3, first 2 shown]
	s_movk_i32 s11, 0x89
	s_branch .LBB112_70
.LBB112_69:                             ;   in Loop: Header=BB112_70 Depth=1
	s_or_b64 exec, exec, s[16:17]
	v_add_co_u32_e32 v4, vcc, 0x100, v4
	v_addc_co_u32_e32 v5, vcc, 0, v5, vcc
	v_cmp_le_i64_e32 vcc, s[2:3], v[4:5]
	s_or_b64 s[8:9], vcc, s[8:9]
	s_andn2_b64 exec, exec, s[8:9]
	s_cbranch_execz .LBB112_118
.LBB112_70:                             ; =>This Loop Header: Depth=1
                                        ;     Child Loop BB112_72 Depth 2
                                        ;     Child Loop BB112_84 Depth 2
	;; [unrolled: 1-line block ×4, first 2 shown]
	v_lshlrev_b64 v[6:7], 2, v[4:5]
	v_lshlrev_b64 v[12:13], 5, v[4:5]
	v_or_b32_e32 v11, 0, v7
	v_or_b32_e32 v10, s31, v6
	v_add_co_u32_e32 v16, vcc, s12, v12
	v_addc_co_u32_e32 v17, vcc, v9, v13, vcc
	v_lshlrev_b64 v[10:11], 3, v[10:11]
	v_add_co_u32_e32 v20, vcc, s12, v10
	v_addc_co_u32_e32 v21, vcc, v9, v11, vcc
	v_lshlrev_b64 v[10:11], 3, v[4:5]
	v_add_co_u32_e32 v10, vcc, s10, v10
	v_or_b32_e32 v7, 0, v7
	v_or_b32_e32 v6, s39, v6
	v_addc_co_u32_e32 v11, vcc, v24, v11, vcc
	v_lshlrev_b64 v[6:7], 3, v[6:7]
	global_load_dwordx2 v[22:23], v[10:11], off
	v_add_co_u32_e32 v6, vcc, s12, v6
	v_addc_co_u32_e32 v7, vcc, v9, v7, vcc
	global_load_dwordx2 v[18:19], v[16:17], off
	global_load_dwordx2 v[12:13], v[6:7], off
	;; [unrolled: 1-line block ×3, first 2 shown]
	global_load_dwordx2 v[10:11], v[16:17], off offset:24
	s_mov_b64 s[16:17], 0
	s_waitcnt vmcnt(4)
	v_subrev_co_u32_e32 v6, vcc, s38, v22
	v_mul_lo_u32 v8, v6, s11
	v_and_b32_e32 v8, 0xff, v8
	v_subb_co_u32_e32 v7, vcc, v23, v25, vcc
	s_waitcnt vmcnt(3)
	v_mul_f64 v[16:17], v[2:3], v[18:19]
	v_pk_mov_b32 v[18:19], v[8:9], v[8:9] op_sel:[0,1]
	s_branch .LBB112_72
.LBB112_71:                             ;   in Loop: Header=BB112_72 Depth=2
	s_or_b64 exec, exec, s[18:19]
	s_xor_b64 s[18:19], s[20:21], -1
	s_and_b64 s[18:19], exec, s[18:19]
	s_or_b64 s[16:17], s[18:19], s[16:17]
	s_andn2_b64 exec, exec, s[16:17]
	s_cbranch_execz .LBB112_82
.LBB112_72:                             ;   Parent Loop BB112_70 Depth=1
                                        ; =>  This Inner Loop Header: Depth=2
	v_lshl_add_u32 v20, v18, 3, 0
	ds_read_b64 v[22:23], v20
                                        ; implicit-def: $sgpr20_sgpr21
	s_waitcnt lgkmcnt(0)
	v_cmp_ne_u64_e32 vcc, v[22:23], v[6:7]
	s_and_saveexec_b64 s[18:19], vcc
	s_xor_b64 s[18:19], exec, s[18:19]
	s_cbranch_execz .LBB112_80
; %bb.73:                               ;   in Loop: Header=BB112_72 Depth=2
	v_cmp_ne_u64_e32 vcc, s[36:37], v[22:23]
                                        ; implicit-def: $sgpr20_sgpr21
	s_and_saveexec_b64 s[22:23], vcc
	s_xor_b64 s[22:23], exec, s[22:23]
; %bb.74:                               ;   in Loop: Header=BB112_72 Depth=2
	v_add_u32_e32 v18, 1, v18
	v_and_b32_e32 v18, 0xff, v18
	s_mov_b64 s[20:21], -1
                                        ; implicit-def: $vgpr20
; %bb.75:                               ;   in Loop: Header=BB112_72 Depth=2
	s_andn2_saveexec_b64 s[22:23], s[22:23]
	s_cbranch_execz .LBB112_79
; %bb.76:                               ;   in Loop: Header=BB112_72 Depth=2
	v_pk_mov_b32 v[22:23], s[36:37], s[36:37] op_sel:[0,1]
	ds_cmpst_rtn_b64 v[22:23], v20, v[22:23], v[6:7]
	s_mov_b64 s[28:29], -1
	s_waitcnt lgkmcnt(0)
	v_cmp_eq_u64_e32 vcc, s[36:37], v[22:23]
	s_and_saveexec_b64 s[34:35], vcc
	s_cbranch_execz .LBB112_78
; %bb.77:                               ;   in Loop: Header=BB112_72 Depth=2
	v_mad_u64_u32 v[20:21], s[28:29], v18, 24, v[20:21]
	ds_add_f64 v20, v[16:17] offset:2048
	s_xor_b64 s[28:29], exec, -1
.LBB112_78:                             ;   in Loop: Header=BB112_72 Depth=2
	s_or_b64 exec, exec, s[34:35]
	s_andn2_b64 s[20:21], s[20:21], exec
	s_and_b64 s[28:29], s[28:29], exec
	s_or_b64 s[20:21], s[20:21], s[28:29]
.LBB112_79:                             ;   in Loop: Header=BB112_72 Depth=2
	s_or_b64 exec, exec, s[22:23]
	s_and_b64 s[20:21], s[20:21], exec
                                        ; implicit-def: $vgpr20
.LBB112_80:                             ;   in Loop: Header=BB112_72 Depth=2
	s_andn2_saveexec_b64 s[18:19], s[18:19]
	s_cbranch_execz .LBB112_71
; %bb.81:                               ;   in Loop: Header=BB112_72 Depth=2
	v_mad_u64_u32 v[20:21], s[22:23], v18, 24, v[20:21]
	ds_add_f64 v20, v[16:17] offset:2048
	s_andn2_b64 s[20:21], s[20:21], exec
	s_branch .LBB112_71
.LBB112_82:                             ;   in Loop: Header=BB112_70 Depth=1
	s_or_b64 exec, exec, s[16:17]
	s_waitcnt vmcnt(1)
	v_mul_f64 v[14:15], v[2:3], v[14:15]
	s_mov_b64 s[16:17], 0
	v_pk_mov_b32 v[16:17], v[8:9], v[8:9] op_sel:[0,1]
	s_branch .LBB112_84
.LBB112_83:                             ;   in Loop: Header=BB112_84 Depth=2
	s_or_b64 exec, exec, s[18:19]
	s_xor_b64 s[18:19], s[20:21], -1
	s_and_b64 s[18:19], exec, s[18:19]
	s_or_b64 s[16:17], s[18:19], s[16:17]
	s_andn2_b64 exec, exec, s[16:17]
	s_cbranch_execz .LBB112_94
.LBB112_84:                             ;   Parent Loop BB112_70 Depth=1
                                        ; =>  This Inner Loop Header: Depth=2
	v_lshl_add_u32 v18, v16, 3, 0
	ds_read_b64 v[20:21], v18
                                        ; implicit-def: $sgpr20_sgpr21
	s_waitcnt lgkmcnt(0)
	v_cmp_ne_u64_e32 vcc, v[20:21], v[6:7]
	s_and_saveexec_b64 s[18:19], vcc
	s_xor_b64 s[18:19], exec, s[18:19]
	s_cbranch_execz .LBB112_92
; %bb.85:                               ;   in Loop: Header=BB112_84 Depth=2
	v_cmp_ne_u64_e32 vcc, s[36:37], v[20:21]
                                        ; implicit-def: $sgpr20_sgpr21
	s_and_saveexec_b64 s[22:23], vcc
	s_xor_b64 s[22:23], exec, s[22:23]
; %bb.86:                               ;   in Loop: Header=BB112_84 Depth=2
	v_add_u32_e32 v16, 1, v16
	v_and_b32_e32 v16, 0xff, v16
	s_mov_b64 s[20:21], -1
                                        ; implicit-def: $vgpr18
; %bb.87:                               ;   in Loop: Header=BB112_84 Depth=2
	s_andn2_saveexec_b64 s[22:23], s[22:23]
	s_cbranch_execz .LBB112_91
; %bb.88:                               ;   in Loop: Header=BB112_84 Depth=2
	v_pk_mov_b32 v[20:21], s[36:37], s[36:37] op_sel:[0,1]
	ds_cmpst_rtn_b64 v[20:21], v18, v[20:21], v[6:7]
	s_mov_b64 s[28:29], -1
	s_waitcnt lgkmcnt(0)
	v_cmp_eq_u64_e32 vcc, s[36:37], v[20:21]
	s_and_saveexec_b64 s[34:35], vcc
	s_cbranch_execz .LBB112_90
; %bb.89:                               ;   in Loop: Header=BB112_84 Depth=2
	v_mad_u64_u32 v[18:19], s[28:29], v16, 24, v[18:19]
	ds_add_f64 v18, v[14:15] offset:2056
	s_xor_b64 s[28:29], exec, -1
.LBB112_90:                             ;   in Loop: Header=BB112_84 Depth=2
	s_or_b64 exec, exec, s[34:35]
	s_andn2_b64 s[20:21], s[20:21], exec
	s_and_b64 s[28:29], s[28:29], exec
	s_or_b64 s[20:21], s[20:21], s[28:29]
.LBB112_91:                             ;   in Loop: Header=BB112_84 Depth=2
	s_or_b64 exec, exec, s[22:23]
	s_and_b64 s[20:21], s[20:21], exec
                                        ; implicit-def: $vgpr18
.LBB112_92:                             ;   in Loop: Header=BB112_84 Depth=2
	s_andn2_saveexec_b64 s[18:19], s[18:19]
	s_cbranch_execz .LBB112_83
; %bb.93:                               ;   in Loop: Header=BB112_84 Depth=2
	v_mad_u64_u32 v[18:19], s[22:23], v16, 24, v[18:19]
	ds_add_f64 v18, v[14:15] offset:2056
	s_andn2_b64 s[20:21], s[20:21], exec
	s_branch .LBB112_83
.LBB112_94:                             ;   in Loop: Header=BB112_70 Depth=1
	s_or_b64 exec, exec, s[16:17]
	v_mul_f64 v[12:13], v[2:3], v[12:13]
	s_mov_b64 s[16:17], 0
	v_pk_mov_b32 v[14:15], v[8:9], v[8:9] op_sel:[0,1]
	s_branch .LBB112_96
.LBB112_95:                             ;   in Loop: Header=BB112_96 Depth=2
	s_or_b64 exec, exec, s[18:19]
	s_xor_b64 s[18:19], s[20:21], -1
	s_and_b64 s[18:19], exec, s[18:19]
	s_or_b64 s[16:17], s[18:19], s[16:17]
	s_andn2_b64 exec, exec, s[16:17]
	s_cbranch_execz .LBB112_106
.LBB112_96:                             ;   Parent Loop BB112_70 Depth=1
                                        ; =>  This Inner Loop Header: Depth=2
	v_lshl_add_u32 v16, v14, 3, 0
	ds_read_b64 v[18:19], v16
                                        ; implicit-def: $sgpr20_sgpr21
	s_waitcnt lgkmcnt(0)
	v_cmp_ne_u64_e32 vcc, v[18:19], v[6:7]
	s_and_saveexec_b64 s[18:19], vcc
	s_xor_b64 s[18:19], exec, s[18:19]
	s_cbranch_execz .LBB112_104
; %bb.97:                               ;   in Loop: Header=BB112_96 Depth=2
	v_cmp_ne_u64_e32 vcc, s[36:37], v[18:19]
                                        ; implicit-def: $sgpr20_sgpr21
	s_and_saveexec_b64 s[22:23], vcc
	s_xor_b64 s[22:23], exec, s[22:23]
; %bb.98:                               ;   in Loop: Header=BB112_96 Depth=2
	v_add_u32_e32 v14, 1, v14
	v_and_b32_e32 v14, 0xff, v14
	s_mov_b64 s[20:21], -1
                                        ; implicit-def: $vgpr16
; %bb.99:                               ;   in Loop: Header=BB112_96 Depth=2
	s_andn2_saveexec_b64 s[22:23], s[22:23]
	s_cbranch_execz .LBB112_103
; %bb.100:                              ;   in Loop: Header=BB112_96 Depth=2
	v_pk_mov_b32 v[18:19], s[36:37], s[36:37] op_sel:[0,1]
	ds_cmpst_rtn_b64 v[18:19], v16, v[18:19], v[6:7]
	s_mov_b64 s[28:29], -1
	s_waitcnt lgkmcnt(0)
	v_cmp_eq_u64_e32 vcc, s[36:37], v[18:19]
	s_and_saveexec_b64 s[34:35], vcc
	s_cbranch_execz .LBB112_102
; %bb.101:                              ;   in Loop: Header=BB112_96 Depth=2
	v_mad_u64_u32 v[16:17], s[28:29], v14, 24, v[16:17]
	ds_add_f64 v16, v[12:13] offset:2064
	s_xor_b64 s[28:29], exec, -1
.LBB112_102:                            ;   in Loop: Header=BB112_96 Depth=2
	s_or_b64 exec, exec, s[34:35]
	s_andn2_b64 s[20:21], s[20:21], exec
	s_and_b64 s[28:29], s[28:29], exec
	s_or_b64 s[20:21], s[20:21], s[28:29]
.LBB112_103:                            ;   in Loop: Header=BB112_96 Depth=2
	s_or_b64 exec, exec, s[22:23]
	s_and_b64 s[20:21], s[20:21], exec
                                        ; implicit-def: $vgpr16
.LBB112_104:                            ;   in Loop: Header=BB112_96 Depth=2
	s_andn2_saveexec_b64 s[18:19], s[18:19]
	s_cbranch_execz .LBB112_95
; %bb.105:                              ;   in Loop: Header=BB112_96 Depth=2
	v_mad_u64_u32 v[16:17], s[22:23], v14, 24, v[16:17]
	ds_add_f64 v16, v[12:13] offset:2064
	s_andn2_b64 s[20:21], s[20:21], exec
	s_branch .LBB112_95
.LBB112_106:                            ;   in Loop: Header=BB112_70 Depth=1
	s_or_b64 exec, exec, s[16:17]
	s_waitcnt vmcnt(0)
	v_mul_f64 v[10:11], v[2:3], v[10:11]
	s_mov_b64 s[16:17], 0
	s_branch .LBB112_108
.LBB112_107:                            ;   in Loop: Header=BB112_108 Depth=2
	s_or_b64 exec, exec, s[18:19]
	s_xor_b64 s[18:19], s[20:21], -1
	s_and_b64 s[18:19], exec, s[18:19]
	s_or_b64 s[16:17], s[18:19], s[16:17]
	s_andn2_b64 exec, exec, s[16:17]
	s_cbranch_execz .LBB112_69
.LBB112_108:                            ;   Parent Loop BB112_70 Depth=1
                                        ; =>  This Inner Loop Header: Depth=2
	v_lshl_add_u32 v12, v8, 3, 0
	ds_read_b64 v[14:15], v12
                                        ; implicit-def: $sgpr20_sgpr21
	s_waitcnt lgkmcnt(0)
	v_cmp_ne_u64_e32 vcc, v[14:15], v[6:7]
	s_and_saveexec_b64 s[18:19], vcc
	s_xor_b64 s[18:19], exec, s[18:19]
	s_cbranch_execz .LBB112_116
; %bb.109:                              ;   in Loop: Header=BB112_108 Depth=2
	v_cmp_ne_u64_e32 vcc, s[36:37], v[14:15]
                                        ; implicit-def: $sgpr20_sgpr21
	s_and_saveexec_b64 s[22:23], vcc
	s_xor_b64 s[22:23], exec, s[22:23]
; %bb.110:                              ;   in Loop: Header=BB112_108 Depth=2
	v_add_u32_e32 v8, 1, v8
	v_and_b32_e32 v8, 0xff, v8
	s_mov_b64 s[20:21], -1
                                        ; implicit-def: $vgpr12
; %bb.111:                              ;   in Loop: Header=BB112_108 Depth=2
	s_andn2_saveexec_b64 s[22:23], s[22:23]
	s_cbranch_execz .LBB112_115
; %bb.112:                              ;   in Loop: Header=BB112_108 Depth=2
	v_pk_mov_b32 v[14:15], s[36:37], s[36:37] op_sel:[0,1]
	ds_cmpst_rtn_b64 v[14:15], v12, v[14:15], v[6:7]
	s_mov_b64 s[28:29], -1
	s_waitcnt lgkmcnt(0)
	v_cmp_eq_u64_e32 vcc, s[36:37], v[14:15]
	s_and_saveexec_b64 s[34:35], vcc
	s_cbranch_execz .LBB112_114
; %bb.113:                              ;   in Loop: Header=BB112_108 Depth=2
	v_mad_u64_u32 v[12:13], s[28:29], v8, 24, v[12:13]
	ds_add_f64 v12, v[10:11] offset:2072
	s_xor_b64 s[28:29], exec, -1
.LBB112_114:                            ;   in Loop: Header=BB112_108 Depth=2
	s_or_b64 exec, exec, s[34:35]
	s_andn2_b64 s[20:21], s[20:21], exec
	s_and_b64 s[28:29], s[28:29], exec
	s_or_b64 s[20:21], s[20:21], s[28:29]
.LBB112_115:                            ;   in Loop: Header=BB112_108 Depth=2
	s_or_b64 exec, exec, s[22:23]
	s_and_b64 s[20:21], s[20:21], exec
                                        ; implicit-def: $vgpr12
.LBB112_116:                            ;   in Loop: Header=BB112_108 Depth=2
	s_andn2_saveexec_b64 s[18:19], s[18:19]
	s_cbranch_execz .LBB112_107
; %bb.117:                              ;   in Loop: Header=BB112_108 Depth=2
	v_mad_u64_u32 v[12:13], s[22:23], v8, 24, v[12:13]
	ds_add_f64 v12, v[10:11] offset:2072
	s_andn2_b64 s[20:21], s[20:21], exec
	s_branch .LBB112_107
.LBB112_118:
	s_or_b64 exec, exec, s[4:5]
.LBB112_119:
	s_waitcnt lgkmcnt(0)
	s_barrier
	s_and_saveexec_b64 s[2:3], s[0:1]
	s_cbranch_execz .LBB112_124
; %bb.120:
	s_waitcnt vmcnt(0)
	ds_read_b64 v[2:3], v1
	s_mov_b32 s0, 0
	s_waitcnt lgkmcnt(0)
	v_cmp_gt_i64_e32 vcc, s[36:37], v[2:3]
	s_and_b64 exec, exec, vcc
	s_cbranch_execz .LBB112_124
; %bb.121:
	s_lshl_b64 s[2:3], s[6:7], 3
	s_add_u32 s2, s14, s2
	s_addc_u32 s3, s15, s3
	s_load_dwordx2 s[2:3], s[2:3], 0x0
	s_mov_b32 s1, s0
	s_waitcnt lgkmcnt(0)
	s_sub_u32 s2, s2, s30
	s_subb_u32 s3, s3, 0
	v_pk_mov_b32 v[4:5], s[2:3], s[2:3] op_sel:[0,1]
.LBB112_122:                            ; =>This Inner Loop Header: Depth=1
	s_add_i32 s2, s1, 0
	v_mov_b32_e32 v1, s2
	ds_read2_b64 v[6:9], v1 offset1:1
	ds_read2_b64 v[10:13], v1 offset0:2 offset1:3
	ds_read2_b64 v[14:17], v1 offset0:4 offset1:5
	;; [unrolled: 1-line block ×7, first 2 shown]
	s_waitcnt lgkmcnt(7)
	v_cmp_gt_i64_e32 vcc, v[2:3], v[6:7]
	v_cndmask_b32_e64 v1, 0, 1, vcc
	v_cmp_gt_i64_e32 vcc, v[2:3], v[8:9]
	v_cndmask_b32_e64 v6, 0, 1, vcc
	s_waitcnt lgkmcnt(6)
	v_cmp_gt_i64_e32 vcc, v[2:3], v[10:11]
	v_cndmask_b32_e64 v7, 0, 1, vcc
	v_cmp_gt_i64_e32 vcc, v[2:3], v[12:13]
	v_cndmask_b32_e64 v8, 0, 1, vcc
	;; [unrolled: 5-line block ×8, first 2 shown]
	v_add_co_u32_e32 v1, vcc, v4, v1
	v_addc_co_u32_e32 v4, vcc, 0, v5, vcc
	v_add_co_u32_e32 v1, vcc, v1, v6
	v_addc_co_u32_e32 v4, vcc, 0, v4, vcc
	;; [unrolled: 2-line block ×15, first 2 shown]
	s_addk_i32 s1, 0x80
	v_add_co_u32_e32 v4, vcc, v1, v20
	s_cmpk_lg_i32 s1, 0x800
	v_addc_co_u32_e32 v5, vcc, 0, v5, vcc
	s_cbranch_scc1 .LBB112_122
; %bb.123:
	v_mov_b32_e32 v1, s0
	v_add_co_u32_e32 v2, vcc, s30, v2
	v_addc_co_u32_e32 v3, vcc, v3, v1, vcc
	v_lshlrev_b64 v[6:7], 3, v[4:5]
	v_mov_b32_e32 v1, s25
	v_add_co_u32_e32 v6, vcc, s24, v6
	s_add_i32 s1, 0, 0x800
	v_addc_co_u32_e32 v7, vcc, v1, v7, vcc
	s_cmp_eq_u32 s33, 0
	global_store_dwordx2 v[6:7], v[2:3], off
	v_lshlrev_b32_e32 v3, 5, v0
	v_lshlrev_b32_e32 v2, 2, v0
	v_add_u32_e32 v6, s1, v3
	s_cselect_b32 s0, 1, 2
	s_cselect_b32 s1, 2, 1
	v_add_u32_e32 v0, 0, v3
	v_or_b32_e32 v3, s0, v2
	v_or_b32_e32 v2, s1, v2
	v_lshl_add_u32 v3, v3, 3, 0
	v_lshl_add_u32 v2, v2, 3, 0
	ds_read_b64 v[0:1], v0 offset:2048
	v_lshlrev_b64 v[8:9], 5, v[4:5]
	ds_read_b64 v[4:5], v2 offset:2048
	ds_read_b64 v[2:3], v3 offset:2048
	;; [unrolled: 1-line block ×3, first 2 shown]
	v_mov_b32_e32 v10, s27
	v_add_co_u32_e32 v8, vcc, s26, v8
	v_addc_co_u32_e32 v9, vcc, v10, v9, vcc
	s_waitcnt lgkmcnt(1)
	global_store_dwordx4 v[8:9], v[0:3], off
	s_waitcnt lgkmcnt(0)
	global_store_dwordx4 v[8:9], v[4:7], off offset:16
.LBB112_124:
	s_endpgm
	.section	.rodata,"a",@progbits
	.p2align	6, 0x0
	.amdhsa_kernel _ZN9rocsparseL30bsrgemm_fill_block_per_row_2x2ILj256ELj16ELj256ELj137ElldEEv20rocsparse_direction_T4_S2_PKS2_S4_NS_24const_host_device_scalarIT5_EEPKT3_S4_PKS6_SA_S4_SC_S7_SA_S4_SC_SA_PS2_PS6_21rocsparse_index_base_SF_SF_SF_bbb
		.amdhsa_group_segment_fixed_size 0
		.amdhsa_private_segment_fixed_size 0
		.amdhsa_kernarg_size 172
		.amdhsa_user_sgpr_count 6
		.amdhsa_user_sgpr_private_segment_buffer 1
		.amdhsa_user_sgpr_dispatch_ptr 0
		.amdhsa_user_sgpr_queue_ptr 0
		.amdhsa_user_sgpr_kernarg_segment_ptr 1
		.amdhsa_user_sgpr_dispatch_id 0
		.amdhsa_user_sgpr_flat_scratch_init 0
		.amdhsa_user_sgpr_kernarg_preload_length 0
		.amdhsa_user_sgpr_kernarg_preload_offset 0
		.amdhsa_user_sgpr_private_segment_size 0
		.amdhsa_uses_dynamic_stack 0
		.amdhsa_system_sgpr_private_segment_wavefront_offset 0
		.amdhsa_system_sgpr_workgroup_id_x 1
		.amdhsa_system_sgpr_workgroup_id_y 0
		.amdhsa_system_sgpr_workgroup_id_z 0
		.amdhsa_system_sgpr_workgroup_info 0
		.amdhsa_system_vgpr_workitem_id 0
		.amdhsa_next_free_vgpr 44
		.amdhsa_next_free_sgpr 61
		.amdhsa_accum_offset 44
		.amdhsa_reserve_vcc 1
		.amdhsa_reserve_flat_scratch 0
		.amdhsa_float_round_mode_32 0
		.amdhsa_float_round_mode_16_64 0
		.amdhsa_float_denorm_mode_32 3
		.amdhsa_float_denorm_mode_16_64 3
		.amdhsa_dx10_clamp 1
		.amdhsa_ieee_mode 1
		.amdhsa_fp16_overflow 0
		.amdhsa_tg_split 0
		.amdhsa_exception_fp_ieee_invalid_op 0
		.amdhsa_exception_fp_denorm_src 0
		.amdhsa_exception_fp_ieee_div_zero 0
		.amdhsa_exception_fp_ieee_overflow 0
		.amdhsa_exception_fp_ieee_underflow 0
		.amdhsa_exception_fp_ieee_inexact 0
		.amdhsa_exception_int_div_zero 0
	.end_amdhsa_kernel
	.section	.text._ZN9rocsparseL30bsrgemm_fill_block_per_row_2x2ILj256ELj16ELj256ELj137ElldEEv20rocsparse_direction_T4_S2_PKS2_S4_NS_24const_host_device_scalarIT5_EEPKT3_S4_PKS6_SA_S4_SC_S7_SA_S4_SC_SA_PS2_PS6_21rocsparse_index_base_SF_SF_SF_bbb,"axG",@progbits,_ZN9rocsparseL30bsrgemm_fill_block_per_row_2x2ILj256ELj16ELj256ELj137ElldEEv20rocsparse_direction_T4_S2_PKS2_S4_NS_24const_host_device_scalarIT5_EEPKT3_S4_PKS6_SA_S4_SC_S7_SA_S4_SC_SA_PS2_PS6_21rocsparse_index_base_SF_SF_SF_bbb,comdat
.Lfunc_end112:
	.size	_ZN9rocsparseL30bsrgemm_fill_block_per_row_2x2ILj256ELj16ELj256ELj137ElldEEv20rocsparse_direction_T4_S2_PKS2_S4_NS_24const_host_device_scalarIT5_EEPKT3_S4_PKS6_SA_S4_SC_S7_SA_S4_SC_SA_PS2_PS6_21rocsparse_index_base_SF_SF_SF_bbb, .Lfunc_end112-_ZN9rocsparseL30bsrgemm_fill_block_per_row_2x2ILj256ELj16ELj256ELj137ElldEEv20rocsparse_direction_T4_S2_PKS2_S4_NS_24const_host_device_scalarIT5_EEPKT3_S4_PKS6_SA_S4_SC_S7_SA_S4_SC_SA_PS2_PS6_21rocsparse_index_base_SF_SF_SF_bbb
                                        ; -- End function
	.section	.AMDGPU.csdata,"",@progbits
; Kernel info:
; codeLenInByte = 3996
; NumSgprs: 65
; NumVgprs: 44
; NumAgprs: 0
; TotalNumVgprs: 44
; ScratchSize: 0
; MemoryBound: 0
; FloatMode: 240
; IeeeMode: 1
; LDSByteSize: 0 bytes/workgroup (compile time only)
; SGPRBlocks: 8
; VGPRBlocks: 5
; NumSGPRsForWavesPerEU: 65
; NumVGPRsForWavesPerEU: 44
; AccumOffset: 44
; Occupancy: 8
; WaveLimiterHint : 1
; COMPUTE_PGM_RSRC2:SCRATCH_EN: 0
; COMPUTE_PGM_RSRC2:USER_SGPR: 6
; COMPUTE_PGM_RSRC2:TRAP_HANDLER: 0
; COMPUTE_PGM_RSRC2:TGID_X_EN: 1
; COMPUTE_PGM_RSRC2:TGID_Y_EN: 0
; COMPUTE_PGM_RSRC2:TGID_Z_EN: 0
; COMPUTE_PGM_RSRC2:TIDIG_COMP_CNT: 0
; COMPUTE_PGM_RSRC3_GFX90A:ACCUM_OFFSET: 10
; COMPUTE_PGM_RSRC3_GFX90A:TG_SPLIT: 0
	.section	.text._ZN9rocsparseL30bsrgemm_fill_block_per_row_2x2ILj256ELj16ELj512ELj137ElldEEv20rocsparse_direction_T4_S2_PKS2_S4_NS_24const_host_device_scalarIT5_EEPKT3_S4_PKS6_SA_S4_SC_S7_SA_S4_SC_SA_PS2_PS6_21rocsparse_index_base_SF_SF_SF_bbb,"axG",@progbits,_ZN9rocsparseL30bsrgemm_fill_block_per_row_2x2ILj256ELj16ELj512ELj137ElldEEv20rocsparse_direction_T4_S2_PKS2_S4_NS_24const_host_device_scalarIT5_EEPKT3_S4_PKS6_SA_S4_SC_S7_SA_S4_SC_SA_PS2_PS6_21rocsparse_index_base_SF_SF_SF_bbb,comdat
	.globl	_ZN9rocsparseL30bsrgemm_fill_block_per_row_2x2ILj256ELj16ELj512ELj137ElldEEv20rocsparse_direction_T4_S2_PKS2_S4_NS_24const_host_device_scalarIT5_EEPKT3_S4_PKS6_SA_S4_SC_S7_SA_S4_SC_SA_PS2_PS6_21rocsparse_index_base_SF_SF_SF_bbb ; -- Begin function _ZN9rocsparseL30bsrgemm_fill_block_per_row_2x2ILj256ELj16ELj512ELj137ElldEEv20rocsparse_direction_T4_S2_PKS2_S4_NS_24const_host_device_scalarIT5_EEPKT3_S4_PKS6_SA_S4_SC_S7_SA_S4_SC_SA_PS2_PS6_21rocsparse_index_base_SF_SF_SF_bbb
	.p2align	8
	.type	_ZN9rocsparseL30bsrgemm_fill_block_per_row_2x2ILj256ELj16ELj512ELj137ElldEEv20rocsparse_direction_T4_S2_PKS2_S4_NS_24const_host_device_scalarIT5_EEPKT3_S4_PKS6_SA_S4_SC_S7_SA_S4_SC_SA_PS2_PS6_21rocsparse_index_base_SF_SF_SF_bbb,@function
_ZN9rocsparseL30bsrgemm_fill_block_per_row_2x2ILj256ELj16ELj512ELj137ElldEEv20rocsparse_direction_T4_S2_PKS2_S4_NS_24const_host_device_scalarIT5_EEPKT3_S4_PKS6_SA_S4_SC_S7_SA_S4_SC_SA_PS2_PS6_21rocsparse_index_base_SF_SF_SF_bbb: ; @_ZN9rocsparseL30bsrgemm_fill_block_per_row_2x2ILj256ELj16ELj512ELj137ElldEEv20rocsparse_direction_T4_S2_PKS2_S4_NS_24const_host_device_scalarIT5_EEPKT3_S4_PKS6_SA_S4_SC_S7_SA_S4_SC_SA_PS2_PS6_21rocsparse_index_base_SF_SF_SF_bbb
; %bb.0:
	s_load_dword s7, s[4:5], 0xa8
	s_load_dwordx2 s[8:9], s[4:5], 0x28
	s_load_dwordx2 s[0:1], s[4:5], 0x60
	s_waitcnt lgkmcnt(0)
	s_and_b32 s10, 1, s7
	s_bitcmp1_b32 s7, 16
	s_cselect_b64 s[2:3], -1, 0
	s_cmp_eq_u32 s10, 1
	s_cselect_b64 s[44:45], -1, 0
	s_and_b64 s[10:11], s[44:45], exec
	s_cselect_b32 s11, s9, 0
	s_cselect_b32 s10, s8, 0
	s_xor_b64 s[12:13], s[44:45], -1
	s_or_b64 s[12:13], s[12:13], s[2:3]
	s_and_b64 vcc, exec, s[12:13]
	v_pk_mov_b32 v[4:5], s[10:11], s[10:11] op_sel:[0,1]
	s_cbranch_vccnz .LBB113_2
; %bb.1:
	v_pk_mov_b32 v[2:3], s[8:9], s[8:9] op_sel:[0,1]
	flat_load_dwordx2 v[4:5], v[2:3]
.LBB113_2:
	s_bitcmp1_b32 s7, 8
	s_cselect_b64 s[34:35], -1, 0
	s_and_b64 s[8:9], s[34:35], exec
	s_cselect_b32 s9, s1, 0
	s_cselect_b32 s8, s0, 0
	s_xor_b64 s[10:11], s[34:35], -1
	s_or_b64 s[2:3], s[10:11], s[2:3]
	s_and_b64 vcc, exec, s[2:3]
	v_pk_mov_b32 v[2:3], s[8:9], s[8:9] op_sel:[0,1]
	s_cbranch_vccnz .LBB113_4
; %bb.3:
	v_pk_mov_b32 v[2:3], s[0:1], s[0:1] op_sel:[0,1]
	flat_load_dwordx2 v[2:3], v[2:3]
.LBB113_4:
	s_load_dwordx4 s[24:27], s[4:5], 0x98
	s_load_dwordx2 s[2:3], s[4:5], 0x10
	s_movk_i32 s0, 0x200
	s_movk_i32 s7, 0x1ff
	v_cmp_gt_u32_e64 s[0:1], s0, v0
	v_cmp_lt_u32_e32 vcc, s7, v0
	v_lshlrev_b32_e32 v8, 3, v0
                                        ; implicit-def: $vgpr1
	s_and_saveexec_b64 s[8:9], vcc
	s_xor_b64 s[8:9], exec, s[8:9]
; %bb.5:
	v_lshlrev_b32_e32 v8, 3, v0
	v_or_b32_e32 v1, 0xffffff00, v0
; %bb.6:
	s_or_saveexec_b64 s[46:47], s[8:9]
	s_load_dwordx4 s[28:31], s[4:5], 0x88
	s_load_dwordx8 s[8:15], s[4:5], 0x68
	s_load_dwordx4 s[36:39], s[4:5], 0x50
	s_load_dwordx4 s[40:43], s[4:5], 0x18
	s_load_dwordx8 s[16:23], s[4:5], 0x30
	s_xor_b64 exec, exec, s[46:47]
	s_cbranch_execz .LBB113_10
; %bb.7:
	v_or_b32_e32 v1, 0xffffff00, v0
	v_add_u32_e32 v9, 0, v8
	s_mov_b64 s[48:49], 0
	s_waitcnt lgkmcnt(0)
	v_pk_mov_b32 v[6:7], s[2:3], s[2:3] op_sel:[0,1]
	v_mov_b32_e32 v10, v1
.LBB113_8:                              ; =>This Inner Loop Header: Depth=1
	v_add_co_u32_e32 v10, vcc, 0x100, v10
	s_xor_b64 s[50:51], vcc, -1
	s_and_b64 s[50:51], exec, s[50:51]
	ds_write_b64 v9, v[6:7]
	s_or_b64 s[48:49], s[50:51], s[48:49]
	v_add_u32_e32 v9, 0x800, v9
	s_andn2_b64 exec, exec, s[48:49]
	s_cbranch_execnz .LBB113_8
; %bb.9:
	s_or_b64 exec, exec, s[48:49]
.LBB113_10:
	s_or_b64 exec, exec, s[46:47]
	v_add_u32_e32 v6, 0, v8
	v_add_u32_e32 v8, 0x1000, v6
	v_mov_b32_e32 v6, 0
	s_mov_b64 s[46:47], 0
	v_mov_b32_e32 v7, v6
	s_movk_i32 s7, 0x6ff
.LBB113_11:                             ; =>This Inner Loop Header: Depth=1
	v_add_u32_e32 v1, 0x100, v1
	v_cmp_lt_u32_e32 vcc, s7, v1
	ds_write_b64 v8, v[6:7]
	s_or_b64 s[46:47], vcc, s[46:47]
	v_add_u32_e32 v8, 0x800, v8
	s_andn2_b64 exec, exec, s[46:47]
	s_cbranch_execnz .LBB113_11
; %bb.12:
	s_or_b64 exec, exec, s[46:47]
	s_waitcnt lgkmcnt(0)
	s_cmp_lg_u64 s[42:43], 0
	s_mov_b32 s7, 0
	s_barrier
	s_cbranch_scc0 .LBB113_14
; %bb.13:
	s_load_dwordx2 s[40:41], s[40:41], 0x0
	s_waitcnt lgkmcnt(0)
	s_lshl_b64 s[40:41], s[40:41], 3
	s_add_u32 s33, s42, s40
	s_addc_u32 s40, s43, s41
	s_lshl_b64 s[6:7], s[6:7], 3
	s_add_u32 s6, s33, s6
	s_addc_u32 s7, s40, s7
	s_load_dwordx2 s[6:7], s[6:7], 0x0
.LBB113_14:
	s_nop 0
	s_load_dword s33, s[4:5], 0x0
	s_andn2_b64 vcc, exec, s[44:45]
	s_cbranch_vccnz .LBB113_70
; %bb.15:
	s_waitcnt lgkmcnt(0)
	s_lshl_b64 s[4:5], s[6:7], 3
	s_add_u32 s4, s16, s4
	s_addc_u32 s5, s17, s5
	s_load_dwordx4 s[44:47], s[4:5], 0x0
	v_lshrrev_b32_e32 v1, 4, v0
	v_subrev_co_u32_e32 v1, vcc, s24, v1
	v_subb_co_u32_e64 v7, s[16:17], 0, 0, vcc
	s_waitcnt lgkmcnt(0)
	s_sub_u32 s4, s46, s24
	v_mov_b32_e32 v8, s45
	v_add_co_u32_e32 v6, vcc, s44, v1
	s_subb_u32 s5, s47, 0
	v_addc_co_u32_e32 v7, vcc, v8, v7, vcc
	s_mov_b32 s40, 0
	v_cmp_gt_i64_e32 vcc, s[4:5], v[6:7]
	s_and_saveexec_b64 s[16:17], vcc
	s_cbranch_execz .LBB113_69
; %bb.16:
	v_and_b32_e32 v1, 15, v0
	v_subrev_co_u32_e32 v1, vcc, s25, v1
	s_mov_b32 s56, s24
	s_cmp_eq_u32 s33, 0
	s_mov_b32 s57, s25
	v_subb_co_u32_e64 v23, s[24:25], 0, 0, vcc
	s_mov_b32 s58, s40
	s_cselect_b32 s59, 1, 2
	s_cselect_b32 s60, 2, 1
	s_mov_b64 s[24:25], 0
	v_mov_b32_e32 v37, s19
	v_mov_b32_e32 v40, s40
	;; [unrolled: 1-line block ×4, first 2 shown]
	s_movk_i32 s19, 0x89
	s_branch .LBB113_18
.LBB113_17:                             ;   in Loop: Header=BB113_18 Depth=1
	s_or_b64 exec, exec, s[40:41]
	v_add_co_u32_e32 v6, vcc, 16, v6
	v_addc_co_u32_e32 v7, vcc, 0, v7, vcc
	v_cmp_le_i64_e32 vcc, s[4:5], v[6:7]
	s_or_b64 s[24:25], vcc, s[24:25]
	s_andn2_b64 exec, exec, s[24:25]
	s_cbranch_execz .LBB113_69
.LBB113_18:                             ; =>This Loop Header: Depth=1
                                        ;     Child Loop BB113_21 Depth 2
                                        ;       Child Loop BB113_23 Depth 3
                                        ;       Child Loop BB113_35 Depth 3
	;; [unrolled: 1-line block ×4, first 2 shown]
	v_lshlrev_b64 v[8:9], 3, v[6:7]
	v_add_co_u32_e32 v8, vcc, s18, v8
	v_addc_co_u32_e32 v9, vcc, v37, v9, vcc
	global_load_dwordx2 v[8:9], v[8:9], off
	s_waitcnt vmcnt(0)
	v_subrev_co_u32_e32 v8, vcc, s56, v8
	v_subb_co_u32_e32 v9, vcc, v9, v40, vcc
	v_lshlrev_b64 v[8:9], 3, v[8:9]
	v_add_co_u32_e32 v8, vcc, s22, v8
	v_addc_co_u32_e32 v9, vcc, v41, v9, vcc
	global_load_dwordx4 v[10:13], v[8:9], off
	s_waitcnt vmcnt(0)
	v_subrev_co_u32_e32 v8, vcc, s57, v12
	v_subb_co_u32_e32 v9, vcc, v13, v42, vcc
	v_add_co_u32_e32 v10, vcc, v10, v1
	v_addc_co_u32_e32 v11, vcc, v11, v23, vcc
	v_cmp_lt_i64_e32 vcc, v[10:11], v[8:9]
	s_and_saveexec_b64 s[40:41], vcc
	s_cbranch_execz .LBB113_17
; %bb.19:                               ;   in Loop: Header=BB113_18 Depth=1
	v_lshlrev_b64 v[12:13], 2, v[6:7]
	v_lshlrev_b64 v[16:17], 5, v[6:7]
	v_or_b32_e32 v15, 0, v13
	v_or_b32_e32 v14, s59, v12
	;; [unrolled: 1-line block ×4, first 2 shown]
	v_mov_b32_e32 v18, s21
	v_add_co_u32_e32 v16, vcc, s20, v16
	v_addc_co_u32_e32 v17, vcc, v18, v17, vcc
	v_lshlrev_b64 v[12:13], 3, v[12:13]
	v_add_co_u32_e32 v12, vcc, s20, v12
	v_addc_co_u32_e32 v13, vcc, v18, v13, vcc
	v_lshlrev_b64 v[14:15], 3, v[14:15]
	v_add_co_u32_e32 v14, vcc, s20, v14
	v_addc_co_u32_e32 v15, vcc, v18, v15, vcc
	global_load_dwordx2 v[18:19], v[16:17], off offset:24
	global_load_dwordx2 v[20:21], v[12:13], off
	global_load_dwordx2 v[24:25], v[14:15], off
	;; [unrolled: 1-line block ×3, first 2 shown]
	s_mov_b64 s[42:43], 0
	s_waitcnt vmcnt(3)
	v_mul_f64 v[12:13], v[4:5], v[18:19]
	s_waitcnt vmcnt(2)
	v_mul_f64 v[14:15], v[4:5], v[20:21]
	;; [unrolled: 2-line block ×4, first 2 shown]
	s_branch .LBB113_21
.LBB113_20:                             ;   in Loop: Header=BB113_21 Depth=2
	s_or_b64 exec, exec, s[44:45]
	v_add_co_u32_e32 v10, vcc, 16, v10
	v_addc_co_u32_e32 v11, vcc, 0, v11, vcc
	v_cmp_ge_i64_e32 vcc, v[10:11], v[8:9]
	s_or_b64 s[42:43], vcc, s[42:43]
	s_andn2_b64 exec, exec, s[42:43]
	s_cbranch_execz .LBB113_17
.LBB113_21:                             ;   Parent Loop BB113_18 Depth=1
                                        ; =>  This Loop Header: Depth=2
                                        ;       Child Loop BB113_23 Depth 3
                                        ;       Child Loop BB113_35 Depth 3
	;; [unrolled: 1-line block ×4, first 2 shown]
	v_lshlrev_b64 v[20:21], 3, v[10:11]
	v_mov_b32_e32 v22, s37
	v_add_co_u32_e32 v20, vcc, s36, v20
	v_addc_co_u32_e32 v21, vcc, v22, v21, vcc
	v_lshlrev_b64 v[24:25], 2, v[10:11]
	v_lshlrev_b64 v[28:29], 5, v[10:11]
	v_or_b32_e32 v27, 0, v25
	v_or_b32_e32 v26, s59, v24
	;; [unrolled: 1-line block ×4, first 2 shown]
	v_mov_b32_e32 v22, s39
	v_add_co_u32_e32 v32, vcc, s38, v28
	v_addc_co_u32_e32 v33, vcc, v22, v29, vcc
	v_lshlrev_b64 v[24:25], 3, v[24:25]
	global_load_dwordx2 v[20:21], v[20:21], off
	v_add_co_u32_e32 v24, vcc, s38, v24
	v_lshlrev_b64 v[26:27], 3, v[26:27]
	v_addc_co_u32_e32 v25, vcc, v22, v25, vcc
	global_load_dwordx2 v[28:29], v[32:33], off
	global_load_dwordx2 v[30:31], v[24:25], off
	v_add_co_u32_e32 v24, vcc, s38, v26
	v_addc_co_u32_e32 v25, vcc, v22, v27, vcc
	global_load_dwordx2 v[24:25], v[24:25], off
	s_nop 0
	global_load_dwordx2 v[26:27], v[32:33], off offset:24
	v_mov_b32_e32 v22, s58
	s_mov_b64 s[44:45], 0
	s_waitcnt vmcnt(4)
	v_subrev_co_u32_e32 v20, vcc, s57, v20
	v_subb_co_u32_e32 v21, vcc, v21, v22, vcc
	v_mul_lo_u32 v22, v20, s19
	v_and_b32_e32 v22, 0x1ff, v22
	v_pk_mov_b32 v[34:35], v[22:23], v[22:23] op_sel:[0,1]
	s_waitcnt vmcnt(2)
	v_mul_f64 v[32:33], v[16:17], v[30:31]
	v_fmac_f64_e32 v[32:33], v[18:19], v[28:29]
	s_branch .LBB113_23
.LBB113_22:                             ;   in Loop: Header=BB113_23 Depth=3
	s_or_b64 exec, exec, s[46:47]
	s_xor_b64 s[46:47], s[48:49], -1
	s_and_b64 s[46:47], exec, s[46:47]
	s_or_b64 s[44:45], s[46:47], s[44:45]
	s_andn2_b64 exec, exec, s[44:45]
	s_cbranch_execz .LBB113_33
.LBB113_23:                             ;   Parent Loop BB113_18 Depth=1
                                        ;     Parent Loop BB113_21 Depth=2
                                        ; =>    This Inner Loop Header: Depth=3
	v_lshl_add_u32 v36, v34, 3, 0
	ds_read_b64 v[38:39], v36
                                        ; implicit-def: $sgpr48_sgpr49
	s_waitcnt lgkmcnt(0)
	v_cmp_ne_u64_e32 vcc, v[38:39], v[20:21]
	s_and_saveexec_b64 s[46:47], vcc
	s_xor_b64 s[46:47], exec, s[46:47]
	s_cbranch_execz .LBB113_31
; %bb.24:                               ;   in Loop: Header=BB113_23 Depth=3
	v_cmp_ne_u64_e32 vcc, s[2:3], v[38:39]
                                        ; implicit-def: $sgpr48_sgpr49
	s_and_saveexec_b64 s[50:51], vcc
	s_xor_b64 s[50:51], exec, s[50:51]
; %bb.25:                               ;   in Loop: Header=BB113_23 Depth=3
	v_add_u32_e32 v34, 1, v34
	v_and_b32_e32 v34, 0x1ff, v34
	s_mov_b64 s[48:49], -1
                                        ; implicit-def: $vgpr36
; %bb.26:                               ;   in Loop: Header=BB113_23 Depth=3
	s_andn2_saveexec_b64 s[50:51], s[50:51]
	s_cbranch_execz .LBB113_30
; %bb.27:                               ;   in Loop: Header=BB113_23 Depth=3
	v_pk_mov_b32 v[38:39], s[2:3], s[2:3] op_sel:[0,1]
	ds_cmpst_rtn_b64 v[38:39], v36, v[38:39], v[20:21]
	s_mov_b64 s[52:53], -1
	s_waitcnt lgkmcnt(0)
	v_cmp_eq_u64_e32 vcc, s[2:3], v[38:39]
	s_and_saveexec_b64 s[54:55], vcc
	s_cbranch_execz .LBB113_29
; %bb.28:                               ;   in Loop: Header=BB113_23 Depth=3
	v_mad_u64_u32 v[38:39], s[52:53], v34, 24, v[36:37]
	ds_add_f64 v38, v[32:33] offset:4096
	s_xor_b64 s[52:53], exec, -1
.LBB113_29:                             ;   in Loop: Header=BB113_23 Depth=3
	s_or_b64 exec, exec, s[54:55]
	s_andn2_b64 s[48:49], s[48:49], exec
	s_and_b64 s[52:53], s[52:53], exec
	s_or_b64 s[48:49], s[48:49], s[52:53]
.LBB113_30:                             ;   in Loop: Header=BB113_23 Depth=3
	s_or_b64 exec, exec, s[50:51]
	s_and_b64 s[48:49], s[48:49], exec
                                        ; implicit-def: $vgpr36
.LBB113_31:                             ;   in Loop: Header=BB113_23 Depth=3
	s_andn2_saveexec_b64 s[46:47], s[46:47]
	s_cbranch_execz .LBB113_22
; %bb.32:                               ;   in Loop: Header=BB113_23 Depth=3
	v_mad_u64_u32 v[38:39], s[50:51], v34, 24, v[36:37]
	ds_add_f64 v38, v[32:33] offset:4096
	s_andn2_b64 s[48:49], s[48:49], exec
	s_branch .LBB113_22
.LBB113_33:                             ;   in Loop: Header=BB113_21 Depth=2
	s_or_b64 exec, exec, s[44:45]
	s_waitcnt vmcnt(0)
	v_mul_f64 v[32:33], v[16:17], v[26:27]
	v_fmac_f64_e32 v[32:33], v[18:19], v[24:25]
	s_mov_b64 s[44:45], 0
	v_pk_mov_b32 v[34:35], v[22:23], v[22:23] op_sel:[0,1]
	s_branch .LBB113_35
.LBB113_34:                             ;   in Loop: Header=BB113_35 Depth=3
	s_or_b64 exec, exec, s[46:47]
	s_xor_b64 s[46:47], s[48:49], -1
	s_and_b64 s[46:47], exec, s[46:47]
	s_or_b64 s[44:45], s[46:47], s[44:45]
	s_andn2_b64 exec, exec, s[44:45]
	s_cbranch_execz .LBB113_45
.LBB113_35:                             ;   Parent Loop BB113_18 Depth=1
                                        ;     Parent Loop BB113_21 Depth=2
                                        ; =>    This Inner Loop Header: Depth=3
	v_lshl_add_u32 v36, v34, 3, 0
	ds_read_b64 v[38:39], v36
                                        ; implicit-def: $sgpr48_sgpr49
	s_waitcnt lgkmcnt(0)
	v_cmp_ne_u64_e32 vcc, v[38:39], v[20:21]
	s_and_saveexec_b64 s[46:47], vcc
	s_xor_b64 s[46:47], exec, s[46:47]
	s_cbranch_execz .LBB113_43
; %bb.36:                               ;   in Loop: Header=BB113_35 Depth=3
	v_cmp_ne_u64_e32 vcc, s[2:3], v[38:39]
                                        ; implicit-def: $sgpr48_sgpr49
	s_and_saveexec_b64 s[50:51], vcc
	s_xor_b64 s[50:51], exec, s[50:51]
; %bb.37:                               ;   in Loop: Header=BB113_35 Depth=3
	v_add_u32_e32 v34, 1, v34
	v_and_b32_e32 v34, 0x1ff, v34
	s_mov_b64 s[48:49], -1
                                        ; implicit-def: $vgpr36
; %bb.38:                               ;   in Loop: Header=BB113_35 Depth=3
	s_andn2_saveexec_b64 s[50:51], s[50:51]
	s_cbranch_execz .LBB113_42
; %bb.39:                               ;   in Loop: Header=BB113_35 Depth=3
	v_pk_mov_b32 v[38:39], s[2:3], s[2:3] op_sel:[0,1]
	ds_cmpst_rtn_b64 v[38:39], v36, v[38:39], v[20:21]
	s_mov_b64 s[52:53], -1
	s_waitcnt lgkmcnt(0)
	v_cmp_eq_u64_e32 vcc, s[2:3], v[38:39]
	s_and_saveexec_b64 s[54:55], vcc
	s_cbranch_execz .LBB113_41
; %bb.40:                               ;   in Loop: Header=BB113_35 Depth=3
	v_mad_u64_u32 v[38:39], s[52:53], v34, 24, v[36:37]
	ds_add_f64 v38, v[32:33] offset:4104
	s_xor_b64 s[52:53], exec, -1
.LBB113_41:                             ;   in Loop: Header=BB113_35 Depth=3
	s_or_b64 exec, exec, s[54:55]
	s_andn2_b64 s[48:49], s[48:49], exec
	s_and_b64 s[52:53], s[52:53], exec
	s_or_b64 s[48:49], s[48:49], s[52:53]
.LBB113_42:                             ;   in Loop: Header=BB113_35 Depth=3
	s_or_b64 exec, exec, s[50:51]
	s_and_b64 s[48:49], s[48:49], exec
                                        ; implicit-def: $vgpr36
.LBB113_43:                             ;   in Loop: Header=BB113_35 Depth=3
	s_andn2_saveexec_b64 s[46:47], s[46:47]
	s_cbranch_execz .LBB113_34
; %bb.44:                               ;   in Loop: Header=BB113_35 Depth=3
	v_mad_u64_u32 v[38:39], s[50:51], v34, 24, v[36:37]
	ds_add_f64 v38, v[32:33] offset:4104
	s_andn2_b64 s[48:49], s[48:49], exec
	s_branch .LBB113_34
.LBB113_45:                             ;   in Loop: Header=BB113_21 Depth=2
	s_or_b64 exec, exec, s[44:45]
	v_mul_f64 v[30:31], v[12:13], v[30:31]
	v_fmac_f64_e32 v[30:31], v[14:15], v[28:29]
	s_mov_b64 s[44:45], 0
	v_pk_mov_b32 v[28:29], v[22:23], v[22:23] op_sel:[0,1]
	s_branch .LBB113_47
.LBB113_46:                             ;   in Loop: Header=BB113_47 Depth=3
	s_or_b64 exec, exec, s[46:47]
	s_xor_b64 s[46:47], s[48:49], -1
	s_and_b64 s[46:47], exec, s[46:47]
	s_or_b64 s[44:45], s[46:47], s[44:45]
	s_andn2_b64 exec, exec, s[44:45]
	s_cbranch_execz .LBB113_57
.LBB113_47:                             ;   Parent Loop BB113_18 Depth=1
                                        ;     Parent Loop BB113_21 Depth=2
                                        ; =>    This Inner Loop Header: Depth=3
	v_lshl_add_u32 v32, v28, 3, 0
	ds_read_b64 v[34:35], v32
                                        ; implicit-def: $sgpr48_sgpr49
	s_waitcnt lgkmcnt(0)
	v_cmp_ne_u64_e32 vcc, v[34:35], v[20:21]
	s_and_saveexec_b64 s[46:47], vcc
	s_xor_b64 s[46:47], exec, s[46:47]
	s_cbranch_execz .LBB113_55
; %bb.48:                               ;   in Loop: Header=BB113_47 Depth=3
	v_cmp_ne_u64_e32 vcc, s[2:3], v[34:35]
                                        ; implicit-def: $sgpr48_sgpr49
	s_and_saveexec_b64 s[50:51], vcc
	s_xor_b64 s[50:51], exec, s[50:51]
; %bb.49:                               ;   in Loop: Header=BB113_47 Depth=3
	v_add_u32_e32 v28, 1, v28
	v_and_b32_e32 v28, 0x1ff, v28
	s_mov_b64 s[48:49], -1
                                        ; implicit-def: $vgpr32
; %bb.50:                               ;   in Loop: Header=BB113_47 Depth=3
	s_andn2_saveexec_b64 s[50:51], s[50:51]
	s_cbranch_execz .LBB113_54
; %bb.51:                               ;   in Loop: Header=BB113_47 Depth=3
	v_pk_mov_b32 v[34:35], s[2:3], s[2:3] op_sel:[0,1]
	ds_cmpst_rtn_b64 v[34:35], v32, v[34:35], v[20:21]
	s_mov_b64 s[52:53], -1
	s_waitcnt lgkmcnt(0)
	v_cmp_eq_u64_e32 vcc, s[2:3], v[34:35]
	s_and_saveexec_b64 s[54:55], vcc
	s_cbranch_execz .LBB113_53
; %bb.52:                               ;   in Loop: Header=BB113_47 Depth=3
	v_mad_u64_u32 v[32:33], s[52:53], v28, 24, v[32:33]
	ds_add_f64 v32, v[30:31] offset:4112
	s_xor_b64 s[52:53], exec, -1
.LBB113_53:                             ;   in Loop: Header=BB113_47 Depth=3
	s_or_b64 exec, exec, s[54:55]
	s_andn2_b64 s[48:49], s[48:49], exec
	s_and_b64 s[52:53], s[52:53], exec
	s_or_b64 s[48:49], s[48:49], s[52:53]
.LBB113_54:                             ;   in Loop: Header=BB113_47 Depth=3
	s_or_b64 exec, exec, s[50:51]
	s_and_b64 s[48:49], s[48:49], exec
                                        ; implicit-def: $vgpr32
.LBB113_55:                             ;   in Loop: Header=BB113_47 Depth=3
	s_andn2_saveexec_b64 s[46:47], s[46:47]
	s_cbranch_execz .LBB113_46
; %bb.56:                               ;   in Loop: Header=BB113_47 Depth=3
	v_mad_u64_u32 v[32:33], s[50:51], v28, 24, v[32:33]
	ds_add_f64 v32, v[30:31] offset:4112
	s_andn2_b64 s[48:49], s[48:49], exec
	s_branch .LBB113_46
.LBB113_57:                             ;   in Loop: Header=BB113_21 Depth=2
	s_or_b64 exec, exec, s[44:45]
	v_mul_f64 v[26:27], v[12:13], v[26:27]
	v_fmac_f64_e32 v[26:27], v[14:15], v[24:25]
	s_mov_b64 s[44:45], 0
	s_branch .LBB113_59
.LBB113_58:                             ;   in Loop: Header=BB113_59 Depth=3
	s_or_b64 exec, exec, s[46:47]
	s_xor_b64 s[46:47], s[48:49], -1
	s_and_b64 s[46:47], exec, s[46:47]
	s_or_b64 s[44:45], s[46:47], s[44:45]
	s_andn2_b64 exec, exec, s[44:45]
	s_cbranch_execz .LBB113_20
.LBB113_59:                             ;   Parent Loop BB113_18 Depth=1
                                        ;     Parent Loop BB113_21 Depth=2
                                        ; =>    This Inner Loop Header: Depth=3
	v_lshl_add_u32 v24, v22, 3, 0
	ds_read_b64 v[28:29], v24
                                        ; implicit-def: $sgpr48_sgpr49
	s_waitcnt lgkmcnt(0)
	v_cmp_ne_u64_e32 vcc, v[28:29], v[20:21]
	s_and_saveexec_b64 s[46:47], vcc
	s_xor_b64 s[46:47], exec, s[46:47]
	s_cbranch_execz .LBB113_67
; %bb.60:                               ;   in Loop: Header=BB113_59 Depth=3
	v_cmp_ne_u64_e32 vcc, s[2:3], v[28:29]
                                        ; implicit-def: $sgpr48_sgpr49
	s_and_saveexec_b64 s[50:51], vcc
	s_xor_b64 s[50:51], exec, s[50:51]
; %bb.61:                               ;   in Loop: Header=BB113_59 Depth=3
	v_add_u32_e32 v22, 1, v22
	v_and_b32_e32 v22, 0x1ff, v22
	s_mov_b64 s[48:49], -1
                                        ; implicit-def: $vgpr24
; %bb.62:                               ;   in Loop: Header=BB113_59 Depth=3
	s_andn2_saveexec_b64 s[50:51], s[50:51]
	s_cbranch_execz .LBB113_66
; %bb.63:                               ;   in Loop: Header=BB113_59 Depth=3
	v_pk_mov_b32 v[28:29], s[2:3], s[2:3] op_sel:[0,1]
	ds_cmpst_rtn_b64 v[28:29], v24, v[28:29], v[20:21]
	s_mov_b64 s[52:53], -1
	s_waitcnt lgkmcnt(0)
	v_cmp_eq_u64_e32 vcc, s[2:3], v[28:29]
	s_and_saveexec_b64 s[54:55], vcc
	s_cbranch_execz .LBB113_65
; %bb.64:                               ;   in Loop: Header=BB113_59 Depth=3
	v_mad_u64_u32 v[24:25], s[52:53], v22, 24, v[24:25]
	ds_add_f64 v24, v[26:27] offset:4120
	s_xor_b64 s[52:53], exec, -1
.LBB113_65:                             ;   in Loop: Header=BB113_59 Depth=3
	s_or_b64 exec, exec, s[54:55]
	s_andn2_b64 s[48:49], s[48:49], exec
	s_and_b64 s[52:53], s[52:53], exec
	s_or_b64 s[48:49], s[48:49], s[52:53]
.LBB113_66:                             ;   in Loop: Header=BB113_59 Depth=3
	s_or_b64 exec, exec, s[50:51]
	s_and_b64 s[48:49], s[48:49], exec
                                        ; implicit-def: $vgpr24
.LBB113_67:                             ;   in Loop: Header=BB113_59 Depth=3
	s_andn2_saveexec_b64 s[46:47], s[46:47]
	s_cbranch_execz .LBB113_58
; %bb.68:                               ;   in Loop: Header=BB113_59 Depth=3
	v_mad_u64_u32 v[24:25], s[50:51], v22, 24, v[24:25]
	ds_add_f64 v24, v[26:27] offset:4120
	s_andn2_b64 s[48:49], s[48:49], exec
	s_branch .LBB113_58
.LBB113_69:
	s_or_b64 exec, exec, s[16:17]
.LBB113_70:
	s_andn2_b64 vcc, exec, s[34:35]
	s_waitcnt lgkmcnt(0)
	s_barrier
	s_cbranch_vccnz .LBB113_123
; %bb.71:
	s_lshl_b64 s[4:5], s[6:7], 3
	s_add_u32 s4, s8, s4
	s_addc_u32 s5, s9, s5
	s_load_dwordx4 s[20:23], s[4:5], 0x0
	v_subrev_co_u32_e32 v1, vcc, s27, v0
	s_waitcnt vmcnt(0)
	v_subb_co_u32_e64 v5, s[8:9], 0, 0, vcc
	s_waitcnt lgkmcnt(0)
	s_sub_u32 s4, s22, s27
	v_mov_b32_e32 v6, s21
	v_add_co_u32_e32 v4, vcc, s20, v1
	s_subb_u32 s5, s23, 0
	v_addc_co_u32_e32 v5, vcc, v6, v5, vcc
	s_mov_b32 s18, 0
	v_cmp_gt_i64_e32 vcc, s[4:5], v[4:5]
	s_and_saveexec_b64 s[8:9], vcc
	s_cbranch_execz .LBB113_122
; %bb.72:
	s_cmp_eq_u32 s33, 0
	s_mov_b32 s38, s27
	s_cselect_b32 s27, 1, 2
	s_cselect_b32 s39, 2, 1
	s_mov_b64 s[16:17], 0
	v_mov_b32_e32 v1, s13
	v_mov_b32_e32 v9, s11
	;; [unrolled: 1-line block ×3, first 2 shown]
	s_movk_i32 s11, 0x89
	s_branch .LBB113_74
.LBB113_73:                             ;   in Loop: Header=BB113_74 Depth=1
	s_or_b64 exec, exec, s[18:19]
	v_add_co_u32_e32 v4, vcc, 0x100, v4
	v_addc_co_u32_e32 v5, vcc, 0, v5, vcc
	v_cmp_le_i64_e32 vcc, s[4:5], v[4:5]
	s_or_b64 s[16:17], vcc, s[16:17]
	s_andn2_b64 exec, exec, s[16:17]
	s_cbranch_execz .LBB113_122
.LBB113_74:                             ; =>This Loop Header: Depth=1
                                        ;     Child Loop BB113_76 Depth 2
                                        ;     Child Loop BB113_88 Depth 2
	;; [unrolled: 1-line block ×4, first 2 shown]
	v_lshlrev_b64 v[6:7], 2, v[4:5]
	v_lshlrev_b64 v[12:13], 5, v[4:5]
	v_or_b32_e32 v11, 0, v7
	v_or_b32_e32 v10, s27, v6
	v_add_co_u32_e32 v16, vcc, s12, v12
	v_addc_co_u32_e32 v17, vcc, v1, v13, vcc
	v_lshlrev_b64 v[10:11], 3, v[10:11]
	v_add_co_u32_e32 v20, vcc, s12, v10
	v_addc_co_u32_e32 v21, vcc, v1, v11, vcc
	v_lshlrev_b64 v[10:11], 3, v[4:5]
	v_add_co_u32_e32 v10, vcc, s10, v10
	v_or_b32_e32 v7, 0, v7
	v_or_b32_e32 v6, s39, v6
	v_addc_co_u32_e32 v11, vcc, v9, v11, vcc
	v_lshlrev_b64 v[6:7], 3, v[6:7]
	global_load_dwordx2 v[22:23], v[10:11], off
	v_add_co_u32_e32 v6, vcc, s12, v6
	v_addc_co_u32_e32 v7, vcc, v1, v7, vcc
	global_load_dwordx2 v[18:19], v[16:17], off
	global_load_dwordx2 v[12:13], v[6:7], off
	;; [unrolled: 1-line block ×3, first 2 shown]
	global_load_dwordx2 v[10:11], v[16:17], off offset:24
	s_mov_b64 s[18:19], 0
	s_waitcnt vmcnt(4)
	v_subrev_co_u32_e32 v6, vcc, s38, v22
	v_mul_lo_u32 v8, v6, s11
	v_and_b32_e32 v8, 0x1ff, v8
	v_subb_co_u32_e32 v7, vcc, v23, v24, vcc
	s_waitcnt vmcnt(3)
	v_mul_f64 v[16:17], v[2:3], v[18:19]
	v_pk_mov_b32 v[18:19], v[8:9], v[8:9] op_sel:[0,1]
	s_branch .LBB113_76
.LBB113_75:                             ;   in Loop: Header=BB113_76 Depth=2
	s_or_b64 exec, exec, s[20:21]
	s_xor_b64 s[20:21], s[22:23], -1
	s_and_b64 s[20:21], exec, s[20:21]
	s_or_b64 s[18:19], s[20:21], s[18:19]
	s_andn2_b64 exec, exec, s[18:19]
	s_cbranch_execz .LBB113_86
.LBB113_76:                             ;   Parent Loop BB113_74 Depth=1
                                        ; =>  This Inner Loop Header: Depth=2
	v_lshl_add_u32 v20, v18, 3, 0
	ds_read_b64 v[22:23], v20
                                        ; implicit-def: $sgpr22_sgpr23
	s_waitcnt lgkmcnt(0)
	v_cmp_ne_u64_e32 vcc, v[22:23], v[6:7]
	s_and_saveexec_b64 s[20:21], vcc
	s_xor_b64 s[20:21], exec, s[20:21]
	s_cbranch_execz .LBB113_84
; %bb.77:                               ;   in Loop: Header=BB113_76 Depth=2
	v_cmp_ne_u64_e32 vcc, s[2:3], v[22:23]
                                        ; implicit-def: $sgpr22_sgpr23
	s_and_saveexec_b64 s[24:25], vcc
	s_xor_b64 s[24:25], exec, s[24:25]
; %bb.78:                               ;   in Loop: Header=BB113_76 Depth=2
	v_add_u32_e32 v18, 1, v18
	v_and_b32_e32 v18, 0x1ff, v18
	s_mov_b64 s[22:23], -1
                                        ; implicit-def: $vgpr20
; %bb.79:                               ;   in Loop: Header=BB113_76 Depth=2
	s_andn2_saveexec_b64 s[24:25], s[24:25]
	s_cbranch_execz .LBB113_83
; %bb.80:                               ;   in Loop: Header=BB113_76 Depth=2
	v_pk_mov_b32 v[22:23], s[2:3], s[2:3] op_sel:[0,1]
	ds_cmpst_rtn_b64 v[22:23], v20, v[22:23], v[6:7]
	s_mov_b64 s[34:35], -1
	s_waitcnt lgkmcnt(0)
	v_cmp_eq_u64_e32 vcc, s[2:3], v[22:23]
	s_and_saveexec_b64 s[36:37], vcc
	s_cbranch_execz .LBB113_82
; %bb.81:                               ;   in Loop: Header=BB113_76 Depth=2
	v_mad_u64_u32 v[20:21], s[34:35], v18, 24, v[20:21]
	ds_add_f64 v20, v[16:17] offset:4096
	s_xor_b64 s[34:35], exec, -1
.LBB113_82:                             ;   in Loop: Header=BB113_76 Depth=2
	s_or_b64 exec, exec, s[36:37]
	s_andn2_b64 s[22:23], s[22:23], exec
	s_and_b64 s[34:35], s[34:35], exec
	s_or_b64 s[22:23], s[22:23], s[34:35]
.LBB113_83:                             ;   in Loop: Header=BB113_76 Depth=2
	s_or_b64 exec, exec, s[24:25]
	s_and_b64 s[22:23], s[22:23], exec
                                        ; implicit-def: $vgpr20
.LBB113_84:                             ;   in Loop: Header=BB113_76 Depth=2
	s_andn2_saveexec_b64 s[20:21], s[20:21]
	s_cbranch_execz .LBB113_75
; %bb.85:                               ;   in Loop: Header=BB113_76 Depth=2
	v_mad_u64_u32 v[20:21], s[24:25], v18, 24, v[20:21]
	ds_add_f64 v20, v[16:17] offset:4096
	s_andn2_b64 s[22:23], s[22:23], exec
	s_branch .LBB113_75
.LBB113_86:                             ;   in Loop: Header=BB113_74 Depth=1
	s_or_b64 exec, exec, s[18:19]
	s_waitcnt vmcnt(1)
	v_mul_f64 v[14:15], v[2:3], v[14:15]
	s_mov_b64 s[18:19], 0
	v_pk_mov_b32 v[16:17], v[8:9], v[8:9] op_sel:[0,1]
	s_branch .LBB113_88
.LBB113_87:                             ;   in Loop: Header=BB113_88 Depth=2
	s_or_b64 exec, exec, s[20:21]
	s_xor_b64 s[20:21], s[22:23], -1
	s_and_b64 s[20:21], exec, s[20:21]
	s_or_b64 s[18:19], s[20:21], s[18:19]
	s_andn2_b64 exec, exec, s[18:19]
	s_cbranch_execz .LBB113_98
.LBB113_88:                             ;   Parent Loop BB113_74 Depth=1
                                        ; =>  This Inner Loop Header: Depth=2
	v_lshl_add_u32 v18, v16, 3, 0
	ds_read_b64 v[20:21], v18
                                        ; implicit-def: $sgpr22_sgpr23
	s_waitcnt lgkmcnt(0)
	v_cmp_ne_u64_e32 vcc, v[20:21], v[6:7]
	s_and_saveexec_b64 s[20:21], vcc
	s_xor_b64 s[20:21], exec, s[20:21]
	s_cbranch_execz .LBB113_96
; %bb.89:                               ;   in Loop: Header=BB113_88 Depth=2
	v_cmp_ne_u64_e32 vcc, s[2:3], v[20:21]
                                        ; implicit-def: $sgpr22_sgpr23
	s_and_saveexec_b64 s[24:25], vcc
	s_xor_b64 s[24:25], exec, s[24:25]
; %bb.90:                               ;   in Loop: Header=BB113_88 Depth=2
	v_add_u32_e32 v16, 1, v16
	v_and_b32_e32 v16, 0x1ff, v16
	s_mov_b64 s[22:23], -1
                                        ; implicit-def: $vgpr18
; %bb.91:                               ;   in Loop: Header=BB113_88 Depth=2
	s_andn2_saveexec_b64 s[24:25], s[24:25]
	s_cbranch_execz .LBB113_95
; %bb.92:                               ;   in Loop: Header=BB113_88 Depth=2
	v_pk_mov_b32 v[20:21], s[2:3], s[2:3] op_sel:[0,1]
	ds_cmpst_rtn_b64 v[20:21], v18, v[20:21], v[6:7]
	s_mov_b64 s[34:35], -1
	s_waitcnt lgkmcnt(0)
	v_cmp_eq_u64_e32 vcc, s[2:3], v[20:21]
	s_and_saveexec_b64 s[36:37], vcc
	s_cbranch_execz .LBB113_94
; %bb.93:                               ;   in Loop: Header=BB113_88 Depth=2
	v_mad_u64_u32 v[18:19], s[34:35], v16, 24, v[18:19]
	ds_add_f64 v18, v[14:15] offset:4104
	s_xor_b64 s[34:35], exec, -1
.LBB113_94:                             ;   in Loop: Header=BB113_88 Depth=2
	s_or_b64 exec, exec, s[36:37]
	s_andn2_b64 s[22:23], s[22:23], exec
	s_and_b64 s[34:35], s[34:35], exec
	s_or_b64 s[22:23], s[22:23], s[34:35]
.LBB113_95:                             ;   in Loop: Header=BB113_88 Depth=2
	s_or_b64 exec, exec, s[24:25]
	s_and_b64 s[22:23], s[22:23], exec
                                        ; implicit-def: $vgpr18
.LBB113_96:                             ;   in Loop: Header=BB113_88 Depth=2
	s_andn2_saveexec_b64 s[20:21], s[20:21]
	s_cbranch_execz .LBB113_87
; %bb.97:                               ;   in Loop: Header=BB113_88 Depth=2
	v_mad_u64_u32 v[18:19], s[24:25], v16, 24, v[18:19]
	ds_add_f64 v18, v[14:15] offset:4104
	s_andn2_b64 s[22:23], s[22:23], exec
	s_branch .LBB113_87
.LBB113_98:                             ;   in Loop: Header=BB113_74 Depth=1
	s_or_b64 exec, exec, s[18:19]
	v_mul_f64 v[12:13], v[2:3], v[12:13]
	s_mov_b64 s[18:19], 0
	v_pk_mov_b32 v[14:15], v[8:9], v[8:9] op_sel:[0,1]
	s_branch .LBB113_100
.LBB113_99:                             ;   in Loop: Header=BB113_100 Depth=2
	s_or_b64 exec, exec, s[20:21]
	s_xor_b64 s[20:21], s[22:23], -1
	s_and_b64 s[20:21], exec, s[20:21]
	s_or_b64 s[18:19], s[20:21], s[18:19]
	s_andn2_b64 exec, exec, s[18:19]
	s_cbranch_execz .LBB113_110
.LBB113_100:                            ;   Parent Loop BB113_74 Depth=1
                                        ; =>  This Inner Loop Header: Depth=2
	v_lshl_add_u32 v16, v14, 3, 0
	ds_read_b64 v[18:19], v16
                                        ; implicit-def: $sgpr22_sgpr23
	s_waitcnt lgkmcnt(0)
	v_cmp_ne_u64_e32 vcc, v[18:19], v[6:7]
	s_and_saveexec_b64 s[20:21], vcc
	s_xor_b64 s[20:21], exec, s[20:21]
	s_cbranch_execz .LBB113_108
; %bb.101:                              ;   in Loop: Header=BB113_100 Depth=2
	v_cmp_ne_u64_e32 vcc, s[2:3], v[18:19]
                                        ; implicit-def: $sgpr22_sgpr23
	s_and_saveexec_b64 s[24:25], vcc
	s_xor_b64 s[24:25], exec, s[24:25]
; %bb.102:                              ;   in Loop: Header=BB113_100 Depth=2
	v_add_u32_e32 v14, 1, v14
	v_and_b32_e32 v14, 0x1ff, v14
	s_mov_b64 s[22:23], -1
                                        ; implicit-def: $vgpr16
; %bb.103:                              ;   in Loop: Header=BB113_100 Depth=2
	s_andn2_saveexec_b64 s[24:25], s[24:25]
	s_cbranch_execz .LBB113_107
; %bb.104:                              ;   in Loop: Header=BB113_100 Depth=2
	v_pk_mov_b32 v[18:19], s[2:3], s[2:3] op_sel:[0,1]
	ds_cmpst_rtn_b64 v[18:19], v16, v[18:19], v[6:7]
	s_mov_b64 s[34:35], -1
	s_waitcnt lgkmcnt(0)
	v_cmp_eq_u64_e32 vcc, s[2:3], v[18:19]
	s_and_saveexec_b64 s[36:37], vcc
	s_cbranch_execz .LBB113_106
; %bb.105:                              ;   in Loop: Header=BB113_100 Depth=2
	v_mad_u64_u32 v[16:17], s[34:35], v14, 24, v[16:17]
	ds_add_f64 v16, v[12:13] offset:4112
	s_xor_b64 s[34:35], exec, -1
.LBB113_106:                            ;   in Loop: Header=BB113_100 Depth=2
	s_or_b64 exec, exec, s[36:37]
	s_andn2_b64 s[22:23], s[22:23], exec
	s_and_b64 s[34:35], s[34:35], exec
	s_or_b64 s[22:23], s[22:23], s[34:35]
.LBB113_107:                            ;   in Loop: Header=BB113_100 Depth=2
	s_or_b64 exec, exec, s[24:25]
	s_and_b64 s[22:23], s[22:23], exec
                                        ; implicit-def: $vgpr16
.LBB113_108:                            ;   in Loop: Header=BB113_100 Depth=2
	s_andn2_saveexec_b64 s[20:21], s[20:21]
	s_cbranch_execz .LBB113_99
; %bb.109:                              ;   in Loop: Header=BB113_100 Depth=2
	v_mad_u64_u32 v[16:17], s[24:25], v14, 24, v[16:17]
	ds_add_f64 v16, v[12:13] offset:4112
	s_andn2_b64 s[22:23], s[22:23], exec
	s_branch .LBB113_99
.LBB113_110:                            ;   in Loop: Header=BB113_74 Depth=1
	s_or_b64 exec, exec, s[18:19]
	s_waitcnt vmcnt(0)
	v_mul_f64 v[10:11], v[2:3], v[10:11]
	s_mov_b64 s[18:19], 0
	s_branch .LBB113_112
.LBB113_111:                            ;   in Loop: Header=BB113_112 Depth=2
	s_or_b64 exec, exec, s[20:21]
	s_xor_b64 s[20:21], s[22:23], -1
	s_and_b64 s[20:21], exec, s[20:21]
	s_or_b64 s[18:19], s[20:21], s[18:19]
	s_andn2_b64 exec, exec, s[18:19]
	s_cbranch_execz .LBB113_73
.LBB113_112:                            ;   Parent Loop BB113_74 Depth=1
                                        ; =>  This Inner Loop Header: Depth=2
	v_lshl_add_u32 v12, v8, 3, 0
	ds_read_b64 v[14:15], v12
                                        ; implicit-def: $sgpr22_sgpr23
	s_waitcnt lgkmcnt(0)
	v_cmp_ne_u64_e32 vcc, v[14:15], v[6:7]
	s_and_saveexec_b64 s[20:21], vcc
	s_xor_b64 s[20:21], exec, s[20:21]
	s_cbranch_execz .LBB113_120
; %bb.113:                              ;   in Loop: Header=BB113_112 Depth=2
	v_cmp_ne_u64_e32 vcc, s[2:3], v[14:15]
                                        ; implicit-def: $sgpr22_sgpr23
	s_and_saveexec_b64 s[24:25], vcc
	s_xor_b64 s[24:25], exec, s[24:25]
; %bb.114:                              ;   in Loop: Header=BB113_112 Depth=2
	v_add_u32_e32 v8, 1, v8
	v_and_b32_e32 v8, 0x1ff, v8
	s_mov_b64 s[22:23], -1
                                        ; implicit-def: $vgpr12
; %bb.115:                              ;   in Loop: Header=BB113_112 Depth=2
	s_andn2_saveexec_b64 s[24:25], s[24:25]
	s_cbranch_execz .LBB113_119
; %bb.116:                              ;   in Loop: Header=BB113_112 Depth=2
	v_pk_mov_b32 v[14:15], s[2:3], s[2:3] op_sel:[0,1]
	ds_cmpst_rtn_b64 v[14:15], v12, v[14:15], v[6:7]
	s_mov_b64 s[34:35], -1
	s_waitcnt lgkmcnt(0)
	v_cmp_eq_u64_e32 vcc, s[2:3], v[14:15]
	s_and_saveexec_b64 s[36:37], vcc
	s_cbranch_execz .LBB113_118
; %bb.117:                              ;   in Loop: Header=BB113_112 Depth=2
	v_mad_u64_u32 v[12:13], s[34:35], v8, 24, v[12:13]
	ds_add_f64 v12, v[10:11] offset:4120
	s_xor_b64 s[34:35], exec, -1
.LBB113_118:                            ;   in Loop: Header=BB113_112 Depth=2
	s_or_b64 exec, exec, s[36:37]
	s_andn2_b64 s[22:23], s[22:23], exec
	s_and_b64 s[34:35], s[34:35], exec
	s_or_b64 s[22:23], s[22:23], s[34:35]
.LBB113_119:                            ;   in Loop: Header=BB113_112 Depth=2
	s_or_b64 exec, exec, s[24:25]
	s_and_b64 s[22:23], s[22:23], exec
                                        ; implicit-def: $vgpr12
.LBB113_120:                            ;   in Loop: Header=BB113_112 Depth=2
	s_andn2_saveexec_b64 s[20:21], s[20:21]
	s_cbranch_execz .LBB113_111
; %bb.121:                              ;   in Loop: Header=BB113_112 Depth=2
	v_mad_u64_u32 v[12:13], s[24:25], v8, 24, v[12:13]
	ds_add_f64 v12, v[10:11] offset:4120
	s_andn2_b64 s[22:23], s[22:23], exec
	s_branch .LBB113_111
.LBB113_122:
	s_or_b64 exec, exec, s[8:9]
.LBB113_123:
	s_waitcnt lgkmcnt(0)
	s_barrier
	s_and_saveexec_b64 s[4:5], s[0:1]
	s_cbranch_execz .LBB113_130
; %bb.124:
	s_lshl_b64 s[0:1], s[6:7], 3
	s_add_u32 s0, s14, s0
	s_addc_u32 s1, s15, s1
	s_load_dwordx2 s[4:5], s[0:1], 0x0
	s_mov_b32 s8, 0
	s_mov_b64 s[0:1], 0
	s_movk_i32 s12, 0xff
	s_waitcnt lgkmcnt(0)
	s_sub_u32 s4, s4, s26
	s_subb_u32 s5, s5, 0
	s_cmp_eq_u32 s33, 0
	s_cselect_b32 s9, 1, 2
	s_cselect_b32 s10, 2, 1
	s_add_i32 s11, 0, 0x1000
	s_waitcnt vmcnt(0)
	s_branch .LBB113_126
.LBB113_125:                            ;   in Loop: Header=BB113_126 Depth=1
	s_or_b64 exec, exec, s[6:7]
	v_add_u32_e32 v1, 0x100, v0
	v_cmp_lt_u32_e32 vcc, s12, v0
	s_or_b64 s[0:1], vcc, s[0:1]
	v_mov_b32_e32 v0, v1
	s_andn2_b64 exec, exec, s[0:1]
	s_cbranch_execz .LBB113_130
.LBB113_126:                            ; =>This Loop Header: Depth=1
                                        ;     Child Loop BB113_128 Depth 2
	v_lshl_add_u32 v1, v0, 3, 0
	ds_read_b64 v[2:3], v1
	s_waitcnt lgkmcnt(0)
	v_cmp_gt_i64_e32 vcc, s[2:3], v[2:3]
	s_and_saveexec_b64 s[6:7], vcc
	s_cbranch_execz .LBB113_125
; %bb.127:                              ;   in Loop: Header=BB113_126 Depth=1
	s_mov_b32 s13, 0
	v_pk_mov_b32 v[4:5], s[4:5], s[4:5] op_sel:[0,1]
.LBB113_128:                            ;   Parent Loop BB113_126 Depth=1
                                        ; =>  This Inner Loop Header: Depth=2
	s_add_i32 s14, s13, 0
	v_mov_b32_e32 v1, s14
	ds_read2_b64 v[6:9], v1 offset1:1
	ds_read2_b64 v[10:13], v1 offset0:2 offset1:3
	ds_read2_b64 v[14:17], v1 offset0:4 offset1:5
	;; [unrolled: 1-line block ×7, first 2 shown]
	s_waitcnt lgkmcnt(7)
	v_cmp_gt_i64_e32 vcc, v[2:3], v[6:7]
	v_cndmask_b32_e64 v1, 0, 1, vcc
	v_cmp_gt_i64_e32 vcc, v[2:3], v[8:9]
	v_cndmask_b32_e64 v6, 0, 1, vcc
	s_waitcnt lgkmcnt(6)
	v_cmp_gt_i64_e32 vcc, v[2:3], v[10:11]
	v_cndmask_b32_e64 v7, 0, 1, vcc
	v_cmp_gt_i64_e32 vcc, v[2:3], v[12:13]
	v_cndmask_b32_e64 v8, 0, 1, vcc
	;; [unrolled: 5-line block ×8, first 2 shown]
	v_add_co_u32_e32 v1, vcc, v4, v1
	v_addc_co_u32_e32 v4, vcc, 0, v5, vcc
	v_add_co_u32_e32 v1, vcc, v1, v6
	v_addc_co_u32_e32 v4, vcc, 0, v4, vcc
	;; [unrolled: 2-line block ×15, first 2 shown]
	s_addk_i32 s13, 0x80
	v_add_co_u32_e32 v4, vcc, v1, v20
	s_cmpk_lg_i32 s13, 0x1000
	v_addc_co_u32_e32 v5, vcc, 0, v5, vcc
	s_cbranch_scc1 .LBB113_128
; %bb.129:                              ;   in Loop: Header=BB113_126 Depth=1
	v_mov_b32_e32 v1, s8
	v_add_co_u32_e32 v2, vcc, s26, v2
	v_addc_co_u32_e32 v3, vcc, v3, v1, vcc
	v_lshlrev_b64 v[6:7], 3, v[4:5]
	v_mov_b32_e32 v1, s29
	v_add_co_u32_e32 v6, vcc, s28, v6
	v_addc_co_u32_e32 v7, vcc, v1, v7, vcc
	global_store_dwordx2 v[6:7], v[2:3], off
	v_lshl_add_u32 v2, v0, 5, s11
	ds_read2_b64 v[6:9], v2 offset1:3
	v_lshlrev_b32_e32 v1, 2, v0
	v_or_b32_e32 v2, s9, v1
	v_lshlrev_b64 v[10:11], 5, v[4:5]
	v_lshl_add_u32 v4, v2, 3, s11
	v_or_b32_e32 v1, s10, v1
	s_waitcnt lgkmcnt(0)
	v_mov_b32_e32 v2, v6
	v_mov_b32_e32 v3, v7
	v_lshl_add_u32 v1, v1, 3, s11
	ds_read_b64 v[4:5], v4
	ds_read_b64 v[6:7], v1
	v_mov_b32_e32 v12, s31
	v_add_co_u32_e32 v10, vcc, s30, v10
	v_addc_co_u32_e32 v11, vcc, v12, v11, vcc
	s_waitcnt lgkmcnt(1)
	global_store_dwordx4 v[10:11], v[2:5], off
	s_waitcnt lgkmcnt(0)
	global_store_dwordx4 v[10:11], v[6:9], off offset:16
	s_branch .LBB113_125
.LBB113_130:
	s_endpgm
	.section	.rodata,"a",@progbits
	.p2align	6, 0x0
	.amdhsa_kernel _ZN9rocsparseL30bsrgemm_fill_block_per_row_2x2ILj256ELj16ELj512ELj137ElldEEv20rocsparse_direction_T4_S2_PKS2_S4_NS_24const_host_device_scalarIT5_EEPKT3_S4_PKS6_SA_S4_SC_S7_SA_S4_SC_SA_PS2_PS6_21rocsparse_index_base_SF_SF_SF_bbb
		.amdhsa_group_segment_fixed_size 0
		.amdhsa_private_segment_fixed_size 0
		.amdhsa_kernarg_size 172
		.amdhsa_user_sgpr_count 6
		.amdhsa_user_sgpr_private_segment_buffer 1
		.amdhsa_user_sgpr_dispatch_ptr 0
		.amdhsa_user_sgpr_queue_ptr 0
		.amdhsa_user_sgpr_kernarg_segment_ptr 1
		.amdhsa_user_sgpr_dispatch_id 0
		.amdhsa_user_sgpr_flat_scratch_init 0
		.amdhsa_user_sgpr_kernarg_preload_length 0
		.amdhsa_user_sgpr_kernarg_preload_offset 0
		.amdhsa_user_sgpr_private_segment_size 0
		.amdhsa_uses_dynamic_stack 0
		.amdhsa_system_sgpr_private_segment_wavefront_offset 0
		.amdhsa_system_sgpr_workgroup_id_x 1
		.amdhsa_system_sgpr_workgroup_id_y 0
		.amdhsa_system_sgpr_workgroup_id_z 0
		.amdhsa_system_sgpr_workgroup_info 0
		.amdhsa_system_vgpr_workitem_id 0
		.amdhsa_next_free_vgpr 43
		.amdhsa_next_free_sgpr 61
		.amdhsa_accum_offset 44
		.amdhsa_reserve_vcc 1
		.amdhsa_reserve_flat_scratch 0
		.amdhsa_float_round_mode_32 0
		.amdhsa_float_round_mode_16_64 0
		.amdhsa_float_denorm_mode_32 3
		.amdhsa_float_denorm_mode_16_64 3
		.amdhsa_dx10_clamp 1
		.amdhsa_ieee_mode 1
		.amdhsa_fp16_overflow 0
		.amdhsa_tg_split 0
		.amdhsa_exception_fp_ieee_invalid_op 0
		.amdhsa_exception_fp_denorm_src 0
		.amdhsa_exception_fp_ieee_div_zero 0
		.amdhsa_exception_fp_ieee_overflow 0
		.amdhsa_exception_fp_ieee_underflow 0
		.amdhsa_exception_fp_ieee_inexact 0
		.amdhsa_exception_int_div_zero 0
	.end_amdhsa_kernel
	.section	.text._ZN9rocsparseL30bsrgemm_fill_block_per_row_2x2ILj256ELj16ELj512ELj137ElldEEv20rocsparse_direction_T4_S2_PKS2_S4_NS_24const_host_device_scalarIT5_EEPKT3_S4_PKS6_SA_S4_SC_S7_SA_S4_SC_SA_PS2_PS6_21rocsparse_index_base_SF_SF_SF_bbb,"axG",@progbits,_ZN9rocsparseL30bsrgemm_fill_block_per_row_2x2ILj256ELj16ELj512ELj137ElldEEv20rocsparse_direction_T4_S2_PKS2_S4_NS_24const_host_device_scalarIT5_EEPKT3_S4_PKS6_SA_S4_SC_S7_SA_S4_SC_SA_PS2_PS6_21rocsparse_index_base_SF_SF_SF_bbb,comdat
.Lfunc_end113:
	.size	_ZN9rocsparseL30bsrgemm_fill_block_per_row_2x2ILj256ELj16ELj512ELj137ElldEEv20rocsparse_direction_T4_S2_PKS2_S4_NS_24const_host_device_scalarIT5_EEPKT3_S4_PKS6_SA_S4_SC_S7_SA_S4_SC_SA_PS2_PS6_21rocsparse_index_base_SF_SF_SF_bbb, .Lfunc_end113-_ZN9rocsparseL30bsrgemm_fill_block_per_row_2x2ILj256ELj16ELj512ELj137ElldEEv20rocsparse_direction_T4_S2_PKS2_S4_NS_24const_host_device_scalarIT5_EEPKT3_S4_PKS6_SA_S4_SC_S7_SA_S4_SC_SA_PS2_PS6_21rocsparse_index_base_SF_SF_SF_bbb
                                        ; -- End function
	.section	.AMDGPU.csdata,"",@progbits
; Kernel info:
; codeLenInByte = 4136
; NumSgprs: 65
; NumVgprs: 43
; NumAgprs: 0
; TotalNumVgprs: 43
; ScratchSize: 0
; MemoryBound: 0
; FloatMode: 240
; IeeeMode: 1
; LDSByteSize: 0 bytes/workgroup (compile time only)
; SGPRBlocks: 8
; VGPRBlocks: 5
; NumSGPRsForWavesPerEU: 65
; NumVGPRsForWavesPerEU: 43
; AccumOffset: 44
; Occupancy: 8
; WaveLimiterHint : 1
; COMPUTE_PGM_RSRC2:SCRATCH_EN: 0
; COMPUTE_PGM_RSRC2:USER_SGPR: 6
; COMPUTE_PGM_RSRC2:TRAP_HANDLER: 0
; COMPUTE_PGM_RSRC2:TGID_X_EN: 1
; COMPUTE_PGM_RSRC2:TGID_Y_EN: 0
; COMPUTE_PGM_RSRC2:TGID_Z_EN: 0
; COMPUTE_PGM_RSRC2:TIDIG_COMP_CNT: 0
; COMPUTE_PGM_RSRC3_GFX90A:ACCUM_OFFSET: 10
; COMPUTE_PGM_RSRC3_GFX90A:TG_SPLIT: 0
	.section	.text._ZN9rocsparseL38bsrgemm_block_per_row_atomic_multipassILj256ELj256ELj2ElldEEv20rocsparse_direction_T3_S2_PKS2_S4_NS_24const_host_device_scalarIT4_EEPKT2_S4_PKS6_SA_S4_SC_S7_SA_S4_SC_SA_PS2_PS6_PS8_21rocsparse_index_base_SG_SG_SG_bbb,"axG",@progbits,_ZN9rocsparseL38bsrgemm_block_per_row_atomic_multipassILj256ELj256ELj2ElldEEv20rocsparse_direction_T3_S2_PKS2_S4_NS_24const_host_device_scalarIT4_EEPKT2_S4_PKS6_SA_S4_SC_S7_SA_S4_SC_SA_PS2_PS6_PS8_21rocsparse_index_base_SG_SG_SG_bbb,comdat
	.globl	_ZN9rocsparseL38bsrgemm_block_per_row_atomic_multipassILj256ELj256ELj2ElldEEv20rocsparse_direction_T3_S2_PKS2_S4_NS_24const_host_device_scalarIT4_EEPKT2_S4_PKS6_SA_S4_SC_S7_SA_S4_SC_SA_PS2_PS6_PS8_21rocsparse_index_base_SG_SG_SG_bbb ; -- Begin function _ZN9rocsparseL38bsrgemm_block_per_row_atomic_multipassILj256ELj256ELj2ElldEEv20rocsparse_direction_T3_S2_PKS2_S4_NS_24const_host_device_scalarIT4_EEPKT2_S4_PKS6_SA_S4_SC_S7_SA_S4_SC_SA_PS2_PS6_PS8_21rocsparse_index_base_SG_SG_SG_bbb
	.p2align	8
	.type	_ZN9rocsparseL38bsrgemm_block_per_row_atomic_multipassILj256ELj256ELj2ElldEEv20rocsparse_direction_T3_S2_PKS2_S4_NS_24const_host_device_scalarIT4_EEPKT2_S4_PKS6_SA_S4_SC_S7_SA_S4_SC_SA_PS2_PS6_PS8_21rocsparse_index_base_SG_SG_SG_bbb,@function
_ZN9rocsparseL38bsrgemm_block_per_row_atomic_multipassILj256ELj256ELj2ElldEEv20rocsparse_direction_T3_S2_PKS2_S4_NS_24const_host_device_scalarIT4_EEPKT2_S4_PKS6_SA_S4_SC_S7_SA_S4_SC_SA_PS2_PS6_PS8_21rocsparse_index_base_SG_SG_SG_bbb: ; @_ZN9rocsparseL38bsrgemm_block_per_row_atomic_multipassILj256ELj256ELj2ElldEEv20rocsparse_direction_T3_S2_PKS2_S4_NS_24const_host_device_scalarIT4_EEPKT2_S4_PKS6_SA_S4_SC_S7_SA_S4_SC_SA_PS2_PS6_PS8_21rocsparse_index_base_SG_SG_SG_bbb
; %bb.0:
	s_load_dword s7, s[4:5], 0xb0
	s_load_dwordx4 s[28:31], s[4:5], 0xa0
	s_load_dwordx2 s[8:9], s[4:5], 0x28
	s_waitcnt lgkmcnt(0)
	s_and_b32 s0, 1, s7
	s_bitcmp1_b32 s7, 16
	s_cselect_b64 s[2:3], -1, 0
	s_cmp_eq_u32 s0, 1
	s_load_dwordx2 s[0:1], s[4:5], 0x60
	s_cselect_b64 s[12:13], -1, 0
	s_and_b64 s[10:11], s[12:13], exec
	s_cselect_b32 s11, s9, 0
	s_cselect_b32 s10, s8, 0
	s_xor_b64 s[14:15], s[12:13], -1
	s_or_b64 s[14:15], s[14:15], s[2:3]
	s_and_b64 vcc, exec, s[14:15]
	v_pk_mov_b32 v[2:3], s[10:11], s[10:11] op_sel:[0,1]
	s_cbranch_vccnz .LBB114_2
; %bb.1:
	v_pk_mov_b32 v[2:3], s[8:9], s[8:9] op_sel:[0,1]
	flat_load_dwordx2 v[2:3], v[2:3]
.LBB114_2:
	s_bitcmp1_b32 s7, 8
	s_load_dwordx2 s[8:9], s[4:5], 0x20
	s_cselect_b64 s[34:35], -1, 0
	s_and_b64 s[10:11], s[34:35], exec
	s_waitcnt lgkmcnt(0)
	s_cselect_b32 s11, s1, 0
	s_cselect_b32 s10, s0, 0
	s_xor_b64 s[14:15], s[34:35], -1
	s_or_b64 s[2:3], s[14:15], s[2:3]
	s_and_b64 vcc, exec, s[2:3]
	v_pk_mov_b32 v[4:5], s[10:11], s[10:11] op_sel:[0,1]
	s_cbranch_vccnz .LBB114_4
; %bb.3:
	v_pk_mov_b32 v[4:5], s[0:1], s[0:1] op_sel:[0,1]
	flat_load_dwordx2 v[4:5], v[4:5]
.LBB114_4:
	s_load_dwordx2 s[2:3], s[4:5], 0x30
	s_mov_b64 s[0:1], 0
                                        ; implicit-def: $vgpr70 : SGPR spill to VGPR lane
	s_cmp_eq_u64 s[8:9], 0
	v_writelane_b32 v70, s0, 0
	s_mov_b32 s7, 0
	v_writelane_b32 v70, s1, 1
	s_cbranch_scc1 .LBB114_6
; %bb.5:
	s_load_dwordx2 s[0:1], s[4:5], 0x18
	s_waitcnt lgkmcnt(0)
	s_load_dwordx2 s[0:1], s[0:1], 0x0
	s_waitcnt lgkmcnt(0)
	s_lshl_b64 s[0:1], s[0:1], 3
	s_add_u32 s8, s8, s0
	s_addc_u32 s9, s9, s1
	s_lshl_b64 s[0:1], s[6:7], 3
	s_add_u32 s0, s8, s0
	s_addc_u32 s1, s9, s1
	s_load_dwordx2 s[6:7], s[0:1], 0x0
.LBB114_6:
	v_cndmask_b32_e64 v1, 0, 1, s[12:13]
	v_cmp_ne_u32_e64 s[0:1], 1, v1
	s_andn2_b64 vcc, exec, s[12:13]
	s_cbranch_vccz .LBB114_9
; %bb.7:
	s_and_b64 vcc, exec, s[0:1]
	s_mov_b64 s[62:63], 0
	s_cbranch_vccz .LBB114_10
.LBB114_8:
	s_load_dwordx4 s[52:55], s[4:5], 0x8
	s_waitcnt lgkmcnt(0)
	v_cmp_lt_i64_e64 s[0:1], s[52:53], 1
	s_and_b64 vcc, exec, s[0:1]
	s_cbranch_vccz .LBB114_11
	s_branch .LBB114_96
.LBB114_9:
	s_waitcnt lgkmcnt(0)
	s_lshl_b64 s[8:9], s[6:7], 3
	s_add_u32 s8, s2, s8
	s_addc_u32 s9, s3, s9
	s_load_dwordx2 s[8:9], s[8:9], 0x0
	s_waitcnt lgkmcnt(0)
	s_sub_u32 s8, s8, s28
	s_subb_u32 s9, s9, 0
	v_writelane_b32 v70, s8, 0
	v_writelane_b32 v70, s9, 1
	s_and_b64 vcc, exec, s[0:1]
	s_mov_b64 s[62:63], 0
	s_cbranch_vccnz .LBB114_8
.LBB114_10:
	s_waitcnt lgkmcnt(0)
	s_lshl_b64 s[0:1], s[6:7], 3
	s_add_u32 s0, s2, s0
	s_addc_u32 s1, s3, s1
	s_load_dwordx2 s[0:1], s[0:1], 0x8
	s_waitcnt lgkmcnt(0)
	s_sub_u32 s62, s0, s28
	s_subb_u32 s63, s1, 0
	s_load_dwordx4 s[52:55], s[4:5], 0x8
	s_waitcnt lgkmcnt(0)
	v_cmp_lt_i64_e64 s[0:1], s[52:53], 1
	s_and_b64 vcc, exec, s[0:1]
	s_cbranch_vccnz .LBB114_96
.LBB114_11:
	s_load_dwordx2 s[64:65], s[4:5], 0x98
	s_load_dwordx4 s[56:59], s[4:5], 0x88
	s_load_dwordx8 s[16:23], s[4:5], 0x68
	s_load_dwordx2 s[66:67], s[4:5], 0x58
	s_load_dwordx8 s[44:51], s[4:5], 0x38
	s_lshl_b64 s[6:7], s[6:7], 3
	s_load_dword s14, s[4:5], 0x0
	s_waitcnt lgkmcnt(0)
	s_add_u32 s0, s22, s6
	s_addc_u32 s1, s23, s7
	s_load_dwordx2 s[0:1], s[0:1], 0x0
	v_readlane_b32 s4, v70, 0
	v_pk_mov_b32 v[10:11], s[62:63], s[62:63] op_sel:[0,1]
	v_readlane_b32 s5, v70, 1
	v_cmp_lt_i64_e32 vcc, s[4:5], v[10:11]
	s_waitcnt lgkmcnt(0)
	s_sub_u32 s26, s0, s30
	s_mul_i32 s4, s54, s55
	s_mul_hi_u32 s5, s54, s54
	v_bfe_u32 v16, v0, 1, 1
	s_subb_u32 s27, s1, 0
	s_add_i32 s5, s5, s4
	s_add_i32 s43, s5, s4
	v_mad_u64_u32 v[10:11], s[4:5], v16, s54, 0
	v_lshlrev_b32_e32 v13, 3, v0
	v_mov_b32_e32 v12, v11
	v_mad_u64_u32 v[14:15], s[4:5], v16, s55, v[12:13]
	v_mov_b32_e32 v11, v14
	v_lshlrev_b64 v[14:15], 3, v[10:11]
	v_and_b32_e32 v8, 1, v0
	v_mov_b32_e32 v10, s47
	v_add_co_u32_e64 v12, s[4:5], s46, v14
	v_addc_co_u32_e64 v18, s[4:5], v10, v15, s[4:5]
	v_lshlrev_b32_e32 v10, 3, v8
	v_mov_b32_e32 v7, 0
	v_add_co_u32_e64 v43, s[4:5], v12, v10
	v_mov_b32_e32 v9, v7
	v_mov_b32_e32 v17, v7
	v_addc_co_u32_e64 v44, s[4:5], 0, v18, s[4:5]
	v_mul_lo_u32 v19, v8, s55
	v_mul_lo_u32 v18, v8, s54
	v_cmp_gt_i64_e64 s[10:11], s[54:55], v[8:9]
	v_cmp_gt_i64_e64 s[4:5], s[54:55], v[16:17]
	v_lshlrev_b64 v[18:19], 3, v[18:19]
	s_and_b64 s[46:47], s[10:11], s[4:5]
	v_mov_b32_e32 v9, s59
	v_add_co_u32_e64 v12, s[4:5], s58, v18
	v_cmp_gt_u64_e64 s[8:9], s[54:55], v[16:17]
	v_lshlrev_b64 v[20:21], 3, v[16:17]
	v_addc_co_u32_e64 v17, s[4:5], v9, v19, s[4:5]
	v_add_co_u32_e64 v12, s[4:5], v12, v20
	v_addc_co_u32_e64 v17, s[4:5], v17, v21, s[4:5]
	v_add_co_u32_e64 v22, s[4:5], s58, v14
	;; [unrolled: 2-line block ×3, first 2 shown]
	v_lshrrev_b32_e32 v6, 2, v0
	v_addc_co_u32_e64 v9, s[4:5], 0, v9, s[4:5]
	v_subrev_co_u32_e64 v46, s[4:5], s31, v6
	v_subb_co_u32_e64 v47, s[4:5], 0, 0, s[4:5]
	v_mov_b32_e32 v23, s21
	v_add_co_u32_e64 v18, s[4:5], s20, v18
	s_cmp_eq_u32 s14, 0
	v_addc_co_u32_e64 v19, s[4:5], v23, v19, s[4:5]
	s_cselect_b64 s[24:25], -1, 0
	s_cmp_lg_u32 s14, 0
	v_add_co_u32_e64 v18, s[4:5], v18, v20
	s_cselect_b64 s[58:59], -1, 0
	s_add_u32 s36, s16, s6
	v_addc_co_u32_e64 v19, s[4:5], v19, v21, s[4:5]
	s_addc_u32 s37, s17, s7
	v_writelane_b32 v70, s16, 2
	v_add_co_u32_e64 v14, s[4:5], s20, v14
	v_writelane_b32 v70, s17, 3
	v_addc_co_u32_e64 v15, s[4:5], v23, v15, s[4:5]
	v_writelane_b32 v70, s18, 4
	v_add_co_u32_e64 v14, s[4:5], v14, v10
	v_and_b32_e32 v1, 3, v0
	v_writelane_b32 v70, s19, 5
	v_addc_co_u32_e64 v15, s[4:5], 0, v15, s[4:5]
	v_writelane_b32 v70, s20, 6
	v_cmp_eq_u32_e64 s[4:5], 3, v1
	v_lshlrev_b32_e32 v1, 2, v0
	v_writelane_b32 v70, s21, 7
	v_or_b32_e32 v48, 0x2800, v1
	v_add_u32_e32 v50, 0x27f8, v1
	v_add_u32_e32 v51, 0x27f0, v1
	;; [unrolled: 1-line block ×7, first 2 shown]
	v_cndmask_b32_e64 v1, v17, v9, s[24:25]
	v_lshlrev_b32_e32 v9, 3, v16
	v_writelane_b32 v70, s22, 8
	s_and_b64 s[40:41], s[12:13], vcc
	s_and_b64 s[68:69], s[10:11], s[8:9]
	v_lshl_or_b32 v9, v6, 5, v9
	s_movk_i32 s0, 0x100
	s_mov_b32 s93, s31
	v_writelane_b32 v70, s23, 9
	s_movk_i32 s22, 0x7f
	s_add_u32 s31, s48, 8
	v_add_u32_e32 v58, 0x2000, v9
	v_mov_b32_e32 v9, s67
	v_add_co_u32_e32 v16, vcc, s66, v10
	v_cmp_gt_u32_e64 s[0:1], s0, v0
	v_cmp_eq_u32_e64 s[2:3], 0, v0
	v_and_b32_e32 v45, 2, v0
	v_add_co_u32_e64 v20, s[6:7], -1, v0
	v_cmp_ne_u32_e64 s[8:9], 0, v0
	v_cmp_lt_u32_e64 s[10:11], 1, v0
	v_cmp_lt_u32_e64 s[12:13], 3, v0
	;; [unrolled: 1-line block ×7, first 2 shown]
	s_addc_u32 s95, s49, 0
	v_or_b32_e32 v57, 0xffffff00, v0
	v_addc_co_u32_e32 v17, vcc, 0, v9, vcc
	v_and_b32_e32 v9, 0x7f0, v13
	v_and_b32_e32 v0, 0xfc, v0
	s_mov_b32 s33, 0
	s_mul_i32 s42, s54, s54
	v_mov_b32_e32 v21, 0x2800
	v_cndmask_b32_e64 v12, v12, v22, s[24:25]
	s_add_u32 s38, s56, -8
	v_or_b32_e32 v59, 0x2000, v9
	v_add_co_u32_e32 v60, vcc, 64, v46
	v_or3_b32 v9, v0, v45, v8
	v_mov_b32_e32 v22, 0x100
	v_or_b32_e32 v42, 0x2000, v13
	v_mov_b32_e32 v11, v7
	s_mov_b32 s92, s33
	s_mov_b32 s94, s33
	v_lshl_add_u32 v49, v20, 2, v21
	v_cndmask_b32_e64 v15, v19, v15, s[24:25]
	v_cndmask_b32_e64 v14, v18, v14, s[24:25]
	s_addc_u32 s39, s57, -1
	s_lshl_b64 s[56:57], s[54:55], 3
	s_lshl_b64 s[70:71], s[42:43], 3
	;; [unrolled: 1-line block ×3, first 2 shown]
	v_addc_co_u32_e32 v61, vcc, 0, v47, vcc
	v_lshlrev_b32_e32 v62, 3, v9
	v_or_b32_e32 v63, 0x2800, v0
	s_mov_b64 s[74:75], 0
	v_mov_b32_e32 v23, 0
	v_pk_mov_b32 v[18:19], s[26:27], s[26:27] op_sel:[0,1]
	s_movk_i32 s60, 0x2ff
	v_mov_b32_e32 v64, 1
	s_movk_i32 s61, 0xbf
	v_mov_b32_e32 v20, v7
	v_mov_b32_e32 v21, v7
	s_branch .LBB114_13
.LBB114_12:                             ;   in Loop: Header=BB114_13 Depth=1
	s_or_b64 exec, exec, s[24:25]
	s_barrier
	ds_read_b64 v[26:27], v7 offset:11264
	v_ashrrev_i32_e32 v0, 31, v24
	v_add_co_u32_e32 v18, vcc, v18, v24
	v_addc_co_u32_e32 v19, vcc, v19, v0, vcc
	s_waitcnt lgkmcnt(0)
	v_add_co_u32_e32 v22, vcc, 0x100, v26
	v_addc_co_u32_e32 v23, vcc, 0, v27, vcc
	v_cmp_le_i64_e32 vcc, s[52:53], v[26:27]
	v_readfirstlane_b32 s74, v26
	v_readfirstlane_b32 s75, v27
	s_barrier
	s_cbranch_vccnz .LBB114_96
.LBB114_13:                             ; =>This Loop Header: Depth=1
                                        ;     Child Loop BB114_16 Depth 2
                                        ;     Child Loop BB114_22 Depth 2
                                        ;       Child Loop BB114_37 Depth 3
                                        ;         Child Loop BB114_49 Depth 4
                                        ;         Child Loop BB114_45 Depth 4
                                        ;     Child Loop BB114_59 Depth 2
                                        ;     Child Loop BB114_68 Depth 2
	;; [unrolled: 1-line block ×3, first 2 shown]
	s_and_saveexec_b64 s[24:25], s[0:1]
	s_cbranch_execz .LBB114_15
; %bb.14:                               ;   in Loop: Header=BB114_13 Depth=1
	ds_write_b32 v48, v7
.LBB114_15:                             ;   in Loop: Header=BB114_13 Depth=1
	s_or_b64 exec, exec, s[24:25]
	s_mov_b64 s[24:25], 0
	v_mov_b32_e32 v0, v13
	v_mov_b32_e32 v9, v57
.LBB114_16:                             ;   Parent Loop BB114_13 Depth=1
                                        ; =>  This Inner Loop Header: Depth=2
	v_add_u32_e32 v9, 0x100, v9
	v_cmp_lt_u32_e32 vcc, s60, v9
	ds_write_b64 v0, v[20:21]
	s_or_b64 s[24:25], vcc, s[24:25]
	v_add_u32_e32 v0, 0x800, v0
	s_andn2_b64 exec, exec, s[24:25]
	s_cbranch_execnz .LBB114_16
; %bb.17:                               ;   in Loop: Header=BB114_13 Depth=1
	s_or_b64 exec, exec, s[24:25]
	s_and_saveexec_b64 s[24:25], s[2:3]
	s_cbranch_execz .LBB114_19
; %bb.18:                               ;   in Loop: Header=BB114_13 Depth=1
	v_pk_mov_b32 v[24:25], s[52:53], s[52:53] op_sel:[0,1]
	ds_write_b64 v7, v[24:25] offset:11264
.LBB114_19:                             ;   in Loop: Header=BB114_13 Depth=1
	s_or_b64 exec, exec, s[24:25]
	s_andn2_b64 vcc, exec, s[40:41]
	v_pk_mov_b32 v[24:25], s[52:53], s[52:53] op_sel:[0,1]
	s_waitcnt lgkmcnt(0)
	s_barrier
	s_cbranch_vccnz .LBB114_54
; %bb.20:                               ;   in Loop: Header=BB114_13 Depth=1
	s_cmp_lg_u64 s[74:75], 0
	v_readlane_b32 s78, v70, 0
	s_cselect_b64 s[76:77], -1, 0
	v_pk_mov_b32 v[24:25], s[52:53], s[52:53] op_sel:[0,1]
	v_readlane_b32 s79, v70, 1
	s_branch .LBB114_22
.LBB114_21:                             ;   in Loop: Header=BB114_22 Depth=2
	s_or_b64 exec, exec, s[26:27]
	s_add_u32 s78, s78, 64
	s_addc_u32 s79, s79, 0
	v_pk_mov_b32 v[26:27], s[62:63], s[62:63] op_sel:[0,1]
	v_cmp_lt_i64_e32 vcc, s[78:79], v[26:27]
	s_cbranch_vccz .LBB114_54
.LBB114_22:                             ;   Parent Loop BB114_13 Depth=1
                                        ; =>  This Loop Header: Depth=2
                                        ;       Child Loop BB114_37 Depth 3
                                        ;         Child Loop BB114_49 Depth 4
                                        ;         Child Loop BB114_45 Depth 4
	v_mov_b32_e32 v0, s79
	v_add_co_u32_e32 v26, vcc, s78, v6
	v_addc_co_u32_e32 v27, vcc, 0, v0, vcc
	v_cmp_gt_i64_e64 s[24:25], s[62:63], v[26:27]
	s_barrier
	s_and_saveexec_b64 s[26:27], s[24:25]
	s_cbranch_execz .LBB114_26
; %bb.23:                               ;   in Loop: Header=BB114_22 Depth=2
	v_pk_mov_b32 v[28:29], 0, 0
	s_and_saveexec_b64 s[80:81], s[68:69]
	s_cbranch_execz .LBB114_25
; %bb.24:                               ;   in Loop: Header=BB114_22 Depth=2
	v_mul_lo_u32 v0, v27, s42
	v_mul_lo_u32 v9, v26, s43
	v_mad_u64_u32 v[28:29], s[82:83], v26, s42, 0
	v_add3_u32 v29, v29, v9, v0
	v_lshlrev_b64 v[28:29], 3, v[28:29]
	v_add_co_u32_e32 v28, vcc, v43, v28
	v_addc_co_u32_e32 v29, vcc, v44, v29, vcc
	global_load_dwordx2 v[28:29], v[28:29], off
.LBB114_25:                             ;   in Loop: Header=BB114_22 Depth=2
	s_or_b64 exec, exec, s[80:81]
	s_waitcnt vmcnt(0)
	ds_write_b64 v42, v[28:29]
.LBB114_26:                             ;   in Loop: Header=BB114_22 Depth=2
	s_or_b64 exec, exec, s[26:27]
	v_pk_mov_b32 v[28:29], 0, 0
	v_lshlrev_b64 v[26:27], 3, v[26:27]
	s_waitcnt lgkmcnt(0)
	s_barrier
	s_and_saveexec_b64 s[80:81], s[24:25]
	s_cbranch_execz .LBB114_52
; %bb.27:                               ;   in Loop: Header=BB114_22 Depth=2
	v_mov_b32_e32 v0, s45
	v_add_co_u32_e32 v28, vcc, s44, v26
	v_addc_co_u32_e32 v29, vcc, v0, v27, vcc
	global_load_dwordx2 v[30:31], v[28:29], off
	s_and_b64 vcc, exec, s[76:77]
	s_cbranch_vccz .LBB114_29
; %bb.28:                               ;   in Loop: Header=BB114_22 Depth=2
	v_mov_b32_e32 v0, s65
	v_add_co_u32_e32 v28, vcc, s64, v26
	v_addc_co_u32_e32 v29, vcc, v0, v27, vcc
	global_load_dwordx2 v[28:29], v[28:29], off
	s_mov_b64 s[26:27], 0
	s_branch .LBB114_30
.LBB114_29:                             ;   in Loop: Header=BB114_22 Depth=2
	s_mov_b64 s[26:27], -1
                                        ; implicit-def: $vgpr28_vgpr29
.LBB114_30:                             ;   in Loop: Header=BB114_22 Depth=2
	v_mov_b32_e32 v0, s92
	s_waitcnt vmcnt(0)
	v_subrev_co_u32_e32 v30, vcc, s28, v30
	v_subb_co_u32_e32 v31, vcc, v31, v0, vcc
	s_andn2_b64 vcc, exec, s[26:27]
	v_lshlrev_b64 v[30:31], 3, v[30:31]
	s_cbranch_vccnz .LBB114_32
; %bb.31:                               ;   in Loop: Header=BB114_22 Depth=2
	v_mov_b32_e32 v0, s49
	v_add_co_u32_e32 v28, vcc, s48, v30
	v_addc_co_u32_e32 v29, vcc, v0, v31, vcc
	global_load_dwordx2 v[28:29], v[28:29], off
	v_mov_b32_e32 v0, s33
	s_waitcnt vmcnt(0)
	v_subrev_co_u32_e32 v28, vcc, s29, v28
	v_subb_co_u32_e32 v29, vcc, v29, v0, vcc
.LBB114_32:                             ;   in Loop: Header=BB114_22 Depth=2
	v_mov_b32_e32 v0, s95
	v_add_co_u32_e32 v30, vcc, s31, v30
	v_addc_co_u32_e32 v31, vcc, v0, v31, vcc
	global_load_dwordx2 v[30:31], v[30:31], off
	v_mov_b32_e32 v0, s33
	s_waitcnt vmcnt(0)
	v_subrev_co_u32_e32 v30, vcc, s29, v30
	v_subb_co_u32_e32 v31, vcc, v31, v0, vcc
	v_cmp_lt_i64_e32 vcc, v[28:29], v[30:31]
	s_and_saveexec_b64 s[82:83], vcc
	s_cbranch_execz .LBB114_51
; %bb.33:                               ;   in Loop: Header=BB114_22 Depth=2
	v_mad_u64_u32 v[32:33], s[26:27], s56, v28, v[10:11]
	v_mul_lo_u32 v0, s56, v29
	v_mul_lo_u32 v9, s57, v28
	v_add3_u32 v0, v9, v33, v0
	v_pk_mov_b32 v[34:35], s[66:67], s[66:67] op_sel:[0,1]
	v_mul_lo_u32 v9, s55, v32
	v_mul_lo_u32 v0, s54, v0
	v_mad_u64_u32 v[32:33], s[26:27], s54, v32, v[34:35]
	v_add3_u32 v33, v9, v33, v0
	v_mad_u64_u32 v[34:35], s[26:27], s70, v28, v[16:17]
	v_mul_lo_u32 v0, s70, v29
	v_mul_lo_u32 v9, s71, v28
	v_add3_u32 v35, v9, v35, v0
	s_mov_b64 s[84:85], 0
	v_pk_mov_b32 v[36:37], v[28:29], v[28:29] op_sel:[0,1]
	s_branch .LBB114_37
.LBB114_34:                             ;   in Loop: Header=BB114_37 Depth=3
	v_or3_b32 v0, v0, v45, v8
	v_lshlrev_b32_e32 v0, 3, v0
	v_mul_f64 v[38:39], v[2:3], v[38:39]
	ds_add_f64 v0, v[38:39]
.LBB114_35:                             ;   in Loop: Header=BB114_37 Depth=3
	s_or_b64 exec, exec, s[88:89]
	s_or_b64 s[26:27], s[26:27], exec
.LBB114_36:                             ;   in Loop: Header=BB114_37 Depth=3
	s_or_b64 exec, exec, s[86:87]
	v_add_co_u32_e32 v28, vcc, 1, v28
	v_addc_co_u32_e32 v29, vcc, 0, v29, vcc
	v_cmp_ge_i64_e32 vcc, v[28:29], v[30:31]
	s_xor_b64 s[26:27], s[26:27], -1
	s_or_b64 s[26:27], s[26:27], vcc
	v_mov_b32_e32 v0, s71
	v_add_co_u32_e32 v32, vcc, s70, v32
	v_addc_co_u32_e32 v33, vcc, v33, v0, vcc
	s_and_b64 s[26:27], exec, s[26:27]
	v_add_co_u32_e32 v34, vcc, s70, v34
	s_or_b64 s[84:85], s[26:27], s[84:85]
	v_addc_co_u32_e32 v35, vcc, v35, v0, vcc
	s_andn2_b64 exec, exec, s[84:85]
	s_cbranch_execz .LBB114_50
.LBB114_37:                             ;   Parent Loop BB114_13 Depth=1
                                        ;     Parent Loop BB114_22 Depth=2
                                        ; =>    This Loop Header: Depth=3
                                        ;         Child Loop BB114_49 Depth 4
                                        ;         Child Loop BB114_45 Depth 4
	v_lshlrev_b64 v[38:39], 3, v[28:29]
	v_mov_b32_e32 v0, s51
	v_add_co_u32_e32 v38, vcc, s50, v38
	v_addc_co_u32_e32 v39, vcc, v0, v39, vcc
	global_load_dwordx2 v[38:39], v[38:39], off
	v_mov_b32_e32 v0, s33
	s_waitcnt vmcnt(0)
	v_subrev_co_u32_e32 v38, vcc, s29, v38
	v_subb_co_u32_e32 v39, vcc, v39, v0, vcc
	v_cmp_gt_i64_e64 s[26:27], s[74:75], v[38:39]
	v_cmp_ge_i64_e32 vcc, v[38:39], v[22:23]
	s_or_b64 s[86:87], s[26:27], vcc
                                        ; implicit-def: $sgpr26_sgpr27
	s_and_saveexec_b64 s[88:89], s[86:87]
	s_xor_b64 s[86:87], exec, s[88:89]
	s_cbranch_execz .LBB114_41
; %bb.38:                               ;   in Loop: Header=BB114_37 Depth=3
	s_mov_b64 s[26:27], -1
	s_and_saveexec_b64 s[88:89], vcc
; %bb.39:                               ;   in Loop: Header=BB114_37 Depth=3
	v_cmp_lt_i64_e32 vcc, v[38:39], v[24:25]
	v_cndmask_b32_e32 v25, v25, v39, vcc
	v_cndmask_b32_e32 v24, v24, v38, vcc
	s_xor_b64 s[26:27], exec, -1
	v_pk_mov_b32 v[36:37], v[28:29], v[28:29] op_sel:[0,1]
; %bb.40:                               ;   in Loop: Header=BB114_37 Depth=3
	s_or_b64 exec, exec, s[88:89]
	s_and_b64 s[26:27], s[26:27], exec
                                        ; implicit-def: $vgpr38_vgpr39
.LBB114_41:                             ;   in Loop: Header=BB114_37 Depth=3
	s_andn2_saveexec_b64 s[86:87], s[86:87]
	s_cbranch_execz .LBB114_36
; %bb.42:                               ;   in Loop: Header=BB114_37 Depth=3
	v_subrev_u32_e32 v0, s74, v38
	v_lshlrev_b32_e32 v0, 2, v0
	ds_write_b32 v0, v64 offset:10240
	s_and_saveexec_b64 s[88:89], s[46:47]
	s_cbranch_execz .LBB114_35
; %bb.43:                               ;   in Loop: Header=BB114_37 Depth=3
	s_andn2_b64 vcc, exec, s[58:59]
	s_cbranch_vccnz .LBB114_47
; %bb.44:                               ;   in Loop: Header=BB114_37 Depth=3
	v_pk_mov_b32 v[38:39], 0, 0
	v_mov_b32_e32 v9, v58
	s_mov_b64 s[90:91], s[54:55]
	v_pk_mov_b32 v[40:41], v[32:33], v[32:33] op_sel:[0,1]
.LBB114_45:                             ;   Parent Loop BB114_13 Depth=1
                                        ;     Parent Loop BB114_22 Depth=2
                                        ;       Parent Loop BB114_37 Depth=3
                                        ; =>      This Inner Loop Header: Depth=4
	global_load_dwordx2 v[66:67], v[40:41], off
	ds_read_b64 v[68:69], v9
	s_add_u32 s90, s90, -1
	v_add_co_u32_e32 v40, vcc, 8, v40
	s_addc_u32 s91, s91, -1
	v_addc_co_u32_e32 v41, vcc, 0, v41, vcc
	v_add_u32_e32 v9, 16, v9
	s_cmp_lg_u64 s[90:91], 0
	s_waitcnt vmcnt(0) lgkmcnt(0)
	v_fmac_f64_e32 v[38:39], v[68:69], v[66:67]
	s_cbranch_scc1 .LBB114_45
; %bb.46:                               ;   in Loop: Header=BB114_37 Depth=3
	s_branch .LBB114_34
.LBB114_47:                             ;   in Loop: Header=BB114_37 Depth=3
                                        ; implicit-def: $vgpr38_vgpr39
	s_cbranch_execz .LBB114_34
; %bb.48:                               ;   in Loop: Header=BB114_37 Depth=3
	v_pk_mov_b32 v[38:39], 0, 0
	v_mov_b32_e32 v9, v59
	v_pk_mov_b32 v[40:41], v[34:35], v[34:35] op_sel:[0,1]
	s_mov_b64 s[90:91], s[54:55]
.LBB114_49:                             ;   Parent Loop BB114_13 Depth=1
                                        ;     Parent Loop BB114_22 Depth=2
                                        ;       Parent Loop BB114_37 Depth=3
                                        ; =>      This Inner Loop Header: Depth=4
	global_load_dwordx2 v[66:67], v[40:41], off
	ds_read_b64 v[68:69], v9
	s_add_u32 s90, s90, -1
	v_mov_b32_e32 v65, s57
	v_add_co_u32_e32 v40, vcc, s56, v40
	s_addc_u32 s91, s91, -1
	v_add_u32_e32 v9, 8, v9
	v_addc_co_u32_e32 v41, vcc, v41, v65, vcc
	s_cmp_eq_u64 s[90:91], 0
	s_waitcnt vmcnt(0) lgkmcnt(0)
	v_fmac_f64_e32 v[38:39], v[68:69], v[66:67]
	s_cbranch_scc0 .LBB114_49
	s_branch .LBB114_34
.LBB114_50:                             ;   in Loop: Header=BB114_22 Depth=2
	s_or_b64 exec, exec, s[84:85]
	v_pk_mov_b32 v[28:29], v[36:37], v[36:37] op_sel:[0,1]
.LBB114_51:                             ;   in Loop: Header=BB114_22 Depth=2
	s_or_b64 exec, exec, s[82:83]
.LBB114_52:                             ;   in Loop: Header=BB114_22 Depth=2
	s_or_b64 exec, exec, s[80:81]
	s_waitcnt lgkmcnt(0)
	s_barrier
	s_and_saveexec_b64 s[26:27], s[24:25]
	s_cbranch_execz .LBB114_21
; %bb.53:                               ;   in Loop: Header=BB114_22 Depth=2
	v_mov_b32_e32 v0, s65
	v_add_co_u32_e32 v26, vcc, s64, v26
	v_addc_co_u32_e32 v27, vcc, v0, v27, vcc
	global_store_dwordx2 v[26:27], v[28:29], off
	s_branch .LBB114_21
.LBB114_54:                             ;   in Loop: Header=BB114_13 Depth=1
	s_andn2_b64 vcc, exec, s[34:35]
	s_cbranch_vccnz .LBB114_66
; %bb.55:                               ;   in Loop: Header=BB114_13 Depth=1
	s_load_dwordx4 s[24:27], s[36:37], 0x0
	s_waitcnt lgkmcnt(0)
	s_sub_u32 s26, s26, s93
	v_mov_b32_e32 v0, s25
	v_add_co_u32_e32 v30, vcc, s24, v46
	s_subb_u32 s27, s27, 0
	v_addc_co_u32_e32 v31, vcc, v0, v47, vcc
	v_cmp_gt_i64_e32 vcc, s[26:27], v[30:31]
	s_and_saveexec_b64 s[76:77], vcc
	s_cbranch_execz .LBB114_65
; %bb.56:                               ;   in Loop: Header=BB114_13 Depth=1
	v_readlane_b32 s80, v70, 2
	v_readlane_b32 s82, v70, 4
	;; [unrolled: 1-line block ×3, first 2 shown]
	v_lshlrev_b64 v[26:27], 3, v[30:31]
	s_mov_b64 s[78:79], s[82:83]
	v_mov_b32_e32 v0, s79
	v_add_co_u32_e32 v26, vcc, s78, v26
	v_addc_co_u32_e32 v27, vcc, v0, v27, vcc
	v_mad_u64_u32 v[28:29], s[78:79], s70, v30, v[14:15]
	v_mul_lo_u32 v0, s70, v31
	v_mul_lo_u32 v9, s71, v30
	v_add3_u32 v29, v9, v29, v0
	v_mov_b32_e32 v0, s25
	v_add_co_u32_e32 v30, vcc, s24, v60
	v_addc_co_u32_e32 v31, vcc, v61, v0, vcc
	s_mov_b64 s[78:79], 0
	v_readlane_b32 s81, v70, 3
	v_readlane_b32 s84, v70, 6
	v_readlane_b32 s85, v70, 7
	v_readlane_b32 s86, v70, 8
	v_readlane_b32 s87, v70, 9
	s_branch .LBB114_59
.LBB114_57:                             ;   in Loop: Header=BB114_59 Depth=2
	s_or_b64 exec, exec, s[82:83]
	s_or_b64 s[24:25], s[24:25], exec
.LBB114_58:                             ;   in Loop: Header=BB114_59 Depth=2
	s_or_b64 exec, exec, s[80:81]
	v_cmp_le_i64_e32 vcc, s[26:27], v[30:31]
	s_xor_b64 s[24:25], s[24:25], -1
	s_or_b64 s[24:25], s[24:25], vcc
	v_add_co_u32_e32 v26, vcc, 0x200, v26
	v_addc_co_u32_e32 v27, vcc, 0, v27, vcc
	v_mov_b32_e32 v0, s73
	v_add_co_u32_e32 v28, vcc, s72, v28
	v_addc_co_u32_e32 v29, vcc, v29, v0, vcc
	s_and_b64 s[24:25], exec, s[24:25]
	v_add_co_u32_e32 v30, vcc, 64, v30
	s_or_b64 s[78:79], s[24:25], s[78:79]
	v_addc_co_u32_e32 v31, vcc, 0, v31, vcc
	s_andn2_b64 exec, exec, s[78:79]
	s_cbranch_execz .LBB114_64
.LBB114_59:                             ;   Parent Loop BB114_13 Depth=1
                                        ; =>  This Inner Loop Header: Depth=2
	global_load_dwordx2 v[32:33], v[26:27], off
	v_mov_b32_e32 v0, s94
	s_waitcnt vmcnt(0)
	v_subrev_co_u32_e32 v32, vcc, s93, v32
	v_subb_co_u32_e32 v33, vcc, v33, v0, vcc
	v_cmp_lt_i64_e32 vcc, v[32:33], v[22:23]
	v_cmp_gt_i64_e64 s[24:25], s[74:75], v[32:33]
	s_xor_b64 s[80:81], vcc, -1
	s_or_b64 s[80:81], s[24:25], s[80:81]
                                        ; implicit-def: $sgpr24_sgpr25
	s_and_saveexec_b64 s[82:83], s[80:81]
	s_xor_b64 s[80:81], exec, s[82:83]
; %bb.60:                               ;   in Loop: Header=BB114_59 Depth=2
	v_cmp_lt_i64_e64 s[24:25], v[32:33], v[24:25]
	v_cndmask_b32_e64 v0, v24, v32, s[24:25]
	v_cndmask_b32_e64 v9, v25, v33, s[24:25]
	v_cndmask_b32_e32 v25, v9, v25, vcc
	v_cndmask_b32_e32 v24, v0, v24, vcc
	s_and_b64 s[24:25], vcc, exec
                                        ; implicit-def: $vgpr32
; %bb.61:                               ;   in Loop: Header=BB114_59 Depth=2
	s_andn2_saveexec_b64 s[80:81], s[80:81]
	s_cbranch_execz .LBB114_58
; %bb.62:                               ;   in Loop: Header=BB114_59 Depth=2
	v_subrev_u32_e32 v0, s74, v32
	v_lshlrev_b32_e32 v0, 2, v0
	ds_write_b32 v0, v64 offset:10240
	s_and_saveexec_b64 s[82:83], s[68:69]
	s_cbranch_execz .LBB114_57
; %bb.63:                               ;   in Loop: Header=BB114_59 Depth=2
	global_load_dwordx2 v[32:33], v[28:29], off
	v_or3_b32 v0, v0, v45, v8
	v_lshlrev_b32_e32 v0, 3, v0
	s_waitcnt vmcnt(0)
	v_mul_f64 v[32:33], v[4:5], v[32:33]
	ds_add_f64 v0, v[32:33]
	s_branch .LBB114_57
.LBB114_64:                             ;   in Loop: Header=BB114_13 Depth=1
	s_or_b64 exec, exec, s[78:79]
.LBB114_65:                             ;   in Loop: Header=BB114_13 Depth=1
	s_or_b64 exec, exec, s[76:77]
.LBB114_66:                             ;   in Loop: Header=BB114_13 Depth=1
	s_and_saveexec_b64 s[24:25], s[4:5]
	s_cbranch_execz .LBB114_71
; %bb.67:                               ;   in Loop: Header=BB114_13 Depth=1
	s_mov_b64 s[76:77], exec
	s_mov_b64 s[26:27], -1
.LBB114_68:                             ;   Parent Loop BB114_13 Depth=1
                                        ; =>  This Inner Loop Header: Depth=2
	s_ff1_i32_b64 s80, s[76:77]
	v_readlane_b32 s81, v25, s80
	v_readlane_b32 s82, v24, s80
	v_mov_b32_e32 v22, s82
	v_mov_b32_e32 v23, s81
	v_cmp_lt_u64_e32 vcc, s[26:27], v[22:23]
	s_and_b64 s[78:79], vcc, exec
	s_cselect_b32 s27, s27, s81
	s_cselect_b32 s26, s26, s82
	s_lshl_b64 s[78:79], 1, s80
	s_andn2_b64 s[76:77], s[76:77], s[78:79]
	s_cmp_lg_u64 s[76:77], 0
	s_cbranch_scc1 .LBB114_68
; %bb.69:                               ;   in Loop: Header=BB114_13 Depth=1
	v_mbcnt_lo_u32_b32 v0, exec_lo, 0
	v_mbcnt_hi_u32_b32 v0, exec_hi, v0
	v_cmp_eq_u32_e32 vcc, 0, v0
	s_and_saveexec_b64 s[76:77], vcc
	s_xor_b64 s[76:77], exec, s[76:77]
	s_cbranch_execz .LBB114_71
; %bb.70:                               ;   in Loop: Header=BB114_13 Depth=1
	v_pk_mov_b32 v[22:23], s[26:27], s[26:27] op_sel:[0,1]
	ds_min_u64 v7, v[22:23] offset:11264
.LBB114_71:                             ;   in Loop: Header=BB114_13 Depth=1
	s_or_b64 exec, exec, s[24:25]
	s_waitcnt lgkmcnt(0)
	s_barrier
	ds_read_b32 v0, v48
	s_waitcnt lgkmcnt(0)
	s_barrier
	s_and_saveexec_b64 s[24:25], s[8:9]
	s_cbranch_execz .LBB114_73
; %bb.72:                               ;   in Loop: Header=BB114_13 Depth=1
	ds_read_b32 v9, v49
	s_waitcnt lgkmcnt(0)
	v_add_u32_e32 v0, v9, v0
.LBB114_73:                             ;   in Loop: Header=BB114_13 Depth=1
	s_or_b64 exec, exec, s[24:25]
	s_barrier
	ds_write_b32 v48, v0
	s_waitcnt lgkmcnt(0)
	s_barrier
	s_and_saveexec_b64 s[24:25], s[10:11]
	s_cbranch_execz .LBB114_75
; %bb.74:                               ;   in Loop: Header=BB114_13 Depth=1
	ds_read_b32 v9, v50
	s_waitcnt lgkmcnt(0)
	v_add_u32_e32 v0, v9, v0
.LBB114_75:                             ;   in Loop: Header=BB114_13 Depth=1
	s_or_b64 exec, exec, s[24:25]
	s_barrier
	ds_write_b32 v48, v0
	;; [unrolled: 12-line block ×8, first 2 shown]
	s_waitcnt lgkmcnt(0)
	s_barrier
	ds_read_b32 v24, v7 offset:11260
	v_mov_b32_e32 v9, 0
	s_and_saveexec_b64 s[24:25], s[6:7]
	s_cbranch_execz .LBB114_89
; %bb.88:                               ;   in Loop: Header=BB114_13 Depth=1
	ds_read_b32 v9, v49
.LBB114_89:                             ;   in Loop: Header=BB114_13 Depth=1
	s_or_b64 exec, exec, s[24:25]
	s_waitcnt lgkmcnt(0)
	v_cmp_eq_u32_e32 vcc, v0, v9
	s_and_b64 s[26:27], s[6:7], vcc
	s_barrier
	s_and_saveexec_b64 s[24:25], s[26:27]
	s_cbranch_execz .LBB114_91
; %bb.90:                               ;   in Loop: Header=BB114_13 Depth=1
	ds_write_b32 v48, v7
.LBB114_91:                             ;   in Loop: Header=BB114_13 Depth=1
	s_or_b64 exec, exec, s[24:25]
	v_add_co_u32_e32 v25, vcc, -1, v18
	s_add_u32 s74, s30, s74
	v_addc_co_u32_e32 v26, vcc, -1, v19, vcc
	s_addc_u32 s75, 0, s75
	s_mov_b64 s[24:25], 0
	v_mov_b32_e32 v27, v63
	v_mov_b32_e32 v28, v62
	v_pk_mov_b32 v[22:23], v[6:7], v[6:7] op_sel:[0,1]
	s_waitcnt lgkmcnt(0)
	s_barrier
	s_branch .LBB114_93
.LBB114_92:                             ;   in Loop: Header=BB114_93 Depth=2
	s_or_b64 exec, exec, s[26:27]
	v_add_co_u32_e32 v22, vcc, 64, v22
	v_addc_co_u32_e32 v23, vcc, 0, v23, vcc
	v_subrev_u32_e32 v0, 64, v22
	v_cmp_lt_u32_e32 vcc, s61, v0
	v_add_u32_e32 v28, 0x800, v28
	s_or_b64 s[24:25], vcc, s[24:25]
	v_add_u32_e32 v27, 0x100, v27
	s_andn2_b64 exec, exec, s[24:25]
	s_cbranch_execz .LBB114_12
.LBB114_93:                             ;   Parent Loop BB114_13 Depth=1
                                        ; =>  This Inner Loop Header: Depth=2
	ds_read_b32 v0, v27
	s_waitcnt lgkmcnt(0)
	v_cmp_ne_u32_e32 vcc, 0, v0
	s_and_saveexec_b64 s[26:27], vcc
	s_cbranch_execz .LBB114_92
; %bb.94:                               ;   in Loop: Header=BB114_93 Depth=2
	v_mov_b32_e32 v29, s75
	v_add_co_u32_e32 v30, vcc, s74, v22
	v_addc_co_u32_e32 v31, vcc, v29, v23, vcc
	v_ashrrev_i32_e32 v9, 31, v0
	v_add_co_u32_e32 v32, vcc, v18, v0
	v_addc_co_u32_e32 v33, vcc, v19, v9, vcc
	v_lshlrev_b64 v[32:33], 3, v[32:33]
	v_mov_b32_e32 v29, s39
	v_add_co_u32_e32 v32, vcc, s38, v32
	v_addc_co_u32_e32 v33, vcc, v29, v33, vcc
	global_store_dwordx2 v[32:33], v[30:31], off
	s_and_b64 exec, exec, s[68:69]
	s_cbranch_execz .LBB114_92
; %bb.95:                               ;   in Loop: Header=BB114_93 Depth=2
	v_add_co_u32_e32 v0, vcc, v25, v0
	v_addc_co_u32_e32 v9, vcc, v26, v9, vcc
	ds_read_b64 v[30:31], v28
	v_mul_lo_u32 v9, v9, s42
	v_mul_lo_u32 v29, v0, s43
	v_mad_u64_u32 v[32:33], s[76:77], v0, s42, 0
	v_add3_u32 v33, v33, v29, v9
	v_lshlrev_b64 v[32:33], 3, v[32:33]
	v_add_co_u32_e32 v32, vcc, v12, v32
	v_addc_co_u32_e32 v33, vcc, v1, v33, vcc
	s_waitcnt lgkmcnt(0)
	global_store_dwordx2 v[32:33], v[30:31], off
	s_branch .LBB114_92
.LBB114_96:
	s_endpgm
	.section	.rodata,"a",@progbits
	.p2align	6, 0x0
	.amdhsa_kernel _ZN9rocsparseL38bsrgemm_block_per_row_atomic_multipassILj256ELj256ELj2ElldEEv20rocsparse_direction_T3_S2_PKS2_S4_NS_24const_host_device_scalarIT4_EEPKT2_S4_PKS6_SA_S4_SC_S7_SA_S4_SC_SA_PS2_PS6_PS8_21rocsparse_index_base_SG_SG_SG_bbb
		.amdhsa_group_segment_fixed_size 11272
		.amdhsa_private_segment_fixed_size 0
		.amdhsa_kernarg_size 180
		.amdhsa_user_sgpr_count 6
		.amdhsa_user_sgpr_private_segment_buffer 1
		.amdhsa_user_sgpr_dispatch_ptr 0
		.amdhsa_user_sgpr_queue_ptr 0
		.amdhsa_user_sgpr_kernarg_segment_ptr 1
		.amdhsa_user_sgpr_dispatch_id 0
		.amdhsa_user_sgpr_flat_scratch_init 0
		.amdhsa_user_sgpr_kernarg_preload_length 0
		.amdhsa_user_sgpr_kernarg_preload_offset 0
		.amdhsa_user_sgpr_private_segment_size 0
		.amdhsa_uses_dynamic_stack 0
		.amdhsa_system_sgpr_private_segment_wavefront_offset 0
		.amdhsa_system_sgpr_workgroup_id_x 1
		.amdhsa_system_sgpr_workgroup_id_y 0
		.amdhsa_system_sgpr_workgroup_id_z 0
		.amdhsa_system_sgpr_workgroup_info 0
		.amdhsa_system_vgpr_workitem_id 0
		.amdhsa_next_free_vgpr 71
		.amdhsa_next_free_sgpr 96
		.amdhsa_accum_offset 72
		.amdhsa_reserve_vcc 1
		.amdhsa_reserve_flat_scratch 0
		.amdhsa_float_round_mode_32 0
		.amdhsa_float_round_mode_16_64 0
		.amdhsa_float_denorm_mode_32 3
		.amdhsa_float_denorm_mode_16_64 3
		.amdhsa_dx10_clamp 1
		.amdhsa_ieee_mode 1
		.amdhsa_fp16_overflow 0
		.amdhsa_tg_split 0
		.amdhsa_exception_fp_ieee_invalid_op 0
		.amdhsa_exception_fp_denorm_src 0
		.amdhsa_exception_fp_ieee_div_zero 0
		.amdhsa_exception_fp_ieee_overflow 0
		.amdhsa_exception_fp_ieee_underflow 0
		.amdhsa_exception_fp_ieee_inexact 0
		.amdhsa_exception_int_div_zero 0
	.end_amdhsa_kernel
	.section	.text._ZN9rocsparseL38bsrgemm_block_per_row_atomic_multipassILj256ELj256ELj2ElldEEv20rocsparse_direction_T3_S2_PKS2_S4_NS_24const_host_device_scalarIT4_EEPKT2_S4_PKS6_SA_S4_SC_S7_SA_S4_SC_SA_PS2_PS6_PS8_21rocsparse_index_base_SG_SG_SG_bbb,"axG",@progbits,_ZN9rocsparseL38bsrgemm_block_per_row_atomic_multipassILj256ELj256ELj2ElldEEv20rocsparse_direction_T3_S2_PKS2_S4_NS_24const_host_device_scalarIT4_EEPKT2_S4_PKS6_SA_S4_SC_S7_SA_S4_SC_SA_PS2_PS6_PS8_21rocsparse_index_base_SG_SG_SG_bbb,comdat
.Lfunc_end114:
	.size	_ZN9rocsparseL38bsrgemm_block_per_row_atomic_multipassILj256ELj256ELj2ElldEEv20rocsparse_direction_T3_S2_PKS2_S4_NS_24const_host_device_scalarIT4_EEPKT2_S4_PKS6_SA_S4_SC_S7_SA_S4_SC_SA_PS2_PS6_PS8_21rocsparse_index_base_SG_SG_SG_bbb, .Lfunc_end114-_ZN9rocsparseL38bsrgemm_block_per_row_atomic_multipassILj256ELj256ELj2ElldEEv20rocsparse_direction_T3_S2_PKS2_S4_NS_24const_host_device_scalarIT4_EEPKT2_S4_PKS6_SA_S4_SC_S7_SA_S4_SC_SA_PS2_PS6_PS8_21rocsparse_index_base_SG_SG_SG_bbb
                                        ; -- End function
	.section	.AMDGPU.csdata,"",@progbits
; Kernel info:
; codeLenInByte = 3928
; NumSgprs: 100
; NumVgprs: 71
; NumAgprs: 0
; TotalNumVgprs: 71
; ScratchSize: 0
; MemoryBound: 0
; FloatMode: 240
; IeeeMode: 1
; LDSByteSize: 11272 bytes/workgroup (compile time only)
; SGPRBlocks: 12
; VGPRBlocks: 8
; NumSGPRsForWavesPerEU: 100
; NumVGPRsForWavesPerEU: 71
; AccumOffset: 72
; Occupancy: 5
; WaveLimiterHint : 1
; COMPUTE_PGM_RSRC2:SCRATCH_EN: 0
; COMPUTE_PGM_RSRC2:USER_SGPR: 6
; COMPUTE_PGM_RSRC2:TRAP_HANDLER: 0
; COMPUTE_PGM_RSRC2:TGID_X_EN: 1
; COMPUTE_PGM_RSRC2:TGID_Y_EN: 0
; COMPUTE_PGM_RSRC2:TGID_Z_EN: 0
; COMPUTE_PGM_RSRC2:TIDIG_COMP_CNT: 0
; COMPUTE_PGM_RSRC3_GFX90A:ACCUM_OFFSET: 17
; COMPUTE_PGM_RSRC3_GFX90A:TG_SPLIT: 0
	.section	.text._ZN9rocsparseL23bsrgemm_fill_wf_per_rowILj256ELj64ELj8ELj137ELj4ElldEEv20rocsparse_direction_T5_S2_S2_PKS2_S4_NS_24const_host_device_scalarIT6_EEPKT4_S4_PKS6_SA_S4_SC_S7_SA_S4_SC_SA_PS2_PS6_21rocsparse_index_base_SF_SF_SF_bbb,"axG",@progbits,_ZN9rocsparseL23bsrgemm_fill_wf_per_rowILj256ELj64ELj8ELj137ELj4ElldEEv20rocsparse_direction_T5_S2_S2_PKS2_S4_NS_24const_host_device_scalarIT6_EEPKT4_S4_PKS6_SA_S4_SC_S7_SA_S4_SC_SA_PS2_PS6_21rocsparse_index_base_SF_SF_SF_bbb,comdat
	.globl	_ZN9rocsparseL23bsrgemm_fill_wf_per_rowILj256ELj64ELj8ELj137ELj4ElldEEv20rocsparse_direction_T5_S2_S2_PKS2_S4_NS_24const_host_device_scalarIT6_EEPKT4_S4_PKS6_SA_S4_SC_S7_SA_S4_SC_SA_PS2_PS6_21rocsparse_index_base_SF_SF_SF_bbb ; -- Begin function _ZN9rocsparseL23bsrgemm_fill_wf_per_rowILj256ELj64ELj8ELj137ELj4ElldEEv20rocsparse_direction_T5_S2_S2_PKS2_S4_NS_24const_host_device_scalarIT6_EEPKT4_S4_PKS6_SA_S4_SC_S7_SA_S4_SC_SA_PS2_PS6_21rocsparse_index_base_SF_SF_SF_bbb
	.p2align	8
	.type	_ZN9rocsparseL23bsrgemm_fill_wf_per_rowILj256ELj64ELj8ELj137ELj4ElldEEv20rocsparse_direction_T5_S2_S2_PKS2_S4_NS_24const_host_device_scalarIT6_EEPKT4_S4_PKS6_SA_S4_SC_S7_SA_S4_SC_SA_PS2_PS6_21rocsparse_index_base_SF_SF_SF_bbb,@function
_ZN9rocsparseL23bsrgemm_fill_wf_per_rowILj256ELj64ELj8ELj137ELj4ElldEEv20rocsparse_direction_T5_S2_S2_PKS2_S4_NS_24const_host_device_scalarIT6_EEPKT4_S4_PKS6_SA_S4_SC_S7_SA_S4_SC_SA_PS2_PS6_21rocsparse_index_base_SF_SF_SF_bbb: ; @_ZN9rocsparseL23bsrgemm_fill_wf_per_rowILj256ELj64ELj8ELj137ELj4ElldEEv20rocsparse_direction_T5_S2_S2_PKS2_S4_NS_24const_host_device_scalarIT6_EEPKT4_S4_PKS6_SA_S4_SC_S7_SA_S4_SC_SA_PS2_PS6_21rocsparse_index_base_SF_SF_SF_bbb
; %bb.0:
	s_load_dword s7, s[4:5], 0xb0
	s_load_dwordx2 s[2:3], s[4:5], 0x30
	s_load_dwordx2 s[8:9], s[4:5], 0x68
	s_waitcnt lgkmcnt(0)
	s_and_b32 s0, 1, s7
	s_bitcmp1_b32 s7, 16
	s_cselect_b64 s[10:11], -1, 0
	s_cmp_eq_u32 s0, 1
	s_cselect_b64 s[0:1], -1, 0
	s_and_b64 s[12:13], s[0:1], exec
	s_cselect_b32 s13, s3, 0
	s_cselect_b32 s12, s2, 0
	s_xor_b64 s[14:15], s[0:1], -1
	s_or_b64 s[14:15], s[14:15], s[10:11]
	s_and_b64 vcc, exec, s[14:15]
	v_pk_mov_b32 v[12:13], s[12:13], s[12:13] op_sel:[0,1]
	s_cbranch_vccnz .LBB115_2
; %bb.1:
	v_pk_mov_b32 v[2:3], s[2:3], s[2:3] op_sel:[0,1]
	flat_load_dwordx2 v[12:13], v[2:3]
.LBB115_2:
	s_bitcmp1_b32 s7, 8
	s_load_dwordx4 s[36:39], s[4:5], 0xa0
	s_cselect_b64 s[2:3], -1, 0
	s_and_b64 s[12:13], s[2:3], exec
	s_cselect_b32 s13, s9, 0
	s_cselect_b32 s12, s8, 0
	s_xor_b64 s[14:15], s[2:3], -1
	s_or_b64 s[10:11], s[14:15], s[10:11]
	s_and_b64 vcc, exec, s[10:11]
	v_pk_mov_b32 v[4:5], s[12:13], s[12:13] op_sel:[0,1]
	s_cbranch_vccnz .LBB115_4
; %bb.3:
	v_pk_mov_b32 v[2:3], s[8:9], s[8:9] op_sel:[0,1]
	flat_load_dwordx2 v[4:5], v[2:3]
.LBB115_4:
	s_load_dwordx4 s[40:43], s[4:5], 0x90
	s_load_dwordx8 s[16:23], s[4:5], 0x70
	s_load_dwordx4 s[44:47], s[4:5], 0x58
	s_load_dwordx8 s[8:15], s[4:5], 0x8
	s_load_dwordx2 s[34:35], s[4:5], 0x28
	s_load_dwordx8 s[24:31], s[4:5], 0x38
	v_and_b32_e32 v1, 63, v0
	v_and_b32_e32 v2, 0xc0, v0
	v_lshrrev_b32_e32 v39, 6, v0
	v_or_b32_e32 v38, 0x1000, v2
	v_cmp_gt_u32_e32 vcc, 8, v1
	s_and_saveexec_b64 s[48:49], vcc
	s_cbranch_execz .LBB115_6
; %bb.5:
	v_lshl_add_u32 v6, v1, 3, v38
	s_waitcnt lgkmcnt(0)
	v_pk_mov_b32 v[2:3], s[10:11], s[10:11] op_sel:[0,1]
	ds_write_b64 v6, v[2:3]
.LBB115_6:
	s_or_b64 exec, exec, s[48:49]
	v_lshlrev_b32_e32 v40, 10, v39
	v_mov_b32_e32 v2, 0
	v_or_b32_e32 v6, 0xffffffc0, v1
	v_lshl_or_b32 v7, v1, 3, v40
	s_mov_b64 s[48:49], 0
	v_mov_b32_e32 v3, v2
.LBB115_7:                              ; =>This Inner Loop Header: Depth=1
	v_add_co_u32_e32 v6, vcc, 64, v6
	s_xor_b64 s[50:51], vcc, -1
	s_and_b64 s[50:51], exec, s[50:51]
	ds_write_b64 v7, v[2:3]
	s_or_b64 s[48:49], s[50:51], s[48:49]
	v_add_u32_e32 v7, 0x200, v7
	s_andn2_b64 exec, exec, s[48:49]
	s_cbranch_execnz .LBB115_7
; %bb.8:
	s_or_b64 exec, exec, s[48:49]
	v_lshl_or_b32 v2, s6, 2, v39
	v_mov_b32_e32 v3, 0
	s_waitcnt lgkmcnt(0)
	v_cmp_gt_i64_e32 vcc, s[8:9], v[2:3]
	s_barrier
	s_and_saveexec_b64 s[6:7], vcc
	s_cbranch_execz .LBB115_62
; %bb.9:
	s_cmp_eq_u64 s[34:35], 0
	s_cbranch_scc1 .LBB115_11
; %bb.10:
	s_load_dwordx2 s[6:7], s[14:15], 0x0
	v_lshlrev_b64 v[2:3], 3, v[2:3]
	s_waitcnt lgkmcnt(0)
	s_lshl_b64 s[6:7], s[6:7], 3
	s_add_u32 s6, s34, s6
	s_addc_u32 s7, s35, s7
	v_mov_b32_e32 v6, s7
	v_add_co_u32_e32 v2, vcc, s6, v2
	v_addc_co_u32_e32 v3, vcc, v6, v3, vcc
	global_load_dwordx2 v[2:3], v[2:3], off
.LBB115_11:
	s_load_dword s65, s[4:5], 0x0
	v_lshrrev_b32_e32 v41, 4, v1
	v_and_b32_e32 v6, 3, v0
	v_bfe_u32 v8, v0, 2, 2
	s_andn2_b64 vcc, exec, s[0:1]
	s_waitcnt vmcnt(0)
	v_lshlrev_b64 v[10:11], 3, v[2:3]
	s_mul_i32 s33, s12, s13
	s_mul_hi_u32 s64, s12, s12
	s_mul_i32 s4, s12, s12
	s_cbranch_vccnz .LBB115_39
; %bb.12:
	v_mov_b32_e32 v1, s25
	v_add_co_u32_e32 v0, vcc, s24, v10
	v_addc_co_u32_e32 v1, vcc, v1, v11, vcc
	global_load_dwordx4 v[0:3], v[0:1], off
	v_subrev_co_u32_e32 v7, vcc, s36, v41
	v_subb_co_u32_e64 v9, s[0:1], 0, 0, vcc
	s_mov_b32 s48, 0
	s_waitcnt vmcnt(0)
	v_subrev_co_u32_e32 v14, vcc, s36, v2
	v_subbrev_co_u32_e32 v15, vcc, 0, v3, vcc
	v_add_co_u32_e32 v16, vcc, v0, v7
	v_addc_co_u32_e32 v17, vcc, v1, v9, vcc
	v_cmp_lt_i64_e32 vcc, v[16:17], v[14:15]
	s_and_saveexec_b64 s[6:7], vcc
	s_cbranch_execz .LBB115_38
; %bb.13:
	s_waitcnt lgkmcnt(0)
	s_cmp_lg_u32 s65, 0
	v_mov_b32_e32 v7, 0
	s_cselect_b64 s[8:9], -1, 0
	s_add_i32 s5, s64, s33
	v_lshlrev_b32_e32 v18, 3, v6
	v_mov_b32_e32 v9, v7
	v_lshlrev_b32_e32 v0, 5, v8
	s_add_i32 s5, s5, s33
	v_cmp_gt_u64_e64 s[0:1], s[12:13], v[8:9]
	v_add3_u32 v9, v40, v18, v0
	v_mul_lo_u32 v2, s5, v16
	v_mul_lo_u32 v3, s4, v17
	v_mad_u64_u32 v[0:1], s[34:35], s4, v16, 0
	v_add3_u32 v1, v1, v3, v2
	v_cmp_gt_i64_e32 vcc, s[12:13], v[6:7]
	v_lshlrev_b64 v[0:1], 3, v[0:1]
	v_lshlrev_b32_e32 v2, 3, v8
	s_and_b64 s[0:1], vcc, s[0:1]
	v_add_co_u32_e32 v0, vcc, v0, v2
	v_addc_co_u32_e32 v1, vcc, 0, v1, vcc
	v_mov_b32_e32 v3, s29
	v_add_co_u32_e32 v20, vcc, s28, v0
	s_mov_b32 s66, s36
	s_mov_b32 s67, s37
	v_mov_b32_e32 v19, v7
	v_addc_co_u32_e32 v21, vcc, v3, v1, vcc
	v_mul_lo_u32 v3, s13, v16
	v_mul_lo_u32 v7, s12, v17
	v_mad_u64_u32 v[0:1], s[36:37], s12, v16, 0
	v_add3_u32 v1, v1, v7, v3
	v_lshlrev_b64 v[0:1], 3, v[0:1]
	v_add_co_u32_e32 v2, vcc, v0, v2
	v_addc_co_u32_e32 v0, vcc, 0, v1, vcc
	v_mul_lo_u32 v3, s12, v0
	v_pk_mov_b32 v[0:1], s[28:29], s[28:29] op_sel:[0,1]
	v_mul_lo_u32 v7, s13, v2
	v_mad_u64_u32 v[22:23], s[28:29], s12, v2, v[0:1]
	v_mov_b32_e32 v0, s47
	v_add_co_u32_e32 v24, vcc, s46, v18
	s_mov_b32 s68, s48
	s_lshl_b64 s[14:15], s[12:13], 3
	s_lshl_b64 s[24:25], s[4:5], 3
	s_lshl_b64 s[34:35], s[4:5], 5
	v_add3_u32 v23, v7, v23, v3
	v_addc_co_u32_e32 v25, vcc, 0, v0, vcc
	s_mov_b64 s[28:29], 0
	v_mov_b32_e32 v7, s27
	v_mov_b32_e32 v42, s48
	;; [unrolled: 1-line block ×3, first 2 shown]
	s_branch .LBB115_15
.LBB115_14:                             ;   in Loop: Header=BB115_15 Depth=1
	s_or_b64 exec, exec, s[36:37]
	v_add_co_u32_e32 v16, vcc, 4, v16
	v_addc_co_u32_e32 v17, vcc, 0, v17, vcc
	v_mov_b32_e32 v0, s35
	v_add_co_u32_e32 v20, vcc, s34, v20
	v_addc_co_u32_e32 v21, vcc, v21, v0, vcc
	v_cmp_ge_i64_e32 vcc, v[16:17], v[14:15]
	s_or_b64 s[28:29], vcc, s[28:29]
	v_add_co_u32_e32 v22, vcc, s34, v22
	v_addc_co_u32_e32 v23, vcc, v23, v0, vcc
	s_andn2_b64 exec, exec, s[28:29]
	s_cbranch_execz .LBB115_38
.LBB115_15:                             ; =>This Loop Header: Depth=1
                                        ;     Child Loop BB115_18 Depth 2
                                        ;       Child Loop BB115_25 Depth 3
                                        ;       Child Loop BB115_21 Depth 3
                                        ;       Child Loop BB115_28 Depth 3
	v_lshlrev_b64 v[0:1], 3, v[16:17]
	v_add_co_u32_e32 v0, vcc, s26, v0
	v_addc_co_u32_e32 v1, vcc, v7, v1, vcc
	global_load_dwordx2 v[0:1], v[0:1], off
	s_waitcnt vmcnt(0)
	v_subrev_co_u32_e32 v0, vcc, s66, v0
	v_subb_co_u32_e32 v1, vcc, v1, v42, vcc
	v_lshlrev_b64 v[0:1], 3, v[0:1]
	v_add_co_u32_e32 v0, vcc, s30, v0
	v_addc_co_u32_e32 v1, vcc, v43, v1, vcc
	global_load_dwordx4 v[0:3], v[0:1], off
	s_waitcnt vmcnt(0)
	v_cmp_lt_i64_e32 vcc, v[0:1], v[2:3]
	s_and_saveexec_b64 s[36:37], vcc
	s_cbranch_execz .LBB115_14
; %bb.16:                               ;   in Loop: Header=BB115_15 Depth=1
	v_mov_b32_e32 v26, s68
	v_subrev_co_u32_e32 v2, vcc, s67, v2
	v_subb_co_u32_e32 v3, vcc, v3, v26, vcc
	v_subrev_co_u32_e32 v0, vcc, s67, v0
	v_subb_co_u32_e32 v1, vcc, v1, v26, vcc
	v_mul_lo_u32 v28, s14, v1
	v_mul_lo_u32 v29, s15, v0
	v_mad_u64_u32 v[26:27], s[48:49], s14, v0, v[18:19]
	v_add3_u32 v27, v29, v27, v28
	v_pk_mov_b32 v[28:29], s[46:47], s[46:47] op_sel:[0,1]
	v_mul_lo_u32 v30, s12, v27
	v_mul_lo_u32 v31, s13, v26
	v_mad_u64_u32 v[26:27], s[48:49], s12, v26, v[28:29]
	v_add3_u32 v27, v31, v27, v30
	v_mul_lo_u32 v30, s24, v1
	v_mul_lo_u32 v31, s25, v0
	v_mad_u64_u32 v[28:29], s[48:49], s24, v0, v[24:25]
	v_add3_u32 v29, v31, v29, v30
	s_mov_b64 s[48:49], 0
	s_branch .LBB115_18
.LBB115_17:                             ;   in Loop: Header=BB115_18 Depth=2
	s_or_b64 exec, exec, s[50:51]
	v_add_co_u32_e32 v0, vcc, 1, v0
	v_addc_co_u32_e32 v1, vcc, 0, v1, vcc
	v_mov_b32_e32 v30, s25
	v_add_co_u32_e32 v26, vcc, s24, v26
	v_addc_co_u32_e32 v27, vcc, v27, v30, vcc
	v_cmp_ge_i64_e32 vcc, v[0:1], v[2:3]
	s_or_b64 s[48:49], vcc, s[48:49]
	v_add_co_u32_e32 v28, vcc, s24, v28
	v_addc_co_u32_e32 v29, vcc, v29, v30, vcc
	s_andn2_b64 exec, exec, s[48:49]
	s_cbranch_execz .LBB115_14
.LBB115_18:                             ;   Parent Loop BB115_15 Depth=1
                                        ; =>  This Loop Header: Depth=2
                                        ;       Child Loop BB115_25 Depth 3
                                        ;       Child Loop BB115_21 Depth 3
                                        ;       Child Loop BB115_28 Depth 3
	s_and_saveexec_b64 s[50:51], s[0:1]
	s_cbranch_execz .LBB115_17
; %bb.19:                               ;   in Loop: Header=BB115_18 Depth=2
	v_lshlrev_b64 v[30:31], 3, v[0:1]
	v_mov_b32_e32 v32, s45
	v_add_co_u32_e32 v30, vcc, s44, v30
	v_addc_co_u32_e32 v31, vcc, v32, v31, vcc
	global_load_dwordx2 v[30:31], v[30:31], off
	s_andn2_b64 vcc, exec, s[8:9]
	s_cbranch_vccnz .LBB115_23
; %bb.20:                               ;   in Loop: Header=BB115_18 Depth=2
	v_pk_mov_b32 v[32:33], 0, 0
	v_pk_mov_b32 v[34:35], v[20:21], v[20:21] op_sel:[0,1]
	s_mov_b64 s[52:53], s[12:13]
	v_pk_mov_b32 v[36:37], v[26:27], v[26:27] op_sel:[0,1]
.LBB115_21:                             ;   Parent Loop BB115_15 Depth=1
                                        ;     Parent Loop BB115_18 Depth=2
                                        ; =>    This Inner Loop Header: Depth=3
	global_load_dwordx2 v[44:45], v[34:35], off
	global_load_dwordx2 v[46:47], v[36:37], off
	v_add_co_u32_e32 v36, vcc, 8, v36
	v_addc_co_u32_e32 v37, vcc, 0, v37, vcc
	s_add_u32 s52, s52, -1
	v_mov_b32_e32 v48, s15
	v_add_co_u32_e32 v34, vcc, s14, v34
	s_addc_u32 s53, s53, -1
	v_addc_co_u32_e32 v35, vcc, v35, v48, vcc
	s_cmp_lg_u64 s[52:53], 0
	s_waitcnt vmcnt(0)
	v_fmac_f64_e32 v[32:33], v[44:45], v[46:47]
	s_cbranch_scc1 .LBB115_21
; %bb.22:                               ;   in Loop: Header=BB115_18 Depth=2
	s_branch .LBB115_26
.LBB115_23:                             ;   in Loop: Header=BB115_18 Depth=2
                                        ; implicit-def: $vgpr32_vgpr33
	s_cbranch_execz .LBB115_26
; %bb.24:                               ;   in Loop: Header=BB115_18 Depth=2
	v_pk_mov_b32 v[32:33], 0, 0
	v_pk_mov_b32 v[34:35], v[28:29], v[28:29] op_sel:[0,1]
	s_mov_b64 s[52:53], s[12:13]
	v_pk_mov_b32 v[36:37], v[22:23], v[22:23] op_sel:[0,1]
.LBB115_25:                             ;   Parent Loop BB115_15 Depth=1
                                        ;     Parent Loop BB115_18 Depth=2
                                        ; =>    This Inner Loop Header: Depth=3
	global_load_dwordx2 v[44:45], v[36:37], off
	global_load_dwordx2 v[46:47], v[34:35], off
	v_add_co_u32_e32 v36, vcc, 8, v36
	v_addc_co_u32_e32 v37, vcc, 0, v37, vcc
	s_add_u32 s52, s52, -1
	v_mov_b32_e32 v48, s15
	v_add_co_u32_e32 v34, vcc, s14, v34
	s_addc_u32 s53, s53, -1
	v_addc_co_u32_e32 v35, vcc, v35, v48, vcc
	s_cmp_eq_u64 s[52:53], 0
	s_waitcnt vmcnt(0)
	v_fmac_f64_e32 v[32:33], v[44:45], v[46:47]
	s_cbranch_scc0 .LBB115_25
.LBB115_26:                             ;   in Loop: Header=BB115_18 Depth=2
	v_mov_b32_e32 v34, s68
	s_waitcnt vmcnt(0)
	v_subrev_co_u32_e32 v30, vcc, s67, v30
	v_subb_co_u32_e32 v31, vcc, v31, v34, vcc
	v_mul_f64 v[32:33], v[12:13], v[32:33]
	v_and_b32_e32 v34, 7, v30
	s_mov_b64 s[52:53], 0
	s_branch .LBB115_28
.LBB115_27:                             ;   in Loop: Header=BB115_28 Depth=3
	s_or_b64 exec, exec, s[54:55]
	s_xor_b64 s[54:55], s[56:57], -1
	s_and_b64 s[54:55], exec, s[54:55]
	s_or_b64 s[52:53], s[54:55], s[52:53]
	s_andn2_b64 exec, exec, s[52:53]
	s_cbranch_execz .LBB115_17
.LBB115_28:                             ;   Parent Loop BB115_15 Depth=1
                                        ;     Parent Loop BB115_18 Depth=2
                                        ; =>    This Inner Loop Header: Depth=3
	v_lshl_add_u32 v35, v34, 3, v38
	ds_read_b64 v[36:37], v35
                                        ; implicit-def: $sgpr56_sgpr57
	s_waitcnt lgkmcnt(0)
	v_cmp_ne_u64_e32 vcc, v[36:37], v[30:31]
	s_and_saveexec_b64 s[54:55], vcc
	s_xor_b64 s[54:55], exec, s[54:55]
	s_cbranch_execz .LBB115_36
; %bb.29:                               ;   in Loop: Header=BB115_28 Depth=3
	v_cmp_ne_u64_e32 vcc, s[10:11], v[36:37]
                                        ; implicit-def: $sgpr56_sgpr57
	s_and_saveexec_b64 s[58:59], vcc
	s_xor_b64 s[58:59], exec, s[58:59]
; %bb.30:                               ;   in Loop: Header=BB115_28 Depth=3
	v_add_u32_e32 v34, 1, v34
	v_and_b32_e32 v34, 7, v34
	s_mov_b64 s[56:57], -1
                                        ; implicit-def: $vgpr35
; %bb.31:                               ;   in Loop: Header=BB115_28 Depth=3
	s_andn2_saveexec_b64 s[58:59], s[58:59]
	s_cbranch_execz .LBB115_35
; %bb.32:                               ;   in Loop: Header=BB115_28 Depth=3
	v_pk_mov_b32 v[36:37], s[10:11], s[10:11] op_sel:[0,1]
	ds_cmpst_rtn_b64 v[36:37], v35, v[36:37], v[30:31]
	s_mov_b64 s[60:61], -1
	s_waitcnt lgkmcnt(0)
	v_cmp_eq_u64_e32 vcc, s[10:11], v[36:37]
	s_and_saveexec_b64 s[62:63], vcc
	s_cbranch_execz .LBB115_34
; %bb.33:                               ;   in Loop: Header=BB115_28 Depth=3
	v_lshl_add_u32 v35, v34, 7, v9
	ds_add_f64 v35, v[32:33]
	s_xor_b64 s[60:61], exec, -1
.LBB115_34:                             ;   in Loop: Header=BB115_28 Depth=3
	s_or_b64 exec, exec, s[62:63]
	s_andn2_b64 s[56:57], s[56:57], exec
	s_and_b64 s[60:61], s[60:61], exec
	s_or_b64 s[56:57], s[56:57], s[60:61]
.LBB115_35:                             ;   in Loop: Header=BB115_28 Depth=3
	s_or_b64 exec, exec, s[58:59]
	s_and_b64 s[56:57], s[56:57], exec
.LBB115_36:                             ;   in Loop: Header=BB115_28 Depth=3
	s_andn2_saveexec_b64 s[54:55], s[54:55]
	s_cbranch_execz .LBB115_27
; %bb.37:                               ;   in Loop: Header=BB115_28 Depth=3
	v_lshl_add_u32 v35, v34, 7, v9
	ds_add_f64 v35, v[32:33]
	s_andn2_b64 s[56:57], s[56:57], exec
	s_branch .LBB115_27
.LBB115_38:
	s_or_b64 exec, exec, s[6:7]
.LBB115_39:
	s_andn2_b64 vcc, exec, s[2:3]
	s_waitcnt lgkmcnt(0)
	s_barrier
	s_cbranch_vccnz .LBB115_57
; %bb.40:
	v_mov_b32_e32 v1, s17
	v_add_co_u32_e32 v0, vcc, s16, v10
	v_addc_co_u32_e32 v1, vcc, v1, v11, vcc
	global_load_dwordx4 v[12:15], v[0:1], off
	v_subrev_co_u32_e32 v2, vcc, s39, v41
	v_subb_co_u32_e64 v3, s[0:1], 0, 0, vcc
	s_mov_b32 s5, 0
	s_waitcnt vmcnt(0)
	v_subrev_co_u32_e32 v0, vcc, s39, v14
	v_subbrev_co_u32_e32 v1, vcc, 0, v15, vcc
	v_add_co_u32_e32 v2, vcc, v12, v2
	v_addc_co_u32_e32 v3, vcc, v13, v3, vcc
	v_cmp_lt_i64_e32 vcc, v[2:3], v[0:1]
	s_and_saveexec_b64 s[6:7], vcc
	s_cbranch_execz .LBB115_56
; %bb.41:
	v_mad_u64_u32 v[12:13], s[2:3], v6, s12, 0
	v_mov_b32_e32 v14, v13
	v_mad_u64_u32 v[14:15], s[2:3], v6, s13, v[14:15]
	v_mov_b32_e32 v13, v14
	v_mov_b32_e32 v7, 0
	v_lshlrev_b64 v[12:13], 3, v[12:13]
	v_cmp_gt_i64_e32 vcc, s[12:13], v[6:7]
	v_mov_b32_e32 v9, v7
	v_mov_b32_e32 v7, s21
	v_add_co_u32_e64 v14, s[2:3], s20, v12
	v_addc_co_u32_e64 v15, s[2:3], v7, v13, s[2:3]
	v_lshlrev_b64 v[12:13], 3, v[8:9]
	v_add_co_u32_e64 v17, s[2:3], v14, v12
	v_addc_co_u32_e64 v18, s[2:3], v15, v13, s[2:3]
	v_mad_u64_u32 v[12:13], s[2:3], v8, s12, 0
	v_mov_b32_e32 v14, v13
	v_mad_u64_u32 v[14:15], s[2:3], v8, s13, v[14:15]
	v_mov_b32_e32 v13, v14
	v_lshlrev_b64 v[12:13], 3, v[12:13]
	v_cmp_gt_u64_e64 s[0:1], s[12:13], v[8:9]
	v_add_co_u32_e64 v9, s[2:3], s20, v12
	v_lshlrev_b32_e32 v16, 3, v6
	v_addc_co_u32_e64 v7, s[2:3], v7, v13, s[2:3]
	v_add_co_u32_e64 v12, s[2:3], v9, v16
	s_cmp_eq_u32 s65, 0
	v_addc_co_u32_e64 v7, s[2:3], 0, v7, s[2:3]
	s_cselect_b64 s[2:3], -1, 0
	s_add_i32 s8, s64, s33
	v_lshlrev_b32_e32 v9, 5, v8
	s_mov_b32 s30, s39
	s_add_i32 s31, s8, s33
	v_add3_u32 v9, v40, v16, v9
	s_and_b64 s[0:1], vcc, s[0:1]
	v_cndmask_b32_e64 v7, v18, v7, s[2:3]
	v_cndmask_b32_e64 v12, v17, v12, s[2:3]
	s_mov_b64 s[2:3], 0
	s_branch .LBB115_43
.LBB115_42:                             ;   in Loop: Header=BB115_43 Depth=1
	s_or_b64 exec, exec, s[8:9]
	v_add_co_u32_e32 v2, vcc, 4, v2
	v_addc_co_u32_e32 v3, vcc, 0, v3, vcc
	v_cmp_ge_i64_e32 vcc, v[2:3], v[0:1]
	s_or_b64 s[2:3], vcc, s[2:3]
	s_andn2_b64 exec, exec, s[2:3]
	s_cbranch_execz .LBB115_56
.LBB115_43:                             ; =>This Loop Header: Depth=1
                                        ;     Child Loop BB115_46 Depth 2
	s_and_saveexec_b64 s[8:9], s[0:1]
	s_cbranch_execz .LBB115_42
; %bb.44:                               ;   in Loop: Header=BB115_43 Depth=1
	v_lshlrev_b64 v[14:15], 3, v[2:3]
	v_mov_b32_e32 v13, s19
	v_add_co_u32_e32 v14, vcc, s18, v14
	v_addc_co_u32_e32 v15, vcc, v13, v15, vcc
	v_mul_lo_u32 v13, s31, v2
	v_mul_lo_u32 v18, s4, v3
	v_mad_u64_u32 v[16:17], s[14:15], s4, v2, 0
	v_add3_u32 v17, v17, v18, v13
	v_lshlrev_b64 v[16:17], 3, v[16:17]
	v_add_co_u32_e32 v16, vcc, v12, v16
	global_load_dwordx2 v[14:15], v[14:15], off
	v_addc_co_u32_e32 v17, vcc, v7, v17, vcc
	global_load_dwordx2 v[16:17], v[16:17], off
	v_mov_b32_e32 v13, s5
	s_mov_b64 s[14:15], 0
	s_waitcnt vmcnt(1)
	v_subrev_co_u32_e32 v14, vcc, s30, v14
	v_subb_co_u32_e32 v15, vcc, v15, v13, vcc
	v_and_b32_e32 v18, 7, v14
	s_waitcnt vmcnt(0)
	v_mul_f64 v[16:17], v[4:5], v[16:17]
	s_branch .LBB115_46
.LBB115_45:                             ;   in Loop: Header=BB115_46 Depth=2
	s_or_b64 exec, exec, s[16:17]
	s_xor_b64 s[16:17], s[20:21], -1
	s_and_b64 s[16:17], exec, s[16:17]
	s_or_b64 s[14:15], s[16:17], s[14:15]
	s_andn2_b64 exec, exec, s[14:15]
	s_cbranch_execz .LBB115_42
.LBB115_46:                             ;   Parent Loop BB115_43 Depth=1
                                        ; =>  This Inner Loop Header: Depth=2
	v_lshl_add_u32 v13, v18, 3, v38
	ds_read_b64 v[20:21], v13
                                        ; implicit-def: $sgpr20_sgpr21
	s_waitcnt lgkmcnt(0)
	v_cmp_ne_u64_e32 vcc, v[20:21], v[14:15]
	s_and_saveexec_b64 s[16:17], vcc
	s_xor_b64 s[16:17], exec, s[16:17]
	s_cbranch_execz .LBB115_54
; %bb.47:                               ;   in Loop: Header=BB115_46 Depth=2
	v_cmp_ne_u64_e32 vcc, s[10:11], v[20:21]
                                        ; implicit-def: $sgpr20_sgpr21
	s_and_saveexec_b64 s[24:25], vcc
	s_xor_b64 s[24:25], exec, s[24:25]
; %bb.48:                               ;   in Loop: Header=BB115_46 Depth=2
	v_add_u32_e32 v13, 1, v18
	v_and_b32_e32 v18, 7, v13
	s_mov_b64 s[20:21], -1
                                        ; implicit-def: $vgpr13
; %bb.49:                               ;   in Loop: Header=BB115_46 Depth=2
	s_andn2_saveexec_b64 s[24:25], s[24:25]
	s_cbranch_execz .LBB115_53
; %bb.50:                               ;   in Loop: Header=BB115_46 Depth=2
	v_pk_mov_b32 v[20:21], s[10:11], s[10:11] op_sel:[0,1]
	ds_cmpst_rtn_b64 v[20:21], v13, v[20:21], v[14:15]
	s_mov_b64 s[26:27], -1
	s_waitcnt lgkmcnt(0)
	v_cmp_eq_u64_e32 vcc, s[10:11], v[20:21]
	s_and_saveexec_b64 s[28:29], vcc
	s_cbranch_execz .LBB115_52
; %bb.51:                               ;   in Loop: Header=BB115_46 Depth=2
	v_lshl_add_u32 v13, v18, 7, v9
	ds_add_f64 v13, v[16:17]
	s_xor_b64 s[26:27], exec, -1
.LBB115_52:                             ;   in Loop: Header=BB115_46 Depth=2
	s_or_b64 exec, exec, s[28:29]
	s_andn2_b64 s[20:21], s[20:21], exec
	s_and_b64 s[26:27], s[26:27], exec
	s_or_b64 s[20:21], s[20:21], s[26:27]
.LBB115_53:                             ;   in Loop: Header=BB115_46 Depth=2
	s_or_b64 exec, exec, s[24:25]
	s_and_b64 s[20:21], s[20:21], exec
.LBB115_54:                             ;   in Loop: Header=BB115_46 Depth=2
	s_andn2_saveexec_b64 s[16:17], s[16:17]
	s_cbranch_execz .LBB115_45
; %bb.55:                               ;   in Loop: Header=BB115_46 Depth=2
	v_lshl_add_u32 v13, v18, 7, v9
	ds_add_f64 v13, v[16:17]
	s_andn2_b64 s[20:21], s[20:21], exec
	s_branch .LBB115_45
.LBB115_56:
	s_or_b64 exec, exec, s[6:7]
.LBB115_57:
	v_mov_b32_e32 v1, s23
	v_add_co_u32_e32 v0, vcc, s22, v10
	v_addc_co_u32_e32 v1, vcc, v1, v11, vcc
	s_waitcnt lgkmcnt(0)
	s_barrier
	global_load_dwordx2 v[0:1], v[0:1], off
	s_cmp_eq_u32 s65, 0
	v_mad_u64_u32 v[2:3], s[0:1], v8, s12, 0
	v_lshlrev_b32_e32 v5, 6, v39
	v_lshlrev_b32_e32 v11, 3, v41
	s_movk_i32 s2, 0x1000
	s_cselect_b64 s[0:1], -1, 0
	s_add_i32 s6, s64, s33
	v_mov_b32_e32 v10, v3
	v_mov_b32_e32 v7, 0
	v_or3_b32 v5, v5, v11, s2
	s_add_i32 s8, s6, s33
	v_mad_u64_u32 v[10:11], s[6:7], v8, s13, v[10:11]
	v_mov_b32_e32 v9, v7
	v_mov_b32_e32 v3, v10
	v_lshlrev_b32_e32 v13, 3, v6
	v_cmp_gt_i64_e32 vcc, s[12:13], v[6:7]
	v_cndmask_b32_e64 v7, v6, v8, s[0:1]
	v_cmp_gt_u64_e64 s[2:3], s[12:13], v[8:9]
	v_cndmask_b32_e64 v6, v8, v6, s[0:1]
	v_lshlrev_b64 v[2:3], 3, v[2:3]
	v_mov_b32_e32 v12, s43
	s_and_b64 s[0:1], vcc, s[2:3]
	v_lshlrev_b32_e32 v6, 3, v6
	v_add_co_u32_e32 v2, vcc, s42, v2
	v_lshl_or_b32 v6, v41, 7, v6
	v_addc_co_u32_e32 v3, vcc, v12, v3, vcc
	v_lshl_or_b32 v8, v7, 5, v6
	v_add_co_u32_e32 v6, vcc, v2, v13
	v_addc_co_u32_e32 v7, vcc, 0, v3, vcc
	s_mov_b32 s5, 0
	v_or_b32_e32 v4, -4, v41
	v_add_u32_e32 v8, v40, v8
	s_mov_b64 s[2:3], 0
	s_waitcnt vmcnt(0)
	v_subrev_co_u32_e32 v9, vcc, s38, v0
	v_subbrev_co_u32_e32 v10, vcc, 0, v1, vcc
	s_branch .LBB115_59
.LBB115_58:                             ;   in Loop: Header=BB115_59 Depth=1
	s_or_b64 exec, exec, s[6:7]
	v_add_co_u32_e32 v4, vcc, 4, v4
	s_xor_b64 s[6:7], vcc, -1
	s_and_b64 s[6:7], exec, s[6:7]
	v_add_u32_e32 v8, 0x200, v8
	s_or_b64 s[2:3], s[6:7], s[2:3]
	v_add_u32_e32 v5, 32, v5
	s_andn2_b64 exec, exec, s[2:3]
	s_cbranch_execz .LBB115_62
.LBB115_59:                             ; =>This Inner Loop Header: Depth=1
	ds_read_b64 v[0:1], v5
	s_waitcnt lgkmcnt(0)
	v_cmp_gt_i64_e32 vcc, s[10:11], v[0:1]
	s_and_saveexec_b64 s[6:7], vcc
	s_cbranch_execz .LBB115_58
; %bb.60:                               ;   in Loop: Header=BB115_59 Depth=1
	ds_read_b128 v[12:15], v38
	ds_read_b128 v[16:19], v38 offset:16
	ds_read_b128 v[20:23], v38 offset:32
	;; [unrolled: 1-line block ×3, first 2 shown]
	s_waitcnt lgkmcnt(3)
	v_cmp_gt_i64_e32 vcc, v[0:1], v[12:13]
	v_cndmask_b32_e64 v2, 0, 1, vcc
	v_add_co_u32_e32 v2, vcc, v9, v2
	v_addc_co_u32_e32 v3, vcc, 0, v10, vcc
	v_cmp_gt_i64_e32 vcc, v[0:1], v[14:15]
	v_cndmask_b32_e64 v11, 0, 1, vcc
	v_add_co_u32_e32 v2, vcc, v2, v11
	v_addc_co_u32_e32 v3, vcc, 0, v3, vcc
	s_waitcnt lgkmcnt(2)
	v_cmp_gt_i64_e32 vcc, v[0:1], v[16:17]
	v_cndmask_b32_e64 v11, 0, 1, vcc
	v_add_co_u32_e32 v2, vcc, v2, v11
	v_addc_co_u32_e32 v3, vcc, 0, v3, vcc
	v_cmp_gt_i64_e32 vcc, v[0:1], v[18:19]
	v_cndmask_b32_e64 v11, 0, 1, vcc
	v_add_co_u32_e32 v2, vcc, v2, v11
	v_addc_co_u32_e32 v3, vcc, 0, v3, vcc
	;; [unrolled: 9-line block ×4, first 2 shown]
	v_mov_b32_e32 v11, s5
	v_add_co_u32_e32 v0, vcc, s38, v0
	v_addc_co_u32_e32 v1, vcc, v1, v11, vcc
	v_lshlrev_b64 v[12:13], 3, v[2:3]
	v_mov_b32_e32 v11, s41
	v_add_co_u32_e32 v12, vcc, s40, v12
	v_addc_co_u32_e32 v13, vcc, v11, v13, vcc
	global_store_dwordx2 v[12:13], v[0:1], off
	s_and_b64 exec, exec, s[0:1]
	s_cbranch_execz .LBB115_58
; %bb.61:                               ;   in Loop: Header=BB115_59 Depth=1
	v_mul_lo_u32 v11, s8, v2
	v_mul_lo_u32 v3, s4, v3
	v_mad_u64_u32 v[0:1], s[12:13], s4, v2, 0
	v_add3_u32 v1, v1, v3, v11
	ds_read_b64 v[2:3], v8
	v_lshlrev_b64 v[0:1], 3, v[0:1]
	v_add_co_u32_e32 v0, vcc, v6, v0
	v_addc_co_u32_e32 v1, vcc, v7, v1, vcc
	s_waitcnt lgkmcnt(0)
	global_store_dwordx2 v[0:1], v[2:3], off
	s_branch .LBB115_58
.LBB115_62:
	s_endpgm
	.section	.rodata,"a",@progbits
	.p2align	6, 0x0
	.amdhsa_kernel _ZN9rocsparseL23bsrgemm_fill_wf_per_rowILj256ELj64ELj8ELj137ELj4ElldEEv20rocsparse_direction_T5_S2_S2_PKS2_S4_NS_24const_host_device_scalarIT6_EEPKT4_S4_PKS6_SA_S4_SC_S7_SA_S4_SC_SA_PS2_PS6_21rocsparse_index_base_SF_SF_SF_bbb
		.amdhsa_group_segment_fixed_size 4352
		.amdhsa_private_segment_fixed_size 0
		.amdhsa_kernarg_size 180
		.amdhsa_user_sgpr_count 6
		.amdhsa_user_sgpr_private_segment_buffer 1
		.amdhsa_user_sgpr_dispatch_ptr 0
		.amdhsa_user_sgpr_queue_ptr 0
		.amdhsa_user_sgpr_kernarg_segment_ptr 1
		.amdhsa_user_sgpr_dispatch_id 0
		.amdhsa_user_sgpr_flat_scratch_init 0
		.amdhsa_user_sgpr_kernarg_preload_length 0
		.amdhsa_user_sgpr_kernarg_preload_offset 0
		.amdhsa_user_sgpr_private_segment_size 0
		.amdhsa_uses_dynamic_stack 0
		.amdhsa_system_sgpr_private_segment_wavefront_offset 0
		.amdhsa_system_sgpr_workgroup_id_x 1
		.amdhsa_system_sgpr_workgroup_id_y 0
		.amdhsa_system_sgpr_workgroup_id_z 0
		.amdhsa_system_sgpr_workgroup_info 0
		.amdhsa_system_vgpr_workitem_id 0
		.amdhsa_next_free_vgpr 49
		.amdhsa_next_free_sgpr 69
		.amdhsa_accum_offset 52
		.amdhsa_reserve_vcc 1
		.amdhsa_reserve_flat_scratch 0
		.amdhsa_float_round_mode_32 0
		.amdhsa_float_round_mode_16_64 0
		.amdhsa_float_denorm_mode_32 3
		.amdhsa_float_denorm_mode_16_64 3
		.amdhsa_dx10_clamp 1
		.amdhsa_ieee_mode 1
		.amdhsa_fp16_overflow 0
		.amdhsa_tg_split 0
		.amdhsa_exception_fp_ieee_invalid_op 0
		.amdhsa_exception_fp_denorm_src 0
		.amdhsa_exception_fp_ieee_div_zero 0
		.amdhsa_exception_fp_ieee_overflow 0
		.amdhsa_exception_fp_ieee_underflow 0
		.amdhsa_exception_fp_ieee_inexact 0
		.amdhsa_exception_int_div_zero 0
	.end_amdhsa_kernel
	.section	.text._ZN9rocsparseL23bsrgemm_fill_wf_per_rowILj256ELj64ELj8ELj137ELj4ElldEEv20rocsparse_direction_T5_S2_S2_PKS2_S4_NS_24const_host_device_scalarIT6_EEPKT4_S4_PKS6_SA_S4_SC_S7_SA_S4_SC_SA_PS2_PS6_21rocsparse_index_base_SF_SF_SF_bbb,"axG",@progbits,_ZN9rocsparseL23bsrgemm_fill_wf_per_rowILj256ELj64ELj8ELj137ELj4ElldEEv20rocsparse_direction_T5_S2_S2_PKS2_S4_NS_24const_host_device_scalarIT6_EEPKT4_S4_PKS6_SA_S4_SC_S7_SA_S4_SC_SA_PS2_PS6_21rocsparse_index_base_SF_SF_SF_bbb,comdat
.Lfunc_end115:
	.size	_ZN9rocsparseL23bsrgemm_fill_wf_per_rowILj256ELj64ELj8ELj137ELj4ElldEEv20rocsparse_direction_T5_S2_S2_PKS2_S4_NS_24const_host_device_scalarIT6_EEPKT4_S4_PKS6_SA_S4_SC_S7_SA_S4_SC_SA_PS2_PS6_21rocsparse_index_base_SF_SF_SF_bbb, .Lfunc_end115-_ZN9rocsparseL23bsrgemm_fill_wf_per_rowILj256ELj64ELj8ELj137ELj4ElldEEv20rocsparse_direction_T5_S2_S2_PKS2_S4_NS_24const_host_device_scalarIT6_EEPKT4_S4_PKS6_SA_S4_SC_S7_SA_S4_SC_SA_PS2_PS6_21rocsparse_index_base_SF_SF_SF_bbb
                                        ; -- End function
	.section	.AMDGPU.csdata,"",@progbits
; Kernel info:
; codeLenInByte = 2908
; NumSgprs: 73
; NumVgprs: 49
; NumAgprs: 0
; TotalNumVgprs: 49
; ScratchSize: 0
; MemoryBound: 0
; FloatMode: 240
; IeeeMode: 1
; LDSByteSize: 4352 bytes/workgroup (compile time only)
; SGPRBlocks: 9
; VGPRBlocks: 6
; NumSGPRsForWavesPerEU: 73
; NumVGPRsForWavesPerEU: 49
; AccumOffset: 52
; Occupancy: 8
; WaveLimiterHint : 1
; COMPUTE_PGM_RSRC2:SCRATCH_EN: 0
; COMPUTE_PGM_RSRC2:USER_SGPR: 6
; COMPUTE_PGM_RSRC2:TRAP_HANDLER: 0
; COMPUTE_PGM_RSRC2:TGID_X_EN: 1
; COMPUTE_PGM_RSRC2:TGID_Y_EN: 0
; COMPUTE_PGM_RSRC2:TGID_Z_EN: 0
; COMPUTE_PGM_RSRC2:TIDIG_COMP_CNT: 0
; COMPUTE_PGM_RSRC3_GFX90A:ACCUM_OFFSET: 12
; COMPUTE_PGM_RSRC3_GFX90A:TG_SPLIT: 0
	.section	.text._ZN9rocsparseL23bsrgemm_fill_wf_per_rowILj256ELj64ELj16ELj137ELj4ElldEEv20rocsparse_direction_T5_S2_S2_PKS2_S4_NS_24const_host_device_scalarIT6_EEPKT4_S4_PKS6_SA_S4_SC_S7_SA_S4_SC_SA_PS2_PS6_21rocsparse_index_base_SF_SF_SF_bbb,"axG",@progbits,_ZN9rocsparseL23bsrgemm_fill_wf_per_rowILj256ELj64ELj16ELj137ELj4ElldEEv20rocsparse_direction_T5_S2_S2_PKS2_S4_NS_24const_host_device_scalarIT6_EEPKT4_S4_PKS6_SA_S4_SC_S7_SA_S4_SC_SA_PS2_PS6_21rocsparse_index_base_SF_SF_SF_bbb,comdat
	.globl	_ZN9rocsparseL23bsrgemm_fill_wf_per_rowILj256ELj64ELj16ELj137ELj4ElldEEv20rocsparse_direction_T5_S2_S2_PKS2_S4_NS_24const_host_device_scalarIT6_EEPKT4_S4_PKS6_SA_S4_SC_S7_SA_S4_SC_SA_PS2_PS6_21rocsparse_index_base_SF_SF_SF_bbb ; -- Begin function _ZN9rocsparseL23bsrgemm_fill_wf_per_rowILj256ELj64ELj16ELj137ELj4ElldEEv20rocsparse_direction_T5_S2_S2_PKS2_S4_NS_24const_host_device_scalarIT6_EEPKT4_S4_PKS6_SA_S4_SC_S7_SA_S4_SC_SA_PS2_PS6_21rocsparse_index_base_SF_SF_SF_bbb
	.p2align	8
	.type	_ZN9rocsparseL23bsrgemm_fill_wf_per_rowILj256ELj64ELj16ELj137ELj4ElldEEv20rocsparse_direction_T5_S2_S2_PKS2_S4_NS_24const_host_device_scalarIT6_EEPKT4_S4_PKS6_SA_S4_SC_S7_SA_S4_SC_SA_PS2_PS6_21rocsparse_index_base_SF_SF_SF_bbb,@function
_ZN9rocsparseL23bsrgemm_fill_wf_per_rowILj256ELj64ELj16ELj137ELj4ElldEEv20rocsparse_direction_T5_S2_S2_PKS2_S4_NS_24const_host_device_scalarIT6_EEPKT4_S4_PKS6_SA_S4_SC_S7_SA_S4_SC_SA_PS2_PS6_21rocsparse_index_base_SF_SF_SF_bbb: ; @_ZN9rocsparseL23bsrgemm_fill_wf_per_rowILj256ELj64ELj16ELj137ELj4ElldEEv20rocsparse_direction_T5_S2_S2_PKS2_S4_NS_24const_host_device_scalarIT6_EEPKT4_S4_PKS6_SA_S4_SC_S7_SA_S4_SC_SA_PS2_PS6_21rocsparse_index_base_SF_SF_SF_bbb
; %bb.0:
	s_load_dword s7, s[4:5], 0xb0
	s_load_dwordx2 s[2:3], s[4:5], 0x30
	s_load_dwordx2 s[8:9], s[4:5], 0x68
	s_waitcnt lgkmcnt(0)
	s_and_b32 s0, 1, s7
	s_bitcmp1_b32 s7, 16
	s_cselect_b64 s[10:11], -1, 0
	s_cmp_eq_u32 s0, 1
	s_cselect_b64 s[0:1], -1, 0
	s_and_b64 s[12:13], s[0:1], exec
	s_cselect_b32 s13, s3, 0
	s_cselect_b32 s12, s2, 0
	s_xor_b64 s[14:15], s[0:1], -1
	s_or_b64 s[14:15], s[14:15], s[10:11]
	s_and_b64 vcc, exec, s[14:15]
	v_pk_mov_b32 v[12:13], s[12:13], s[12:13] op_sel:[0,1]
	s_cbranch_vccnz .LBB116_2
; %bb.1:
	v_pk_mov_b32 v[2:3], s[2:3], s[2:3] op_sel:[0,1]
	flat_load_dwordx2 v[12:13], v[2:3]
.LBB116_2:
	s_bitcmp1_b32 s7, 8
	s_load_dwordx4 s[36:39], s[4:5], 0xa0
	s_cselect_b64 s[2:3], -1, 0
	s_and_b64 s[12:13], s[2:3], exec
	s_cselect_b32 s13, s9, 0
	s_cselect_b32 s12, s8, 0
	s_xor_b64 s[14:15], s[2:3], -1
	s_or_b64 s[10:11], s[14:15], s[10:11]
	s_and_b64 vcc, exec, s[10:11]
	v_pk_mov_b32 v[4:5], s[12:13], s[12:13] op_sel:[0,1]
	s_cbranch_vccnz .LBB116_4
; %bb.3:
	v_pk_mov_b32 v[2:3], s[8:9], s[8:9] op_sel:[0,1]
	flat_load_dwordx2 v[4:5], v[2:3]
.LBB116_4:
	s_load_dwordx4 s[40:43], s[4:5], 0x90
	s_load_dwordx8 s[16:23], s[4:5], 0x70
	s_load_dwordx4 s[44:47], s[4:5], 0x58
	s_load_dwordx8 s[8:15], s[4:5], 0x8
	s_load_dwordx2 s[34:35], s[4:5], 0x28
	s_load_dwordx8 s[24:31], s[4:5], 0x38
	v_and_b32_e32 v1, 63, v0
	v_lshrrev_b32_e32 v39, 6, v0
	v_mov_b32_e32 v2, 0x2000
	v_lshl_or_b32 v38, v39, 7, v2
	v_cmp_gt_u32_e32 vcc, 16, v1
	s_and_saveexec_b64 s[48:49], vcc
	s_cbranch_execz .LBB116_6
; %bb.5:
	v_lshl_add_u32 v6, v1, 3, v38
	s_waitcnt lgkmcnt(0)
	v_pk_mov_b32 v[2:3], s[10:11], s[10:11] op_sel:[0,1]
	ds_write_b64 v6, v[2:3]
.LBB116_6:
	s_or_b64 exec, exec, s[48:49]
	v_lshlrev_b32_e32 v40, 11, v39
	v_mov_b32_e32 v2, 0
	v_or_b32_e32 v6, 0xffffffc0, v1
	v_lshl_or_b32 v7, v1, 3, v40
	s_mov_b64 s[48:49], 0
	v_mov_b32_e32 v3, v2
	s_movk_i32 s7, 0xbf
.LBB116_7:                              ; =>This Inner Loop Header: Depth=1
	v_add_u32_e32 v6, 64, v6
	v_cmp_lt_u32_e32 vcc, s7, v6
	ds_write_b64 v7, v[2:3]
	s_or_b64 s[48:49], vcc, s[48:49]
	v_add_u32_e32 v7, 0x200, v7
	s_andn2_b64 exec, exec, s[48:49]
	s_cbranch_execnz .LBB116_7
; %bb.8:
	s_or_b64 exec, exec, s[48:49]
	v_lshl_or_b32 v2, s6, 2, v39
	v_mov_b32_e32 v3, 0
	s_waitcnt lgkmcnt(0)
	v_cmp_gt_i64_e32 vcc, s[8:9], v[2:3]
	s_barrier
	s_and_saveexec_b64 s[6:7], vcc
	s_cbranch_execz .LBB116_62
; %bb.9:
	s_cmp_eq_u64 s[34:35], 0
	s_cbranch_scc1 .LBB116_11
; %bb.10:
	s_load_dwordx2 s[6:7], s[14:15], 0x0
	v_lshlrev_b64 v[2:3], 3, v[2:3]
	s_waitcnt lgkmcnt(0)
	s_lshl_b64 s[6:7], s[6:7], 3
	s_add_u32 s6, s34, s6
	s_addc_u32 s7, s35, s7
	v_mov_b32_e32 v6, s7
	v_add_co_u32_e32 v2, vcc, s6, v2
	v_addc_co_u32_e32 v3, vcc, v6, v3, vcc
	global_load_dwordx2 v[2:3], v[2:3], off
.LBB116_11:
	s_load_dword s65, s[4:5], 0x0
	v_lshrrev_b32_e32 v41, 4, v1
	v_and_b32_e32 v6, 3, v0
	v_bfe_u32 v8, v0, 2, 2
	s_andn2_b64 vcc, exec, s[0:1]
	s_waitcnt vmcnt(0)
	v_lshlrev_b64 v[10:11], 3, v[2:3]
	s_mul_i32 s33, s12, s13
	s_mul_hi_u32 s64, s12, s12
	s_mul_i32 s4, s12, s12
	s_cbranch_vccnz .LBB116_39
; %bb.12:
	v_mov_b32_e32 v1, s25
	v_add_co_u32_e32 v0, vcc, s24, v10
	v_addc_co_u32_e32 v1, vcc, v1, v11, vcc
	global_load_dwordx4 v[0:3], v[0:1], off
	v_subrev_co_u32_e32 v7, vcc, s36, v41
	v_subb_co_u32_e64 v9, s[0:1], 0, 0, vcc
	s_mov_b32 s48, 0
	s_waitcnt vmcnt(0)
	v_subrev_co_u32_e32 v14, vcc, s36, v2
	v_subbrev_co_u32_e32 v15, vcc, 0, v3, vcc
	v_add_co_u32_e32 v16, vcc, v0, v7
	v_addc_co_u32_e32 v17, vcc, v1, v9, vcc
	v_cmp_lt_i64_e32 vcc, v[16:17], v[14:15]
	s_and_saveexec_b64 s[6:7], vcc
	s_cbranch_execz .LBB116_38
; %bb.13:
	s_waitcnt lgkmcnt(0)
	s_cmp_lg_u32 s65, 0
	v_mov_b32_e32 v7, 0
	s_cselect_b64 s[8:9], -1, 0
	s_add_i32 s5, s64, s33
	v_lshlrev_b32_e32 v18, 3, v6
	v_mov_b32_e32 v9, v7
	v_lshlrev_b32_e32 v0, 5, v8
	s_add_i32 s5, s5, s33
	v_cmp_gt_u64_e64 s[0:1], s[12:13], v[8:9]
	v_add3_u32 v9, v40, v18, v0
	v_mul_lo_u32 v2, s5, v16
	v_mul_lo_u32 v3, s4, v17
	v_mad_u64_u32 v[0:1], s[34:35], s4, v16, 0
	v_add3_u32 v1, v1, v3, v2
	v_cmp_gt_i64_e32 vcc, s[12:13], v[6:7]
	v_lshlrev_b64 v[0:1], 3, v[0:1]
	v_lshlrev_b32_e32 v2, 3, v8
	s_and_b64 s[0:1], vcc, s[0:1]
	v_add_co_u32_e32 v0, vcc, v0, v2
	v_addc_co_u32_e32 v1, vcc, 0, v1, vcc
	v_mov_b32_e32 v3, s29
	v_add_co_u32_e32 v20, vcc, s28, v0
	s_mov_b32 s66, s36
	s_mov_b32 s67, s37
	v_mov_b32_e32 v19, v7
	v_addc_co_u32_e32 v21, vcc, v3, v1, vcc
	v_mul_lo_u32 v3, s13, v16
	v_mul_lo_u32 v7, s12, v17
	v_mad_u64_u32 v[0:1], s[36:37], s12, v16, 0
	v_add3_u32 v1, v1, v7, v3
	v_lshlrev_b64 v[0:1], 3, v[0:1]
	v_add_co_u32_e32 v2, vcc, v0, v2
	v_addc_co_u32_e32 v0, vcc, 0, v1, vcc
	v_mul_lo_u32 v3, s12, v0
	v_pk_mov_b32 v[0:1], s[28:29], s[28:29] op_sel:[0,1]
	v_mul_lo_u32 v7, s13, v2
	v_mad_u64_u32 v[22:23], s[28:29], s12, v2, v[0:1]
	v_mov_b32_e32 v0, s47
	v_add_co_u32_e32 v24, vcc, s46, v18
	s_mov_b32 s68, s48
	s_lshl_b64 s[14:15], s[12:13], 3
	s_lshl_b64 s[24:25], s[4:5], 3
	;; [unrolled: 1-line block ×3, first 2 shown]
	v_add3_u32 v23, v7, v23, v3
	v_addc_co_u32_e32 v25, vcc, 0, v0, vcc
	s_mov_b64 s[28:29], 0
	v_mov_b32_e32 v7, s27
	v_mov_b32_e32 v42, s48
	v_mov_b32_e32 v43, s31
	s_branch .LBB116_15
.LBB116_14:                             ;   in Loop: Header=BB116_15 Depth=1
	s_or_b64 exec, exec, s[36:37]
	v_add_co_u32_e32 v16, vcc, 4, v16
	v_addc_co_u32_e32 v17, vcc, 0, v17, vcc
	v_mov_b32_e32 v0, s35
	v_add_co_u32_e32 v20, vcc, s34, v20
	v_addc_co_u32_e32 v21, vcc, v21, v0, vcc
	v_cmp_ge_i64_e32 vcc, v[16:17], v[14:15]
	s_or_b64 s[28:29], vcc, s[28:29]
	v_add_co_u32_e32 v22, vcc, s34, v22
	v_addc_co_u32_e32 v23, vcc, v23, v0, vcc
	s_andn2_b64 exec, exec, s[28:29]
	s_cbranch_execz .LBB116_38
.LBB116_15:                             ; =>This Loop Header: Depth=1
                                        ;     Child Loop BB116_18 Depth 2
                                        ;       Child Loop BB116_25 Depth 3
                                        ;       Child Loop BB116_21 Depth 3
	;; [unrolled: 1-line block ×3, first 2 shown]
	v_lshlrev_b64 v[0:1], 3, v[16:17]
	v_add_co_u32_e32 v0, vcc, s26, v0
	v_addc_co_u32_e32 v1, vcc, v7, v1, vcc
	global_load_dwordx2 v[0:1], v[0:1], off
	s_waitcnt vmcnt(0)
	v_subrev_co_u32_e32 v0, vcc, s66, v0
	v_subb_co_u32_e32 v1, vcc, v1, v42, vcc
	v_lshlrev_b64 v[0:1], 3, v[0:1]
	v_add_co_u32_e32 v0, vcc, s30, v0
	v_addc_co_u32_e32 v1, vcc, v43, v1, vcc
	global_load_dwordx4 v[0:3], v[0:1], off
	s_waitcnt vmcnt(0)
	v_cmp_lt_i64_e32 vcc, v[0:1], v[2:3]
	s_and_saveexec_b64 s[36:37], vcc
	s_cbranch_execz .LBB116_14
; %bb.16:                               ;   in Loop: Header=BB116_15 Depth=1
	v_mov_b32_e32 v26, s68
	v_subrev_co_u32_e32 v2, vcc, s67, v2
	v_subb_co_u32_e32 v3, vcc, v3, v26, vcc
	v_subrev_co_u32_e32 v0, vcc, s67, v0
	v_subb_co_u32_e32 v1, vcc, v1, v26, vcc
	v_mul_lo_u32 v28, s14, v1
	v_mul_lo_u32 v29, s15, v0
	v_mad_u64_u32 v[26:27], s[48:49], s14, v0, v[18:19]
	v_add3_u32 v27, v29, v27, v28
	v_pk_mov_b32 v[28:29], s[46:47], s[46:47] op_sel:[0,1]
	v_mul_lo_u32 v30, s12, v27
	v_mul_lo_u32 v31, s13, v26
	v_mad_u64_u32 v[26:27], s[48:49], s12, v26, v[28:29]
	v_add3_u32 v27, v31, v27, v30
	v_mul_lo_u32 v30, s24, v1
	v_mul_lo_u32 v31, s25, v0
	v_mad_u64_u32 v[28:29], s[48:49], s24, v0, v[24:25]
	v_add3_u32 v29, v31, v29, v30
	s_mov_b64 s[48:49], 0
	s_branch .LBB116_18
.LBB116_17:                             ;   in Loop: Header=BB116_18 Depth=2
	s_or_b64 exec, exec, s[50:51]
	v_add_co_u32_e32 v0, vcc, 1, v0
	v_addc_co_u32_e32 v1, vcc, 0, v1, vcc
	v_mov_b32_e32 v30, s25
	v_add_co_u32_e32 v26, vcc, s24, v26
	v_addc_co_u32_e32 v27, vcc, v27, v30, vcc
	v_cmp_ge_i64_e32 vcc, v[0:1], v[2:3]
	s_or_b64 s[48:49], vcc, s[48:49]
	v_add_co_u32_e32 v28, vcc, s24, v28
	v_addc_co_u32_e32 v29, vcc, v29, v30, vcc
	s_andn2_b64 exec, exec, s[48:49]
	s_cbranch_execz .LBB116_14
.LBB116_18:                             ;   Parent Loop BB116_15 Depth=1
                                        ; =>  This Loop Header: Depth=2
                                        ;       Child Loop BB116_25 Depth 3
                                        ;       Child Loop BB116_21 Depth 3
	;; [unrolled: 1-line block ×3, first 2 shown]
	s_and_saveexec_b64 s[50:51], s[0:1]
	s_cbranch_execz .LBB116_17
; %bb.19:                               ;   in Loop: Header=BB116_18 Depth=2
	v_lshlrev_b64 v[30:31], 3, v[0:1]
	v_mov_b32_e32 v32, s45
	v_add_co_u32_e32 v30, vcc, s44, v30
	v_addc_co_u32_e32 v31, vcc, v32, v31, vcc
	global_load_dwordx2 v[30:31], v[30:31], off
	s_andn2_b64 vcc, exec, s[8:9]
	s_cbranch_vccnz .LBB116_23
; %bb.20:                               ;   in Loop: Header=BB116_18 Depth=2
	v_pk_mov_b32 v[32:33], 0, 0
	v_pk_mov_b32 v[34:35], v[20:21], v[20:21] op_sel:[0,1]
	s_mov_b64 s[52:53], s[12:13]
	v_pk_mov_b32 v[36:37], v[26:27], v[26:27] op_sel:[0,1]
.LBB116_21:                             ;   Parent Loop BB116_15 Depth=1
                                        ;     Parent Loop BB116_18 Depth=2
                                        ; =>    This Inner Loop Header: Depth=3
	global_load_dwordx2 v[44:45], v[34:35], off
	global_load_dwordx2 v[46:47], v[36:37], off
	v_add_co_u32_e32 v36, vcc, 8, v36
	v_addc_co_u32_e32 v37, vcc, 0, v37, vcc
	s_add_u32 s52, s52, -1
	v_mov_b32_e32 v48, s15
	v_add_co_u32_e32 v34, vcc, s14, v34
	s_addc_u32 s53, s53, -1
	v_addc_co_u32_e32 v35, vcc, v35, v48, vcc
	s_cmp_lg_u64 s[52:53], 0
	s_waitcnt vmcnt(0)
	v_fmac_f64_e32 v[32:33], v[44:45], v[46:47]
	s_cbranch_scc1 .LBB116_21
; %bb.22:                               ;   in Loop: Header=BB116_18 Depth=2
	s_branch .LBB116_26
.LBB116_23:                             ;   in Loop: Header=BB116_18 Depth=2
                                        ; implicit-def: $vgpr32_vgpr33
	s_cbranch_execz .LBB116_26
; %bb.24:                               ;   in Loop: Header=BB116_18 Depth=2
	v_pk_mov_b32 v[32:33], 0, 0
	v_pk_mov_b32 v[34:35], v[28:29], v[28:29] op_sel:[0,1]
	s_mov_b64 s[52:53], s[12:13]
	v_pk_mov_b32 v[36:37], v[22:23], v[22:23] op_sel:[0,1]
.LBB116_25:                             ;   Parent Loop BB116_15 Depth=1
                                        ;     Parent Loop BB116_18 Depth=2
                                        ; =>    This Inner Loop Header: Depth=3
	global_load_dwordx2 v[44:45], v[36:37], off
	global_load_dwordx2 v[46:47], v[34:35], off
	v_add_co_u32_e32 v36, vcc, 8, v36
	v_addc_co_u32_e32 v37, vcc, 0, v37, vcc
	s_add_u32 s52, s52, -1
	v_mov_b32_e32 v48, s15
	v_add_co_u32_e32 v34, vcc, s14, v34
	s_addc_u32 s53, s53, -1
	v_addc_co_u32_e32 v35, vcc, v35, v48, vcc
	s_cmp_eq_u64 s[52:53], 0
	s_waitcnt vmcnt(0)
	v_fmac_f64_e32 v[32:33], v[44:45], v[46:47]
	s_cbranch_scc0 .LBB116_25
.LBB116_26:                             ;   in Loop: Header=BB116_18 Depth=2
	v_mov_b32_e32 v34, s68
	s_waitcnt vmcnt(0)
	v_subrev_co_u32_e32 v30, vcc, s67, v30
	v_subb_co_u32_e32 v31, vcc, v31, v34, vcc
	v_lshl_add_u32 v34, v30, 3, v30
	v_mul_f64 v[32:33], v[12:13], v[32:33]
	v_and_b32_e32 v34, 15, v34
	s_mov_b64 s[52:53], 0
	s_branch .LBB116_28
.LBB116_27:                             ;   in Loop: Header=BB116_28 Depth=3
	s_or_b64 exec, exec, s[54:55]
	s_xor_b64 s[54:55], s[56:57], -1
	s_and_b64 s[54:55], exec, s[54:55]
	s_or_b64 s[52:53], s[54:55], s[52:53]
	s_andn2_b64 exec, exec, s[52:53]
	s_cbranch_execz .LBB116_17
.LBB116_28:                             ;   Parent Loop BB116_15 Depth=1
                                        ;     Parent Loop BB116_18 Depth=2
                                        ; =>    This Inner Loop Header: Depth=3
	v_lshl_add_u32 v35, v34, 3, v38
	ds_read_b64 v[36:37], v35
                                        ; implicit-def: $sgpr56_sgpr57
	s_waitcnt lgkmcnt(0)
	v_cmp_ne_u64_e32 vcc, v[36:37], v[30:31]
	s_and_saveexec_b64 s[54:55], vcc
	s_xor_b64 s[54:55], exec, s[54:55]
	s_cbranch_execz .LBB116_36
; %bb.29:                               ;   in Loop: Header=BB116_28 Depth=3
	v_cmp_ne_u64_e32 vcc, s[10:11], v[36:37]
                                        ; implicit-def: $sgpr56_sgpr57
	s_and_saveexec_b64 s[58:59], vcc
	s_xor_b64 s[58:59], exec, s[58:59]
; %bb.30:                               ;   in Loop: Header=BB116_28 Depth=3
	v_add_u32_e32 v34, 1, v34
	v_and_b32_e32 v34, 15, v34
	s_mov_b64 s[56:57], -1
                                        ; implicit-def: $vgpr35
; %bb.31:                               ;   in Loop: Header=BB116_28 Depth=3
	s_andn2_saveexec_b64 s[58:59], s[58:59]
	s_cbranch_execz .LBB116_35
; %bb.32:                               ;   in Loop: Header=BB116_28 Depth=3
	v_pk_mov_b32 v[36:37], s[10:11], s[10:11] op_sel:[0,1]
	ds_cmpst_rtn_b64 v[36:37], v35, v[36:37], v[30:31]
	s_mov_b64 s[60:61], -1
	s_waitcnt lgkmcnt(0)
	v_cmp_eq_u64_e32 vcc, s[10:11], v[36:37]
	s_and_saveexec_b64 s[62:63], vcc
	s_cbranch_execz .LBB116_34
; %bb.33:                               ;   in Loop: Header=BB116_28 Depth=3
	v_lshl_add_u32 v35, v34, 7, v9
	ds_add_f64 v35, v[32:33]
	s_xor_b64 s[60:61], exec, -1
.LBB116_34:                             ;   in Loop: Header=BB116_28 Depth=3
	s_or_b64 exec, exec, s[62:63]
	s_andn2_b64 s[56:57], s[56:57], exec
	s_and_b64 s[60:61], s[60:61], exec
	s_or_b64 s[56:57], s[56:57], s[60:61]
.LBB116_35:                             ;   in Loop: Header=BB116_28 Depth=3
	s_or_b64 exec, exec, s[58:59]
	s_and_b64 s[56:57], s[56:57], exec
.LBB116_36:                             ;   in Loop: Header=BB116_28 Depth=3
	s_andn2_saveexec_b64 s[54:55], s[54:55]
	s_cbranch_execz .LBB116_27
; %bb.37:                               ;   in Loop: Header=BB116_28 Depth=3
	v_lshl_add_u32 v35, v34, 7, v9
	ds_add_f64 v35, v[32:33]
	s_andn2_b64 s[56:57], s[56:57], exec
	s_branch .LBB116_27
.LBB116_38:
	s_or_b64 exec, exec, s[6:7]
.LBB116_39:
	s_andn2_b64 vcc, exec, s[2:3]
	s_waitcnt lgkmcnt(0)
	s_barrier
	s_cbranch_vccnz .LBB116_57
; %bb.40:
	v_mov_b32_e32 v1, s17
	v_add_co_u32_e32 v0, vcc, s16, v10
	v_addc_co_u32_e32 v1, vcc, v1, v11, vcc
	global_load_dwordx4 v[12:15], v[0:1], off
	v_subrev_co_u32_e32 v2, vcc, s39, v41
	v_subb_co_u32_e64 v3, s[0:1], 0, 0, vcc
	s_mov_b32 s5, 0
	s_waitcnt vmcnt(0)
	v_subrev_co_u32_e32 v0, vcc, s39, v14
	v_subbrev_co_u32_e32 v1, vcc, 0, v15, vcc
	v_add_co_u32_e32 v2, vcc, v12, v2
	v_addc_co_u32_e32 v3, vcc, v13, v3, vcc
	v_cmp_lt_i64_e32 vcc, v[2:3], v[0:1]
	s_and_saveexec_b64 s[6:7], vcc
	s_cbranch_execz .LBB116_56
; %bb.41:
	v_mad_u64_u32 v[12:13], s[2:3], v6, s12, 0
	v_mov_b32_e32 v14, v13
	v_mad_u64_u32 v[14:15], s[2:3], v6, s13, v[14:15]
	v_mov_b32_e32 v13, v14
	v_mov_b32_e32 v7, 0
	v_lshlrev_b64 v[12:13], 3, v[12:13]
	v_cmp_gt_i64_e32 vcc, s[12:13], v[6:7]
	v_mov_b32_e32 v9, v7
	v_mov_b32_e32 v7, s21
	v_add_co_u32_e64 v14, s[2:3], s20, v12
	v_addc_co_u32_e64 v15, s[2:3], v7, v13, s[2:3]
	v_lshlrev_b64 v[12:13], 3, v[8:9]
	v_add_co_u32_e64 v17, s[2:3], v14, v12
	v_addc_co_u32_e64 v18, s[2:3], v15, v13, s[2:3]
	v_mad_u64_u32 v[12:13], s[2:3], v8, s12, 0
	v_mov_b32_e32 v14, v13
	v_mad_u64_u32 v[14:15], s[2:3], v8, s13, v[14:15]
	v_mov_b32_e32 v13, v14
	v_lshlrev_b64 v[12:13], 3, v[12:13]
	v_cmp_gt_u64_e64 s[0:1], s[12:13], v[8:9]
	v_add_co_u32_e64 v9, s[2:3], s20, v12
	v_lshlrev_b32_e32 v16, 3, v6
	v_addc_co_u32_e64 v7, s[2:3], v7, v13, s[2:3]
	v_add_co_u32_e64 v12, s[2:3], v9, v16
	s_cmp_eq_u32 s65, 0
	v_addc_co_u32_e64 v7, s[2:3], 0, v7, s[2:3]
	s_cselect_b64 s[2:3], -1, 0
	s_add_i32 s8, s64, s33
	v_lshlrev_b32_e32 v9, 5, v8
	s_mov_b32 s30, s39
	s_add_i32 s31, s8, s33
	v_add3_u32 v9, v40, v16, v9
	s_and_b64 s[0:1], vcc, s[0:1]
	v_cndmask_b32_e64 v7, v18, v7, s[2:3]
	v_cndmask_b32_e64 v12, v17, v12, s[2:3]
	s_mov_b64 s[2:3], 0
	s_branch .LBB116_43
.LBB116_42:                             ;   in Loop: Header=BB116_43 Depth=1
	s_or_b64 exec, exec, s[8:9]
	v_add_co_u32_e32 v2, vcc, 4, v2
	v_addc_co_u32_e32 v3, vcc, 0, v3, vcc
	v_cmp_ge_i64_e32 vcc, v[2:3], v[0:1]
	s_or_b64 s[2:3], vcc, s[2:3]
	s_andn2_b64 exec, exec, s[2:3]
	s_cbranch_execz .LBB116_56
.LBB116_43:                             ; =>This Loop Header: Depth=1
                                        ;     Child Loop BB116_46 Depth 2
	s_and_saveexec_b64 s[8:9], s[0:1]
	s_cbranch_execz .LBB116_42
; %bb.44:                               ;   in Loop: Header=BB116_43 Depth=1
	v_lshlrev_b64 v[14:15], 3, v[2:3]
	v_mov_b32_e32 v13, s19
	v_add_co_u32_e32 v14, vcc, s18, v14
	v_addc_co_u32_e32 v15, vcc, v13, v15, vcc
	v_mul_lo_u32 v13, s31, v2
	v_mul_lo_u32 v18, s4, v3
	v_mad_u64_u32 v[16:17], s[14:15], s4, v2, 0
	v_add3_u32 v17, v17, v18, v13
	v_lshlrev_b64 v[16:17], 3, v[16:17]
	global_load_dwordx2 v[14:15], v[14:15], off
	v_add_co_u32_e32 v16, vcc, v12, v16
	v_addc_co_u32_e32 v17, vcc, v7, v17, vcc
	global_load_dwordx2 v[16:17], v[16:17], off
	v_mov_b32_e32 v13, s5
	s_mov_b64 s[14:15], 0
	s_waitcnt vmcnt(1)
	v_subrev_co_u32_e32 v14, vcc, s30, v14
	v_subb_co_u32_e32 v15, vcc, v15, v13, vcc
	v_lshl_add_u32 v13, v14, 3, v14
	s_waitcnt vmcnt(0)
	v_mul_f64 v[16:17], v[4:5], v[16:17]
	v_and_b32_e32 v18, 15, v13
	s_branch .LBB116_46
.LBB116_45:                             ;   in Loop: Header=BB116_46 Depth=2
	s_or_b64 exec, exec, s[16:17]
	s_xor_b64 s[16:17], s[20:21], -1
	s_and_b64 s[16:17], exec, s[16:17]
	s_or_b64 s[14:15], s[16:17], s[14:15]
	s_andn2_b64 exec, exec, s[14:15]
	s_cbranch_execz .LBB116_42
.LBB116_46:                             ;   Parent Loop BB116_43 Depth=1
                                        ; =>  This Inner Loop Header: Depth=2
	v_lshl_add_u32 v13, v18, 3, v38
	ds_read_b64 v[20:21], v13
                                        ; implicit-def: $sgpr20_sgpr21
	s_waitcnt lgkmcnt(0)
	v_cmp_ne_u64_e32 vcc, v[20:21], v[14:15]
	s_and_saveexec_b64 s[16:17], vcc
	s_xor_b64 s[16:17], exec, s[16:17]
	s_cbranch_execz .LBB116_54
; %bb.47:                               ;   in Loop: Header=BB116_46 Depth=2
	v_cmp_ne_u64_e32 vcc, s[10:11], v[20:21]
                                        ; implicit-def: $sgpr20_sgpr21
	s_and_saveexec_b64 s[24:25], vcc
	s_xor_b64 s[24:25], exec, s[24:25]
; %bb.48:                               ;   in Loop: Header=BB116_46 Depth=2
	v_add_u32_e32 v13, 1, v18
	v_and_b32_e32 v18, 15, v13
	s_mov_b64 s[20:21], -1
                                        ; implicit-def: $vgpr13
; %bb.49:                               ;   in Loop: Header=BB116_46 Depth=2
	s_andn2_saveexec_b64 s[24:25], s[24:25]
	s_cbranch_execz .LBB116_53
; %bb.50:                               ;   in Loop: Header=BB116_46 Depth=2
	v_pk_mov_b32 v[20:21], s[10:11], s[10:11] op_sel:[0,1]
	ds_cmpst_rtn_b64 v[20:21], v13, v[20:21], v[14:15]
	s_mov_b64 s[26:27], -1
	s_waitcnt lgkmcnt(0)
	v_cmp_eq_u64_e32 vcc, s[10:11], v[20:21]
	s_and_saveexec_b64 s[28:29], vcc
	s_cbranch_execz .LBB116_52
; %bb.51:                               ;   in Loop: Header=BB116_46 Depth=2
	v_lshl_add_u32 v13, v18, 7, v9
	ds_add_f64 v13, v[16:17]
	s_xor_b64 s[26:27], exec, -1
.LBB116_52:                             ;   in Loop: Header=BB116_46 Depth=2
	s_or_b64 exec, exec, s[28:29]
	s_andn2_b64 s[20:21], s[20:21], exec
	s_and_b64 s[26:27], s[26:27], exec
	s_or_b64 s[20:21], s[20:21], s[26:27]
.LBB116_53:                             ;   in Loop: Header=BB116_46 Depth=2
	s_or_b64 exec, exec, s[24:25]
	s_and_b64 s[20:21], s[20:21], exec
.LBB116_54:                             ;   in Loop: Header=BB116_46 Depth=2
	s_andn2_saveexec_b64 s[16:17], s[16:17]
	s_cbranch_execz .LBB116_45
; %bb.55:                               ;   in Loop: Header=BB116_46 Depth=2
	v_lshl_add_u32 v13, v18, 7, v9
	ds_add_f64 v13, v[16:17]
	s_andn2_b64 s[20:21], s[20:21], exec
	s_branch .LBB116_45
.LBB116_56:
	s_or_b64 exec, exec, s[6:7]
.LBB116_57:
	v_mov_b32_e32 v1, s23
	v_add_co_u32_e32 v0, vcc, s22, v10
	v_addc_co_u32_e32 v1, vcc, v1, v11, vcc
	s_waitcnt lgkmcnt(0)
	s_barrier
	global_load_dwordx2 v[0:1], v[0:1], off
	s_cmp_eq_u32 s65, 0
	v_mad_u64_u32 v[2:3], s[0:1], v8, s12, 0
	v_lshlrev_b32_e32 v5, 7, v39
	v_lshlrev_b32_e32 v11, 3, v41
	s_movk_i32 s2, 0x2000
	s_cselect_b64 s[0:1], -1, 0
	s_add_i32 s6, s64, s33
	v_mov_b32_e32 v10, v3
	v_mov_b32_e32 v7, 0
	v_or3_b32 v5, v5, v11, s2
	s_add_i32 s8, s6, s33
	v_mad_u64_u32 v[10:11], s[6:7], v8, s13, v[10:11]
	v_mov_b32_e32 v9, v7
	v_mov_b32_e32 v3, v10
	v_lshlrev_b32_e32 v13, 3, v6
	v_cmp_gt_i64_e32 vcc, s[12:13], v[6:7]
	v_cndmask_b32_e64 v7, v6, v8, s[0:1]
	v_cmp_gt_u64_e64 s[2:3], s[12:13], v[8:9]
	v_cndmask_b32_e64 v6, v8, v6, s[0:1]
	v_lshlrev_b64 v[2:3], 3, v[2:3]
	v_mov_b32_e32 v12, s43
	s_and_b64 s[0:1], vcc, s[2:3]
	v_lshlrev_b32_e32 v6, 3, v6
	v_add_co_u32_e32 v2, vcc, s42, v2
	v_lshl_or_b32 v6, v41, 7, v6
	v_addc_co_u32_e32 v3, vcc, v12, v3, vcc
	v_lshl_or_b32 v8, v7, 5, v6
	v_add_co_u32_e32 v6, vcc, v2, v13
	v_addc_co_u32_e32 v7, vcc, 0, v3, vcc
	s_mov_b32 s5, 0
	v_or_b32_e32 v4, -4, v41
	v_add_u32_e32 v8, v40, v8
	s_mov_b64 s[2:3], 0
	s_waitcnt vmcnt(0)
	v_subrev_co_u32_e32 v9, vcc, s38, v0
	v_subbrev_co_u32_e32 v10, vcc, 0, v1, vcc
	s_branch .LBB116_59
.LBB116_58:                             ;   in Loop: Header=BB116_59 Depth=1
	s_or_b64 exec, exec, s[6:7]
	v_add_u32_e32 v4, 4, v4
	v_cmp_lt_u32_e32 vcc, 11, v4
	v_add_u32_e32 v8, 0x200, v8
	s_or_b64 s[2:3], vcc, s[2:3]
	v_add_u32_e32 v5, 32, v5
	s_andn2_b64 exec, exec, s[2:3]
	s_cbranch_execz .LBB116_62
.LBB116_59:                             ; =>This Inner Loop Header: Depth=1
	ds_read_b64 v[0:1], v5
	s_waitcnt lgkmcnt(0)
	v_cmp_gt_i64_e32 vcc, s[10:11], v[0:1]
	s_and_saveexec_b64 s[6:7], vcc
	s_cbranch_execz .LBB116_58
; %bb.60:                               ;   in Loop: Header=BB116_59 Depth=1
	ds_read_b128 v[12:15], v38
	ds_read_b128 v[16:19], v38 offset:16
	ds_read_b128 v[20:23], v38 offset:32
	;; [unrolled: 1-line block ×3, first 2 shown]
	s_waitcnt lgkmcnt(3)
	v_cmp_gt_i64_e32 vcc, v[0:1], v[12:13]
	v_cndmask_b32_e64 v2, 0, 1, vcc
	v_add_co_u32_e32 v2, vcc, v9, v2
	v_addc_co_u32_e32 v3, vcc, 0, v10, vcc
	v_cmp_gt_i64_e32 vcc, v[0:1], v[14:15]
	v_cndmask_b32_e64 v11, 0, 1, vcc
	v_add_co_u32_e32 v2, vcc, v2, v11
	v_addc_co_u32_e32 v3, vcc, 0, v3, vcc
	s_waitcnt lgkmcnt(2)
	v_cmp_gt_i64_e32 vcc, v[0:1], v[16:17]
	v_cndmask_b32_e64 v11, 0, 1, vcc
	v_add_co_u32_e32 v2, vcc, v2, v11
	v_addc_co_u32_e32 v3, vcc, 0, v3, vcc
	v_cmp_gt_i64_e32 vcc, v[0:1], v[18:19]
	v_cndmask_b32_e64 v11, 0, 1, vcc
	v_add_co_u32_e32 v2, vcc, v2, v11
	v_addc_co_u32_e32 v3, vcc, 0, v3, vcc
	;; [unrolled: 9-line block ×3, first 2 shown]
	s_waitcnt lgkmcnt(0)
	v_cmp_gt_i64_e32 vcc, v[0:1], v[24:25]
	v_cndmask_b32_e64 v11, 0, 1, vcc
	v_add_co_u32_e32 v2, vcc, v2, v11
	v_addc_co_u32_e32 v3, vcc, 0, v3, vcc
	ds_read_b128 v[12:15], v38 offset:64
	ds_read_b128 v[16:19], v38 offset:80
	v_cmp_gt_i64_e32 vcc, v[0:1], v[26:27]
	v_cndmask_b32_e64 v11, 0, 1, vcc
	v_add_co_u32_e32 v2, vcc, v2, v11
	v_addc_co_u32_e32 v3, vcc, 0, v3, vcc
	s_waitcnt lgkmcnt(1)
	v_cmp_gt_i64_e32 vcc, v[0:1], v[12:13]
	v_cndmask_b32_e64 v11, 0, 1, vcc
	v_add_co_u32_e32 v2, vcc, v2, v11
	v_addc_co_u32_e32 v3, vcc, 0, v3, vcc
	v_cmp_gt_i64_e32 vcc, v[0:1], v[14:15]
	v_cndmask_b32_e64 v11, 0, 1, vcc
	v_add_co_u32_e32 v2, vcc, v2, v11
	v_addc_co_u32_e32 v3, vcc, 0, v3, vcc
	s_waitcnt lgkmcnt(0)
	v_cmp_gt_i64_e32 vcc, v[0:1], v[16:17]
	v_cndmask_b32_e64 v11, 0, 1, vcc
	v_add_co_u32_e32 v2, vcc, v2, v11
	v_addc_co_u32_e32 v3, vcc, 0, v3, vcc
	ds_read_b128 v[12:15], v38 offset:96
	v_cmp_gt_i64_e32 vcc, v[0:1], v[18:19]
	ds_read_b128 v[16:19], v38 offset:112
	v_cndmask_b32_e64 v11, 0, 1, vcc
	v_add_co_u32_e32 v2, vcc, v2, v11
	v_addc_co_u32_e32 v3, vcc, 0, v3, vcc
	s_waitcnt lgkmcnt(1)
	v_cmp_gt_i64_e32 vcc, v[0:1], v[12:13]
	v_cndmask_b32_e64 v11, 0, 1, vcc
	v_add_co_u32_e32 v2, vcc, v2, v11
	v_addc_co_u32_e32 v3, vcc, 0, v3, vcc
	v_cmp_gt_i64_e32 vcc, v[0:1], v[14:15]
	v_cndmask_b32_e64 v11, 0, 1, vcc
	v_add_co_u32_e32 v2, vcc, v2, v11
	v_addc_co_u32_e32 v3, vcc, 0, v3, vcc
	s_waitcnt lgkmcnt(0)
	v_cmp_gt_i64_e32 vcc, v[0:1], v[16:17]
	v_cndmask_b32_e64 v11, 0, 1, vcc
	v_add_co_u32_e32 v2, vcc, v2, v11
	v_addc_co_u32_e32 v3, vcc, 0, v3, vcc
	v_cmp_gt_i64_e32 vcc, v[0:1], v[18:19]
	v_cndmask_b32_e64 v11, 0, 1, vcc
	v_add_co_u32_e32 v2, vcc, v2, v11
	v_addc_co_u32_e32 v3, vcc, 0, v3, vcc
	v_mov_b32_e32 v11, s5
	v_add_co_u32_e32 v0, vcc, s38, v0
	v_addc_co_u32_e32 v1, vcc, v1, v11, vcc
	v_lshlrev_b64 v[12:13], 3, v[2:3]
	v_mov_b32_e32 v11, s41
	v_add_co_u32_e32 v12, vcc, s40, v12
	v_addc_co_u32_e32 v13, vcc, v11, v13, vcc
	global_store_dwordx2 v[12:13], v[0:1], off
	s_and_b64 exec, exec, s[0:1]
	s_cbranch_execz .LBB116_58
; %bb.61:                               ;   in Loop: Header=BB116_59 Depth=1
	v_mul_lo_u32 v11, s8, v2
	v_mul_lo_u32 v3, s4, v3
	v_mad_u64_u32 v[0:1], s[12:13], s4, v2, 0
	v_add3_u32 v1, v1, v3, v11
	ds_read_b64 v[2:3], v8
	v_lshlrev_b64 v[0:1], 3, v[0:1]
	v_add_co_u32_e32 v0, vcc, v6, v0
	v_addc_co_u32_e32 v1, vcc, v7, v1, vcc
	s_waitcnt lgkmcnt(0)
	global_store_dwordx2 v[0:1], v[2:3], off
	s_branch .LBB116_58
.LBB116_62:
	s_endpgm
	.section	.rodata,"a",@progbits
	.p2align	6, 0x0
	.amdhsa_kernel _ZN9rocsparseL23bsrgemm_fill_wf_per_rowILj256ELj64ELj16ELj137ELj4ElldEEv20rocsparse_direction_T5_S2_S2_PKS2_S4_NS_24const_host_device_scalarIT6_EEPKT4_S4_PKS6_SA_S4_SC_S7_SA_S4_SC_SA_PS2_PS6_21rocsparse_index_base_SF_SF_SF_bbb
		.amdhsa_group_segment_fixed_size 8704
		.amdhsa_private_segment_fixed_size 0
		.amdhsa_kernarg_size 180
		.amdhsa_user_sgpr_count 6
		.amdhsa_user_sgpr_private_segment_buffer 1
		.amdhsa_user_sgpr_dispatch_ptr 0
		.amdhsa_user_sgpr_queue_ptr 0
		.amdhsa_user_sgpr_kernarg_segment_ptr 1
		.amdhsa_user_sgpr_dispatch_id 0
		.amdhsa_user_sgpr_flat_scratch_init 0
		.amdhsa_user_sgpr_kernarg_preload_length 0
		.amdhsa_user_sgpr_kernarg_preload_offset 0
		.amdhsa_user_sgpr_private_segment_size 0
		.amdhsa_uses_dynamic_stack 0
		.amdhsa_system_sgpr_private_segment_wavefront_offset 0
		.amdhsa_system_sgpr_workgroup_id_x 1
		.amdhsa_system_sgpr_workgroup_id_y 0
		.amdhsa_system_sgpr_workgroup_id_z 0
		.amdhsa_system_sgpr_workgroup_info 0
		.amdhsa_system_vgpr_workitem_id 0
		.amdhsa_next_free_vgpr 49
		.amdhsa_next_free_sgpr 69
		.amdhsa_accum_offset 52
		.amdhsa_reserve_vcc 1
		.amdhsa_reserve_flat_scratch 0
		.amdhsa_float_round_mode_32 0
		.amdhsa_float_round_mode_16_64 0
		.amdhsa_float_denorm_mode_32 3
		.amdhsa_float_denorm_mode_16_64 3
		.amdhsa_dx10_clamp 1
		.amdhsa_ieee_mode 1
		.amdhsa_fp16_overflow 0
		.amdhsa_tg_split 0
		.amdhsa_exception_fp_ieee_invalid_op 0
		.amdhsa_exception_fp_denorm_src 0
		.amdhsa_exception_fp_ieee_div_zero 0
		.amdhsa_exception_fp_ieee_overflow 0
		.amdhsa_exception_fp_ieee_underflow 0
		.amdhsa_exception_fp_ieee_inexact 0
		.amdhsa_exception_int_div_zero 0
	.end_amdhsa_kernel
	.section	.text._ZN9rocsparseL23bsrgemm_fill_wf_per_rowILj256ELj64ELj16ELj137ELj4ElldEEv20rocsparse_direction_T5_S2_S2_PKS2_S4_NS_24const_host_device_scalarIT6_EEPKT4_S4_PKS6_SA_S4_SC_S7_SA_S4_SC_SA_PS2_PS6_21rocsparse_index_base_SF_SF_SF_bbb,"axG",@progbits,_ZN9rocsparseL23bsrgemm_fill_wf_per_rowILj256ELj64ELj16ELj137ELj4ElldEEv20rocsparse_direction_T5_S2_S2_PKS2_S4_NS_24const_host_device_scalarIT6_EEPKT4_S4_PKS6_SA_S4_SC_S7_SA_S4_SC_SA_PS2_PS6_21rocsparse_index_base_SF_SF_SF_bbb,comdat
.Lfunc_end116:
	.size	_ZN9rocsparseL23bsrgemm_fill_wf_per_rowILj256ELj64ELj16ELj137ELj4ElldEEv20rocsparse_direction_T5_S2_S2_PKS2_S4_NS_24const_host_device_scalarIT6_EEPKT4_S4_PKS6_SA_S4_SC_S7_SA_S4_SC_SA_PS2_PS6_21rocsparse_index_base_SF_SF_SF_bbb, .Lfunc_end116-_ZN9rocsparseL23bsrgemm_fill_wf_per_rowILj256ELj64ELj16ELj137ELj4ElldEEv20rocsparse_direction_T5_S2_S2_PKS2_S4_NS_24const_host_device_scalarIT6_EEPKT4_S4_PKS6_SA_S4_SC_S7_SA_S4_SC_SA_PS2_PS6_21rocsparse_index_base_SF_SF_SF_bbb
                                        ; -- End function
	.section	.AMDGPU.csdata,"",@progbits
; Kernel info:
; codeLenInByte = 3128
; NumSgprs: 73
; NumVgprs: 49
; NumAgprs: 0
; TotalNumVgprs: 49
; ScratchSize: 0
; MemoryBound: 0
; FloatMode: 240
; IeeeMode: 1
; LDSByteSize: 8704 bytes/workgroup (compile time only)
; SGPRBlocks: 9
; VGPRBlocks: 6
; NumSGPRsForWavesPerEU: 73
; NumVGPRsForWavesPerEU: 49
; AccumOffset: 52
; Occupancy: 7
; WaveLimiterHint : 1
; COMPUTE_PGM_RSRC2:SCRATCH_EN: 0
; COMPUTE_PGM_RSRC2:USER_SGPR: 6
; COMPUTE_PGM_RSRC2:TRAP_HANDLER: 0
; COMPUTE_PGM_RSRC2:TGID_X_EN: 1
; COMPUTE_PGM_RSRC2:TGID_Y_EN: 0
; COMPUTE_PGM_RSRC2:TGID_Z_EN: 0
; COMPUTE_PGM_RSRC2:TIDIG_COMP_CNT: 0
; COMPUTE_PGM_RSRC3_GFX90A:ACCUM_OFFSET: 12
; COMPUTE_PGM_RSRC3_GFX90A:TG_SPLIT: 0
	.section	.text._ZN9rocsparseL38bsrgemm_block_per_row_atomic_multipassILj256ELj32ELj4ElldEEv20rocsparse_direction_T3_S2_PKS2_S4_NS_24const_host_device_scalarIT4_EEPKT2_S4_PKS6_SA_S4_SC_S7_SA_S4_SC_SA_PS2_PS6_PS8_21rocsparse_index_base_SG_SG_SG_bbb,"axG",@progbits,_ZN9rocsparseL38bsrgemm_block_per_row_atomic_multipassILj256ELj32ELj4ElldEEv20rocsparse_direction_T3_S2_PKS2_S4_NS_24const_host_device_scalarIT4_EEPKT2_S4_PKS6_SA_S4_SC_S7_SA_S4_SC_SA_PS2_PS6_PS8_21rocsparse_index_base_SG_SG_SG_bbb,comdat
	.globl	_ZN9rocsparseL38bsrgemm_block_per_row_atomic_multipassILj256ELj32ELj4ElldEEv20rocsparse_direction_T3_S2_PKS2_S4_NS_24const_host_device_scalarIT4_EEPKT2_S4_PKS6_SA_S4_SC_S7_SA_S4_SC_SA_PS2_PS6_PS8_21rocsparse_index_base_SG_SG_SG_bbb ; -- Begin function _ZN9rocsparseL38bsrgemm_block_per_row_atomic_multipassILj256ELj32ELj4ElldEEv20rocsparse_direction_T3_S2_PKS2_S4_NS_24const_host_device_scalarIT4_EEPKT2_S4_PKS6_SA_S4_SC_S7_SA_S4_SC_SA_PS2_PS6_PS8_21rocsparse_index_base_SG_SG_SG_bbb
	.p2align	8
	.type	_ZN9rocsparseL38bsrgemm_block_per_row_atomic_multipassILj256ELj32ELj4ElldEEv20rocsparse_direction_T3_S2_PKS2_S4_NS_24const_host_device_scalarIT4_EEPKT2_S4_PKS6_SA_S4_SC_S7_SA_S4_SC_SA_PS2_PS6_PS8_21rocsparse_index_base_SG_SG_SG_bbb,@function
_ZN9rocsparseL38bsrgemm_block_per_row_atomic_multipassILj256ELj32ELj4ElldEEv20rocsparse_direction_T3_S2_PKS2_S4_NS_24const_host_device_scalarIT4_EEPKT2_S4_PKS6_SA_S4_SC_S7_SA_S4_SC_SA_PS2_PS6_PS8_21rocsparse_index_base_SG_SG_SG_bbb: ; @_ZN9rocsparseL38bsrgemm_block_per_row_atomic_multipassILj256ELj32ELj4ElldEEv20rocsparse_direction_T3_S2_PKS2_S4_NS_24const_host_device_scalarIT4_EEPKT2_S4_PKS6_SA_S4_SC_S7_SA_S4_SC_SA_PS2_PS6_PS8_21rocsparse_index_base_SG_SG_SG_bbb
; %bb.0:
	s_load_dword s7, s[4:5], 0xb0
	s_load_dwordx4 s[44:47], s[4:5], 0xa0
	s_load_dwordx2 s[8:9], s[4:5], 0x28
	s_waitcnt lgkmcnt(0)
	s_and_b32 s0, 1, s7
	s_bitcmp1_b32 s7, 16
	s_cselect_b64 s[2:3], -1, 0
	s_cmp_eq_u32 s0, 1
	s_load_dwordx2 s[0:1], s[4:5], 0x60
	s_cselect_b64 s[16:17], -1, 0
	s_and_b64 s[10:11], s[16:17], exec
	s_cselect_b32 s11, s9, 0
	s_cselect_b32 s10, s8, 0
	s_xor_b64 s[12:13], s[16:17], -1
	s_or_b64 s[12:13], s[12:13], s[2:3]
	s_and_b64 vcc, exec, s[12:13]
	v_pk_mov_b32 v[2:3], s[10:11], s[10:11] op_sel:[0,1]
	s_cbranch_vccnz .LBB117_2
; %bb.1:
	v_pk_mov_b32 v[2:3], s[8:9], s[8:9] op_sel:[0,1]
	flat_load_dwordx2 v[2:3], v[2:3]
.LBB117_2:
	s_bitcmp1_b32 s7, 8
	s_load_dwordx2 s[8:9], s[4:5], 0x20
	s_cselect_b64 s[34:35], -1, 0
	s_and_b64 s[10:11], s[34:35], exec
	s_waitcnt lgkmcnt(0)
	s_cselect_b32 s11, s1, 0
	s_cselect_b32 s10, s0, 0
	s_xor_b64 s[12:13], s[34:35], -1
	s_or_b64 s[2:3], s[12:13], s[2:3]
	s_and_b64 vcc, exec, s[2:3]
	v_pk_mov_b32 v[4:5], s[10:11], s[10:11] op_sel:[0,1]
	s_cbranch_vccnz .LBB117_4
; %bb.3:
	v_pk_mov_b32 v[4:5], s[0:1], s[0:1] op_sel:[0,1]
	flat_load_dwordx2 v[4:5], v[4:5]
.LBB117_4:
	s_load_dwordx2 s[2:3], s[4:5], 0x30
	s_mov_b64 s[52:53], 0
	s_cmp_eq_u64 s[8:9], 0
	s_mov_b32 s7, 0
	s_cbranch_scc1 .LBB117_6
; %bb.5:
	s_load_dwordx2 s[0:1], s[4:5], 0x18
	s_waitcnt lgkmcnt(0)
	s_load_dwordx2 s[0:1], s[0:1], 0x0
	s_waitcnt lgkmcnt(0)
	s_lshl_b64 s[0:1], s[0:1], 3
	s_add_u32 s8, s8, s0
	s_addc_u32 s9, s9, s1
	s_lshl_b64 s[0:1], s[6:7], 3
	s_add_u32 s0, s8, s0
	s_addc_u32 s1, s9, s1
	s_load_dwordx2 s[6:7], s[0:1], 0x0
.LBB117_6:
	v_cndmask_b32_e64 v1, 0, 1, s[16:17]
	v_cmp_ne_u32_e64 s[0:1], 1, v1
	s_andn2_b64 vcc, exec, s[16:17]
	s_cbranch_vccz .LBB117_9
; %bb.7:
	s_and_b64 vcc, exec, s[0:1]
	s_mov_b64 s[54:55], 0
	s_cbranch_vccz .LBB117_10
.LBB117_8:
	s_load_dwordx4 s[48:51], s[4:5], 0x8
	s_waitcnt lgkmcnt(0)
	v_cmp_lt_i64_e64 s[0:1], s[48:49], 1
	s_and_b64 vcc, exec, s[0:1]
	s_cbranch_vccz .LBB117_11
	s_branch .LBB117_92
.LBB117_9:
	s_waitcnt lgkmcnt(0)
	s_lshl_b64 s[8:9], s[6:7], 3
	s_add_u32 s8, s2, s8
	s_addc_u32 s9, s3, s9
	s_load_dwordx2 s[8:9], s[8:9], 0x0
	s_waitcnt lgkmcnt(0)
	s_sub_u32 s52, s8, s44
	s_subb_u32 s53, s9, 0
	s_and_b64 vcc, exec, s[0:1]
	s_mov_b64 s[54:55], 0
	s_cbranch_vccnz .LBB117_8
.LBB117_10:
	s_waitcnt lgkmcnt(0)
	s_lshl_b64 s[0:1], s[6:7], 3
	s_add_u32 s0, s2, s0
	s_addc_u32 s1, s3, s1
	s_load_dwordx2 s[0:1], s[0:1], 0x8
	s_waitcnt lgkmcnt(0)
	s_sub_u32 s54, s0, s44
	s_subb_u32 s55, s1, 0
	s_load_dwordx4 s[48:51], s[4:5], 0x8
	s_waitcnt lgkmcnt(0)
	v_cmp_lt_i64_e64 s[0:1], s[48:49], 1
	s_and_b64 vcc, exec, s[0:1]
	s_cbranch_vccnz .LBB117_92
.LBB117_11:
	s_load_dwordx2 s[56:57], s[4:5], 0x98
	s_load_dwordx4 s[20:23], s[4:5], 0x88
	s_load_dwordx8 s[24:31], s[4:5], 0x68
	s_load_dwordx2 s[58:59], s[4:5], 0x58
	s_load_dwordx8 s[36:43], s[4:5], 0x38
	s_lshl_b64 s[8:9], s[6:7], 3
	s_mul_i32 s6, s50, s51
	s_waitcnt lgkmcnt(0)
	s_add_u32 s0, s30, s8
	s_addc_u32 s1, s31, s9
	s_load_dwordx2 s[0:1], s[0:1], 0x0
	s_mul_hi_u32 s7, s50, s50
	v_bfe_u32 v22, v0, 2, 2
	v_pk_mov_b32 v[10:11], s[54:55], s[54:55] op_sel:[0,1]
	v_and_b32_e32 v8, 3, v0
	s_waitcnt lgkmcnt(0)
	s_sub_u32 s64, s0, s46
	s_subb_u32 s65, s1, 0
	s_add_i32 s7, s7, s6
	s_add_i32 s31, s7, s6
	v_mad_u64_u32 v[12:13], s[6:7], v22, s50, 0
	v_mov_b32_e32 v14, v13
	v_mad_u64_u32 v[14:15], s[6:7], v22, s51, v[14:15]
	v_mov_b32_e32 v13, v14
	v_lshlrev_b64 v[14:15], 3, v[12:13]
	v_cmp_lt_i64_e32 vcc, s[52:53], v[10:11]
	v_mov_b32_e32 v11, s39
	v_add_co_u32_e64 v16, s[6:7], s38, v14
	v_addc_co_u32_e64 v11, s[6:7], v11, v15, s[6:7]
	v_lshlrev_b32_e32 v12, 3, v8
	v_mov_b32_e32 v10, 0
	v_add_co_u32_e64 v43, s[6:7], v16, v12
	v_mov_b32_e32 v9, v10
	v_mov_b32_e32 v23, v10
	v_addc_co_u32_e64 v44, s[6:7], 0, v11, s[6:7]
	v_cmp_gt_i64_e64 s[12:13], s[50:51], v[8:9]
	v_cmp_gt_i64_e64 s[6:7], s[50:51], v[22:23]
	s_and_b64 s[38:39], s[12:13], s[6:7]
	v_mad_u64_u32 v[18:19], s[6:7], v8, s50, 0
	v_lshlrev_b32_e32 v17, 3, v0
	v_mov_b32_e32 v16, v19
	v_mad_u64_u32 v[20:21], s[6:7], v8, s51, v[16:17]
	v_mov_b32_e32 v19, v20
	v_lshlrev_b64 v[18:19], 3, v[18:19]
	v_mov_b32_e32 v9, s29
	v_add_co_u32_e64 v11, s[6:7], s28, v18
	v_addc_co_u32_e64 v16, s[6:7], v9, v19, s[6:7]
	v_lshlrev_b64 v[20:21], 3, v[22:23]
	s_load_dword s14, s[4:5], 0x0
	v_add_co_u32_e64 v11, s[6:7], v11, v20
	v_addc_co_u32_e64 v16, s[6:7], v16, v21, s[6:7]
	v_cmp_gt_u64_e64 s[10:11], s[50:51], v[22:23]
	v_add_co_u32_e64 v23, s[6:7], s28, v14
	v_addc_co_u32_e64 v9, s[6:7], v9, v15, s[6:7]
	v_add_co_u32_e64 v23, s[6:7], v23, v12
	v_lshrrev_b32_e32 v6, 4, v0
	s_waitcnt lgkmcnt(0)
	s_cmp_eq_u32 s14, 0
	v_addc_co_u32_e64 v9, s[6:7], 0, v9, s[6:7]
	s_cselect_b64 s[18:19], -1, 0
	s_cmp_lg_u32 s14, 0
	v_subrev_co_u32_e64 v46, s[6:7], s47, v6
	v_and_b32_e32 v1, 15, v0
	s_cselect_b64 s[28:29], -1, 0
	s_add_u32 s24, s24, s8
	v_subb_co_u32_e64 v47, s[6:7], 0, 0, s[6:7]
	v_and_b32_e32 v24, 31, v0
	s_addc_u32 s25, s25, s9
	v_cmp_eq_u32_e64 s[6:7], 15, v1
	v_add_co_u32_e64 v1, s[8:9], -1, v24
	v_mov_b32_e32 v26, 0x1800
	v_lshl_add_u32 v49, v1, 2, v26
	v_mov_b32_e32 v1, s23
	v_add_co_u32_e64 v18, s[14:15], s22, v18
	v_addc_co_u32_e64 v19, s[14:15], v1, v19, s[14:15]
	v_add_co_u32_e64 v18, s[14:15], v18, v20
	v_addc_co_u32_e64 v19, s[14:15], v19, v21, s[14:15]
	;; [unrolled: 2-line block ×3, first 2 shown]
	s_movk_i32 s2, 0x200
	v_add_co_u32_e64 v20, s[14:15], v14, v12
	s_and_b64 s[60:61], s[16:17], vcc
	s_and_b64 s[62:63], s[12:13], s[10:11]
	v_cmp_gt_u32_e64 s[0:1], 32, v0
	v_cmp_gt_u32_e64 s[2:3], s2, v0
	v_cmp_eq_u32_e64 s[4:5], 0, v0
	v_and_b32_e32 v45, 12, v0
	s_mov_b32 s89, s47
	v_addc_co_u32_e64 v1, s[14:15], 0, v1, s[14:15]
	v_lshl_or_b32 v50, v0, 2, v26
	v_cndmask_b32_e64 v15, v16, v9, s[18:19]
	v_cndmask_b32_e64 v16, v18, v20, s[18:19]
	s_add_u32 s47, s40, 8
	v_mov_b32_e32 v9, s59
	v_add_co_u32_e32 v18, vcc, s58, v12
	v_or_b32_e32 v57, 0xffffff00, v0
	v_lshlrev_b32_e32 v0, 3, v22
	v_cndmask_b32_e64 v1, v19, v1, s[18:19]
	s_addc_u32 s91, s41, 0
	v_addc_co_u32_e32 v19, vcc, 0, v9, vcc
	v_lshl_or_b32 v0, v6, 7, v0
	s_mov_b32 s33, 0
	s_mul_i32 s30, s50, s50
	v_lshlrev_b32_e32 v25, 2, v24
	v_cndmask_b32_e64 v14, v11, v23, s[18:19]
	s_add_u32 s92, s20, -8
	v_add_co_u32_e32 v54, vcc, 16, v46
	v_add_u32_e32 v58, 0x1000, v0
	v_and_b32_e32 v0, 0x7e0, v17
	v_mov_b32_e32 v22, 32
	v_mov_b32_e32 v7, v10
	v_or_b32_e32 v42, 0x1000, v17
	v_mov_b32_e32 v13, v10
	s_mov_b32 s88, s33
	s_mov_b32 s90, s33
	v_or_b32_e32 v48, 0x1800, v25
	v_cmp_ne_u32_e64 s[10:11], 0, v24
	v_cmp_lt_u32_e64 s[12:13], 1, v24
	v_add_u32_e32 v51, 0x17f8, v25
	v_cmp_lt_u32_e64 s[14:15], 3, v24
	v_add_u32_e32 v52, 0x17f0, v25
	;; [unrolled: 2-line block ×3, first 2 shown]
	s_addc_u32 s93, s21, -1
	v_addc_co_u32_e32 v55, vcc, 0, v47, vcc
	v_cmp_lt_u32_e64 s[18:19], 15, v24
	v_add_u32_e32 v56, 0x17c0, v25
	v_pk_mov_b32 v[20:21], s[64:65], s[64:65] op_sel:[0,1]
	s_lshl_b64 s[64:65], s[50:51], 3
	v_or_b32_e32 v59, 0x1000, v0
	v_lshl_or_b32 v60, v6, 2, v26
	v_mov_b32_e32 v23, 0
	v_mov_b32_e32 v61, 1
	s_lshl_b64 s[66:67], s[30:31], 3
	s_lshl_b64 s[68:69], s[30:31], 7
	s_mov_b64 s[70:71], 0
	s_branch .LBB117_13
.LBB117_12:                             ;   in Loop: Header=BB117_13 Depth=1
	s_or_b64 exec, exec, s[20:21]
	s_barrier
	ds_read_b64 v[24:25], v10 offset:6272
	v_ashrrev_i32_e32 v0, 31, v11
	v_add_co_u32_e32 v20, vcc, v20, v11
	v_addc_co_u32_e32 v21, vcc, v21, v0, vcc
	s_waitcnt lgkmcnt(0)
	v_add_co_u32_e32 v22, vcc, 32, v24
	v_addc_co_u32_e32 v23, vcc, 0, v25, vcc
	v_cmp_le_i64_e32 vcc, s[48:49], v[24:25]
	v_readfirstlane_b32 s70, v24
	v_readfirstlane_b32 s71, v25
	s_barrier
	s_cbranch_vccnz .LBB117_92
.LBB117_13:                             ; =>This Loop Header: Depth=1
                                        ;     Child Loop BB117_17 Depth 2
                                        ;     Child Loop BB117_23 Depth 2
                                        ;       Child Loop BB117_38 Depth 3
                                        ;         Child Loop BB117_50 Depth 4
                                        ;         Child Loop BB117_46 Depth 4
                                        ;     Child Loop BB117_60 Depth 2
                                        ;     Child Loop BB117_69 Depth 2
	;; [unrolled: 1-line block ×3, first 2 shown]
	s_and_saveexec_b64 s[20:21], s[0:1]
	s_cbranch_execz .LBB117_15
; %bb.14:                               ;   in Loop: Header=BB117_13 Depth=1
	ds_write_b32 v50, v10
.LBB117_15:                             ;   in Loop: Header=BB117_13 Depth=1
	s_or_b64 exec, exec, s[20:21]
	s_and_saveexec_b64 s[20:21], s[2:3]
	s_cbranch_execz .LBB117_18
; %bb.16:                               ;   in Loop: Header=BB117_13 Depth=1
	s_mov_b64 s[22:23], 0
	v_mov_b32_e32 v0, v17
	v_mov_b32_e32 v9, v57
.LBB117_17:                             ;   Parent Loop BB117_13 Depth=1
                                        ; =>  This Inner Loop Header: Depth=2
	v_add_co_u32_e32 v9, vcc, 0x100, v9
	s_xor_b64 s[72:73], vcc, -1
	v_mov_b32_e32 v11, v10
	s_and_b64 s[72:73], exec, s[72:73]
	ds_write_b64 v0, v[10:11]
	s_or_b64 s[22:23], s[72:73], s[22:23]
	v_add_u32_e32 v0, 0x800, v0
	s_andn2_b64 exec, exec, s[22:23]
	s_cbranch_execnz .LBB117_17
.LBB117_18:                             ;   in Loop: Header=BB117_13 Depth=1
	s_or_b64 exec, exec, s[20:21]
	s_and_saveexec_b64 s[20:21], s[4:5]
	s_cbranch_execz .LBB117_20
; %bb.19:                               ;   in Loop: Header=BB117_13 Depth=1
	v_pk_mov_b32 v[24:25], s[48:49], s[48:49] op_sel:[0,1]
	ds_write_b64 v10, v[24:25] offset:6272
.LBB117_20:                             ;   in Loop: Header=BB117_13 Depth=1
	s_or_b64 exec, exec, s[20:21]
	s_andn2_b64 vcc, exec, s[60:61]
	v_pk_mov_b32 v[24:25], s[48:49], s[48:49] op_sel:[0,1]
	s_waitcnt lgkmcnt(0)
	s_barrier
	s_cbranch_vccnz .LBB117_55
; %bb.21:                               ;   in Loop: Header=BB117_13 Depth=1
	s_cmp_lg_u64 s[70:71], 0
	s_cselect_b64 s[72:73], -1, 0
	v_pk_mov_b32 v[24:25], s[48:49], s[48:49] op_sel:[0,1]
	s_mov_b64 s[74:75], s[52:53]
	s_branch .LBB117_23
.LBB117_22:                             ;   in Loop: Header=BB117_23 Depth=2
	s_or_b64 exec, exec, s[22:23]
	s_add_u32 s74, s74, 16
	s_addc_u32 s75, s75, 0
	v_pk_mov_b32 v[26:27], s[54:55], s[54:55] op_sel:[0,1]
	v_cmp_lt_i64_e32 vcc, s[74:75], v[26:27]
	s_cbranch_vccz .LBB117_55
.LBB117_23:                             ;   Parent Loop BB117_13 Depth=1
                                        ; =>  This Loop Header: Depth=2
                                        ;       Child Loop BB117_38 Depth 3
                                        ;         Child Loop BB117_50 Depth 4
                                        ;         Child Loop BB117_46 Depth 4
	v_mov_b32_e32 v0, s75
	v_add_co_u32_e32 v26, vcc, s74, v6
	v_addc_co_u32_e32 v27, vcc, 0, v0, vcc
	v_cmp_gt_i64_e64 s[20:21], s[54:55], v[26:27]
	s_barrier
	s_and_saveexec_b64 s[22:23], s[20:21]
	s_cbranch_execz .LBB117_27
; %bb.24:                               ;   in Loop: Header=BB117_23 Depth=2
	v_pk_mov_b32 v[28:29], 0, 0
	s_and_saveexec_b64 s[76:77], s[62:63]
	s_cbranch_execz .LBB117_26
; %bb.25:                               ;   in Loop: Header=BB117_23 Depth=2
	v_mul_lo_u32 v0, v27, s30
	v_mul_lo_u32 v9, v26, s31
	v_mad_u64_u32 v[28:29], s[78:79], v26, s30, 0
	v_add3_u32 v29, v29, v9, v0
	v_lshlrev_b64 v[28:29], 3, v[28:29]
	v_add_co_u32_e32 v28, vcc, v43, v28
	v_addc_co_u32_e32 v29, vcc, v44, v29, vcc
	global_load_dwordx2 v[28:29], v[28:29], off
.LBB117_26:                             ;   in Loop: Header=BB117_23 Depth=2
	s_or_b64 exec, exec, s[76:77]
	s_waitcnt vmcnt(0)
	ds_write_b64 v42, v[28:29]
.LBB117_27:                             ;   in Loop: Header=BB117_23 Depth=2
	s_or_b64 exec, exec, s[22:23]
	v_pk_mov_b32 v[28:29], 0, 0
	v_lshlrev_b64 v[26:27], 3, v[26:27]
	s_waitcnt lgkmcnt(0)
	s_barrier
	s_and_saveexec_b64 s[76:77], s[20:21]
	s_cbranch_execz .LBB117_53
; %bb.28:                               ;   in Loop: Header=BB117_23 Depth=2
	v_mov_b32_e32 v0, s37
	v_add_co_u32_e32 v28, vcc, s36, v26
	v_addc_co_u32_e32 v29, vcc, v0, v27, vcc
	global_load_dwordx2 v[30:31], v[28:29], off
	s_and_b64 vcc, exec, s[72:73]
	s_cbranch_vccz .LBB117_30
; %bb.29:                               ;   in Loop: Header=BB117_23 Depth=2
	v_mov_b32_e32 v0, s57
	v_add_co_u32_e32 v28, vcc, s56, v26
	v_addc_co_u32_e32 v29, vcc, v0, v27, vcc
	global_load_dwordx2 v[28:29], v[28:29], off
	s_mov_b64 s[22:23], 0
	s_branch .LBB117_31
.LBB117_30:                             ;   in Loop: Header=BB117_23 Depth=2
	s_mov_b64 s[22:23], -1
                                        ; implicit-def: $vgpr28_vgpr29
.LBB117_31:                             ;   in Loop: Header=BB117_23 Depth=2
	v_mov_b32_e32 v0, s88
	s_waitcnt vmcnt(0)
	v_subrev_co_u32_e32 v30, vcc, s44, v30
	v_subb_co_u32_e32 v31, vcc, v31, v0, vcc
	s_andn2_b64 vcc, exec, s[22:23]
	v_lshlrev_b64 v[30:31], 3, v[30:31]
	s_cbranch_vccnz .LBB117_33
; %bb.32:                               ;   in Loop: Header=BB117_23 Depth=2
	v_mov_b32_e32 v0, s41
	v_add_co_u32_e32 v28, vcc, s40, v30
	v_addc_co_u32_e32 v29, vcc, v0, v31, vcc
	global_load_dwordx2 v[28:29], v[28:29], off
	v_mov_b32_e32 v0, s33
	s_waitcnt vmcnt(0)
	v_subrev_co_u32_e32 v28, vcc, s45, v28
	v_subb_co_u32_e32 v29, vcc, v29, v0, vcc
.LBB117_33:                             ;   in Loop: Header=BB117_23 Depth=2
	v_mov_b32_e32 v0, s91
	v_add_co_u32_e32 v30, vcc, s47, v30
	v_addc_co_u32_e32 v31, vcc, v0, v31, vcc
	global_load_dwordx2 v[30:31], v[30:31], off
	v_mov_b32_e32 v0, s33
	s_waitcnt vmcnt(0)
	v_subrev_co_u32_e32 v30, vcc, s45, v30
	v_subb_co_u32_e32 v31, vcc, v31, v0, vcc
	v_cmp_lt_i64_e32 vcc, v[28:29], v[30:31]
	s_and_saveexec_b64 s[78:79], vcc
	s_cbranch_execz .LBB117_52
; %bb.34:                               ;   in Loop: Header=BB117_23 Depth=2
	v_mad_u64_u32 v[32:33], s[22:23], s64, v28, v[12:13]
	v_mul_lo_u32 v0, s64, v29
	v_mul_lo_u32 v9, s65, v28
	v_add3_u32 v0, v9, v33, v0
	v_pk_mov_b32 v[34:35], s[58:59], s[58:59] op_sel:[0,1]
	v_mul_lo_u32 v9, s51, v32
	v_mul_lo_u32 v0, s50, v0
	v_mad_u64_u32 v[32:33], s[22:23], s50, v32, v[34:35]
	v_add3_u32 v33, v9, v33, v0
	v_mad_u64_u32 v[34:35], s[22:23], s66, v28, v[18:19]
	v_mul_lo_u32 v0, s66, v29
	v_mul_lo_u32 v9, s67, v28
	v_add3_u32 v35, v9, v35, v0
	s_mov_b64 s[80:81], 0
	v_pk_mov_b32 v[36:37], v[28:29], v[28:29] op_sel:[0,1]
	s_branch .LBB117_38
.LBB117_35:                             ;   in Loop: Header=BB117_38 Depth=3
	v_lshlrev_b32_e32 v0, 4, v0
	v_or3_b32 v0, v0, v45, v8
	v_lshlrev_b32_e32 v0, 3, v0
	v_mul_f64 v[38:39], v[2:3], v[38:39]
	ds_add_f64 v0, v[38:39]
.LBB117_36:                             ;   in Loop: Header=BB117_38 Depth=3
	s_or_b64 exec, exec, s[84:85]
	s_or_b64 s[22:23], s[22:23], exec
.LBB117_37:                             ;   in Loop: Header=BB117_38 Depth=3
	s_or_b64 exec, exec, s[82:83]
	v_add_co_u32_e32 v28, vcc, 1, v28
	v_addc_co_u32_e32 v29, vcc, 0, v29, vcc
	v_cmp_ge_i64_e32 vcc, v[28:29], v[30:31]
	s_xor_b64 s[22:23], s[22:23], -1
	s_or_b64 s[22:23], s[22:23], vcc
	v_mov_b32_e32 v0, s67
	v_add_co_u32_e32 v32, vcc, s66, v32
	v_addc_co_u32_e32 v33, vcc, v33, v0, vcc
	s_and_b64 s[22:23], exec, s[22:23]
	v_add_co_u32_e32 v34, vcc, s66, v34
	s_or_b64 s[80:81], s[22:23], s[80:81]
	v_addc_co_u32_e32 v35, vcc, v35, v0, vcc
	s_andn2_b64 exec, exec, s[80:81]
	s_cbranch_execz .LBB117_51
.LBB117_38:                             ;   Parent Loop BB117_13 Depth=1
                                        ;     Parent Loop BB117_23 Depth=2
                                        ; =>    This Loop Header: Depth=3
                                        ;         Child Loop BB117_50 Depth 4
                                        ;         Child Loop BB117_46 Depth 4
	v_lshlrev_b64 v[38:39], 3, v[28:29]
	v_mov_b32_e32 v0, s43
	v_add_co_u32_e32 v38, vcc, s42, v38
	v_addc_co_u32_e32 v39, vcc, v0, v39, vcc
	global_load_dwordx2 v[38:39], v[38:39], off
	v_mov_b32_e32 v0, s33
	s_waitcnt vmcnt(0)
	v_subrev_co_u32_e32 v38, vcc, s45, v38
	v_subb_co_u32_e32 v39, vcc, v39, v0, vcc
	v_cmp_gt_i64_e64 s[22:23], s[70:71], v[38:39]
	v_cmp_ge_i64_e32 vcc, v[38:39], v[22:23]
	s_or_b64 s[82:83], s[22:23], vcc
                                        ; implicit-def: $sgpr22_sgpr23
	s_and_saveexec_b64 s[84:85], s[82:83]
	s_xor_b64 s[82:83], exec, s[84:85]
	s_cbranch_execz .LBB117_42
; %bb.39:                               ;   in Loop: Header=BB117_38 Depth=3
	s_mov_b64 s[22:23], -1
	s_and_saveexec_b64 s[84:85], vcc
; %bb.40:                               ;   in Loop: Header=BB117_38 Depth=3
	v_cmp_lt_i64_e32 vcc, v[38:39], v[24:25]
	v_cndmask_b32_e32 v25, v25, v39, vcc
	v_cndmask_b32_e32 v24, v24, v38, vcc
	s_xor_b64 s[22:23], exec, -1
	v_pk_mov_b32 v[36:37], v[28:29], v[28:29] op_sel:[0,1]
; %bb.41:                               ;   in Loop: Header=BB117_38 Depth=3
	s_or_b64 exec, exec, s[84:85]
	s_and_b64 s[22:23], s[22:23], exec
                                        ; implicit-def: $vgpr38_vgpr39
.LBB117_42:                             ;   in Loop: Header=BB117_38 Depth=3
	s_andn2_saveexec_b64 s[82:83], s[82:83]
	s_cbranch_execz .LBB117_37
; %bb.43:                               ;   in Loop: Header=BB117_38 Depth=3
	v_subrev_u32_e32 v0, s70, v38
	v_lshlrev_b32_e32 v9, 2, v0
	ds_write_b32 v9, v61 offset:6144
	s_and_saveexec_b64 s[84:85], s[38:39]
	s_cbranch_execz .LBB117_36
; %bb.44:                               ;   in Loop: Header=BB117_38 Depth=3
	s_andn2_b64 vcc, exec, s[28:29]
	s_cbranch_vccnz .LBB117_48
; %bb.45:                               ;   in Loop: Header=BB117_38 Depth=3
	v_pk_mov_b32 v[38:39], 0, 0
	v_mov_b32_e32 v9, v58
	s_mov_b64 s[86:87], s[50:51]
	v_pk_mov_b32 v[40:41], v[32:33], v[32:33] op_sel:[0,1]
.LBB117_46:                             ;   Parent Loop BB117_13 Depth=1
                                        ;     Parent Loop BB117_23 Depth=2
                                        ;       Parent Loop BB117_38 Depth=3
                                        ; =>      This Inner Loop Header: Depth=4
	global_load_dwordx2 v[62:63], v[40:41], off
	ds_read_b64 v[64:65], v9
	s_add_u32 s86, s86, -1
	v_add_co_u32_e32 v40, vcc, 8, v40
	s_addc_u32 s87, s87, -1
	v_addc_co_u32_e32 v41, vcc, 0, v41, vcc
	v_add_u32_e32 v9, 32, v9
	s_cmp_lg_u64 s[86:87], 0
	s_waitcnt vmcnt(0) lgkmcnt(0)
	v_fmac_f64_e32 v[38:39], v[64:65], v[62:63]
	s_cbranch_scc1 .LBB117_46
; %bb.47:                               ;   in Loop: Header=BB117_38 Depth=3
	s_branch .LBB117_35
.LBB117_48:                             ;   in Loop: Header=BB117_38 Depth=3
                                        ; implicit-def: $vgpr38_vgpr39
	s_cbranch_execz .LBB117_35
; %bb.49:                               ;   in Loop: Header=BB117_38 Depth=3
	v_pk_mov_b32 v[38:39], 0, 0
	v_mov_b32_e32 v9, v59
	v_pk_mov_b32 v[40:41], v[34:35], v[34:35] op_sel:[0,1]
	s_mov_b64 s[86:87], s[50:51]
.LBB117_50:                             ;   Parent Loop BB117_13 Depth=1
                                        ;     Parent Loop BB117_23 Depth=2
                                        ;       Parent Loop BB117_38 Depth=3
                                        ; =>      This Inner Loop Header: Depth=4
	global_load_dwordx2 v[62:63], v[40:41], off
	ds_read_b64 v[64:65], v9
	s_add_u32 s86, s86, -1
	v_mov_b32_e32 v11, s65
	v_add_co_u32_e32 v40, vcc, s64, v40
	s_addc_u32 s87, s87, -1
	v_add_u32_e32 v9, 8, v9
	v_addc_co_u32_e32 v41, vcc, v41, v11, vcc
	s_cmp_eq_u64 s[86:87], 0
	s_waitcnt vmcnt(0) lgkmcnt(0)
	v_fmac_f64_e32 v[38:39], v[64:65], v[62:63]
	s_cbranch_scc0 .LBB117_50
	s_branch .LBB117_35
.LBB117_51:                             ;   in Loop: Header=BB117_23 Depth=2
	s_or_b64 exec, exec, s[80:81]
	v_pk_mov_b32 v[28:29], v[36:37], v[36:37] op_sel:[0,1]
.LBB117_52:                             ;   in Loop: Header=BB117_23 Depth=2
	s_or_b64 exec, exec, s[78:79]
.LBB117_53:                             ;   in Loop: Header=BB117_23 Depth=2
	s_or_b64 exec, exec, s[76:77]
	s_waitcnt lgkmcnt(0)
	s_barrier
	s_and_saveexec_b64 s[22:23], s[20:21]
	s_cbranch_execz .LBB117_22
; %bb.54:                               ;   in Loop: Header=BB117_23 Depth=2
	v_mov_b32_e32 v0, s57
	v_add_co_u32_e32 v26, vcc, s56, v26
	v_addc_co_u32_e32 v27, vcc, v0, v27, vcc
	global_store_dwordx2 v[26:27], v[28:29], off
	s_branch .LBB117_22
.LBB117_55:                             ;   in Loop: Header=BB117_13 Depth=1
	s_andn2_b64 vcc, exec, s[34:35]
	s_cbranch_vccnz .LBB117_67
; %bb.56:                               ;   in Loop: Header=BB117_13 Depth=1
	s_load_dwordx4 s[20:23], s[24:25], 0x0
	s_waitcnt lgkmcnt(0)
	s_sub_u32 s22, s22, s89
	v_mov_b32_e32 v0, s21
	v_add_co_u32_e32 v30, vcc, s20, v46
	s_subb_u32 s23, s23, 0
	v_addc_co_u32_e32 v31, vcc, v0, v47, vcc
	v_cmp_gt_i64_e32 vcc, s[22:23], v[30:31]
	s_and_saveexec_b64 s[72:73], vcc
	s_cbranch_execz .LBB117_66
; %bb.57:                               ;   in Loop: Header=BB117_13 Depth=1
	v_lshlrev_b64 v[26:27], 3, v[30:31]
	v_mov_b32_e32 v0, s27
	v_add_co_u32_e32 v26, vcc, s26, v26
	v_addc_co_u32_e32 v27, vcc, v0, v27, vcc
	v_mad_u64_u32 v[28:29], s[74:75], s66, v30, v[14:15]
	v_mul_lo_u32 v0, s66, v31
	v_mul_lo_u32 v9, s67, v30
	v_add3_u32 v29, v9, v29, v0
	v_mov_b32_e32 v0, s21
	v_add_co_u32_e32 v30, vcc, s20, v54
	v_addc_co_u32_e32 v31, vcc, v55, v0, vcc
	s_mov_b64 s[74:75], 0
	s_branch .LBB117_60
.LBB117_58:                             ;   in Loop: Header=BB117_60 Depth=2
	s_or_b64 exec, exec, s[78:79]
	s_or_b64 s[20:21], s[20:21], exec
.LBB117_59:                             ;   in Loop: Header=BB117_60 Depth=2
	s_or_b64 exec, exec, s[76:77]
	v_cmp_le_i64_e32 vcc, s[22:23], v[30:31]
	s_xor_b64 s[20:21], s[20:21], -1
	s_or_b64 s[20:21], s[20:21], vcc
	v_add_co_u32_e32 v26, vcc, 0x80, v26
	v_addc_co_u32_e32 v27, vcc, 0, v27, vcc
	v_mov_b32_e32 v0, s69
	v_add_co_u32_e32 v28, vcc, s68, v28
	v_addc_co_u32_e32 v29, vcc, v29, v0, vcc
	s_and_b64 s[20:21], exec, s[20:21]
	v_add_co_u32_e32 v30, vcc, 16, v30
	s_or_b64 s[74:75], s[20:21], s[74:75]
	v_addc_co_u32_e32 v31, vcc, 0, v31, vcc
	s_andn2_b64 exec, exec, s[74:75]
	s_cbranch_execz .LBB117_65
.LBB117_60:                             ;   Parent Loop BB117_13 Depth=1
                                        ; =>  This Inner Loop Header: Depth=2
	global_load_dwordx2 v[32:33], v[26:27], off
	v_mov_b32_e32 v0, s90
	s_waitcnt vmcnt(0)
	v_subrev_co_u32_e32 v32, vcc, s89, v32
	v_subb_co_u32_e32 v33, vcc, v33, v0, vcc
	v_cmp_lt_i64_e32 vcc, v[32:33], v[22:23]
	v_cmp_gt_i64_e64 s[20:21], s[70:71], v[32:33]
	s_xor_b64 s[76:77], vcc, -1
	s_or_b64 s[76:77], s[20:21], s[76:77]
                                        ; implicit-def: $sgpr20_sgpr21
	s_and_saveexec_b64 s[78:79], s[76:77]
	s_xor_b64 s[76:77], exec, s[78:79]
; %bb.61:                               ;   in Loop: Header=BB117_60 Depth=2
	v_cmp_lt_i64_e64 s[20:21], v[32:33], v[24:25]
	v_cndmask_b32_e64 v0, v24, v32, s[20:21]
	v_cndmask_b32_e64 v9, v25, v33, s[20:21]
	v_cndmask_b32_e32 v25, v9, v25, vcc
	v_cndmask_b32_e32 v24, v0, v24, vcc
	s_and_b64 s[20:21], vcc, exec
                                        ; implicit-def: $vgpr32
; %bb.62:                               ;   in Loop: Header=BB117_60 Depth=2
	s_andn2_saveexec_b64 s[76:77], s[76:77]
	s_cbranch_execz .LBB117_59
; %bb.63:                               ;   in Loop: Header=BB117_60 Depth=2
	v_subrev_u32_e32 v0, s70, v32
	v_lshlrev_b32_e32 v9, 2, v0
	ds_write_b32 v9, v61 offset:6144
	s_and_saveexec_b64 s[78:79], s[62:63]
	s_cbranch_execz .LBB117_58
; %bb.64:                               ;   in Loop: Header=BB117_60 Depth=2
	global_load_dwordx2 v[32:33], v[28:29], off
	v_lshlrev_b32_e32 v0, 4, v0
	v_or3_b32 v0, v0, v45, v8
	v_lshlrev_b32_e32 v0, 3, v0
	s_waitcnt vmcnt(0)
	v_mul_f64 v[32:33], v[4:5], v[32:33]
	ds_add_f64 v0, v[32:33]
	s_branch .LBB117_58
.LBB117_65:                             ;   in Loop: Header=BB117_13 Depth=1
	s_or_b64 exec, exec, s[74:75]
.LBB117_66:                             ;   in Loop: Header=BB117_13 Depth=1
	s_or_b64 exec, exec, s[72:73]
.LBB117_67:                             ;   in Loop: Header=BB117_13 Depth=1
	s_and_saveexec_b64 s[20:21], s[6:7]
	s_cbranch_execz .LBB117_72
; %bb.68:                               ;   in Loop: Header=BB117_13 Depth=1
	s_mov_b64 s[72:73], exec
	s_mov_b64 s[22:23], -1
.LBB117_69:                             ;   Parent Loop BB117_13 Depth=1
                                        ; =>  This Inner Loop Header: Depth=2
	s_ff1_i32_b64 s76, s[72:73]
	v_readlane_b32 s77, v25, s76
	v_readlane_b32 s78, v24, s76
	v_mov_b32_e32 v22, s78
	v_mov_b32_e32 v23, s77
	v_cmp_lt_u64_e32 vcc, s[22:23], v[22:23]
	s_and_b64 s[74:75], vcc, exec
	s_cselect_b32 s23, s23, s77
	s_cselect_b32 s22, s22, s78
	s_lshl_b64 s[74:75], 1, s76
	s_andn2_b64 s[72:73], s[72:73], s[74:75]
	s_cmp_lg_u64 s[72:73], 0
	s_cbranch_scc1 .LBB117_69
; %bb.70:                               ;   in Loop: Header=BB117_13 Depth=1
	v_mbcnt_lo_u32_b32 v0, exec_lo, 0
	v_mbcnt_hi_u32_b32 v0, exec_hi, v0
	v_cmp_eq_u32_e32 vcc, 0, v0
	s_and_saveexec_b64 s[72:73], vcc
	s_xor_b64 s[72:73], exec, s[72:73]
	s_cbranch_execz .LBB117_72
; %bb.71:                               ;   in Loop: Header=BB117_13 Depth=1
	v_pk_mov_b32 v[22:23], s[22:23], s[22:23] op_sel:[0,1]
	ds_min_u64 v10, v[22:23] offset:6272
.LBB117_72:                             ;   in Loop: Header=BB117_13 Depth=1
	s_or_b64 exec, exec, s[20:21]
	s_waitcnt lgkmcnt(0)
	s_barrier
	ds_read_b32 v0, v48
	s_waitcnt lgkmcnt(0)
	s_barrier
	s_and_saveexec_b64 s[20:21], s[10:11]
	s_cbranch_execz .LBB117_74
; %bb.73:                               ;   in Loop: Header=BB117_13 Depth=1
	ds_read_b32 v9, v49
	s_waitcnt lgkmcnt(0)
	v_add_u32_e32 v0, v9, v0
.LBB117_74:                             ;   in Loop: Header=BB117_13 Depth=1
	s_or_b64 exec, exec, s[20:21]
	s_barrier
	ds_write_b32 v48, v0
	s_waitcnt lgkmcnt(0)
	s_barrier
	s_and_saveexec_b64 s[20:21], s[12:13]
	s_cbranch_execz .LBB117_76
; %bb.75:                               ;   in Loop: Header=BB117_13 Depth=1
	ds_read_b32 v9, v51
	s_waitcnt lgkmcnt(0)
	v_add_u32_e32 v0, v9, v0
.LBB117_76:                             ;   in Loop: Header=BB117_13 Depth=1
	s_or_b64 exec, exec, s[20:21]
	s_barrier
	ds_write_b32 v48, v0
	;; [unrolled: 12-line block ×5, first 2 shown]
	s_waitcnt lgkmcnt(0)
	s_barrier
	ds_read_b32 v11, v10 offset:6268
	v_mov_b32_e32 v9, 0
	s_and_saveexec_b64 s[20:21], s[8:9]
	s_cbranch_execz .LBB117_84
; %bb.83:                               ;   in Loop: Header=BB117_13 Depth=1
	ds_read_b32 v9, v49
.LBB117_84:                             ;   in Loop: Header=BB117_13 Depth=1
	s_or_b64 exec, exec, s[20:21]
	s_waitcnt lgkmcnt(0)
	v_cmp_eq_u32_e32 vcc, v0, v9
	s_and_b64 s[22:23], s[8:9], vcc
	s_barrier
	s_and_saveexec_b64 s[20:21], s[22:23]
	s_cbranch_execz .LBB117_86
; %bb.85:                               ;   in Loop: Header=BB117_13 Depth=1
	ds_write_b32 v48, v10
.LBB117_86:                             ;   in Loop: Header=BB117_13 Depth=1
	s_or_b64 exec, exec, s[20:21]
	s_waitcnt lgkmcnt(0)
	s_barrier
	s_and_saveexec_b64 s[20:21], s[2:3]
	s_cbranch_execz .LBB117_12
; %bb.87:                               ;   in Loop: Header=BB117_13 Depth=1
	v_add_co_u32_e32 v24, vcc, -1, v20
	s_add_u32 s72, s46, s70
	v_addc_co_u32_e32 v25, vcc, -1, v21, vcc
	s_addc_u32 s73, 0, s71
	s_mov_b64 s[22:23], 0
	v_mov_b32_e32 v26, v60
	v_mov_b32_e32 v27, v17
	v_pk_mov_b32 v[22:23], v[6:7], v[6:7] op_sel:[0,1]
	s_branch .LBB117_89
.LBB117_88:                             ;   in Loop: Header=BB117_89 Depth=2
	s_or_b64 exec, exec, s[70:71]
	v_add_co_u32_e32 v22, vcc, 16, v22
	v_addc_co_u32_e32 v23, vcc, 0, v23, vcc
	v_add_u32_e32 v0, -16, v22
	v_cmp_lt_u32_e32 vcc, 15, v0
	v_add_u32_e32 v27, 0x800, v27
	s_or_b64 s[22:23], vcc, s[22:23]
	v_add_u32_e32 v26, 64, v26
	s_andn2_b64 exec, exec, s[22:23]
	s_cbranch_execz .LBB117_12
.LBB117_89:                             ;   Parent Loop BB117_13 Depth=1
                                        ; =>  This Inner Loop Header: Depth=2
	ds_read_b32 v0, v26
	s_waitcnt lgkmcnt(0)
	v_cmp_ne_u32_e32 vcc, 0, v0
	s_and_saveexec_b64 s[70:71], vcc
	s_cbranch_execz .LBB117_88
; %bb.90:                               ;   in Loop: Header=BB117_89 Depth=2
	v_mov_b32_e32 v29, s73
	v_add_co_u32_e32 v28, vcc, s72, v22
	v_addc_co_u32_e32 v29, vcc, v29, v23, vcc
	v_ashrrev_i32_e32 v9, 31, v0
	v_add_co_u32_e32 v30, vcc, v20, v0
	v_addc_co_u32_e32 v31, vcc, v21, v9, vcc
	v_lshlrev_b64 v[30:31], 3, v[30:31]
	v_mov_b32_e32 v32, s93
	v_add_co_u32_e32 v30, vcc, s92, v30
	v_addc_co_u32_e32 v31, vcc, v32, v31, vcc
	global_store_dwordx2 v[30:31], v[28:29], off
	s_and_b64 exec, exec, s[62:63]
	s_cbranch_execz .LBB117_88
; %bb.91:                               ;   in Loop: Header=BB117_89 Depth=2
	v_add_co_u32_e32 v0, vcc, v24, v0
	v_addc_co_u32_e32 v9, vcc, v25, v9, vcc
	ds_read_b64 v[28:29], v27
	v_mul_lo_u32 v9, v9, s30
	v_mul_lo_u32 v32, v0, s31
	v_mad_u64_u32 v[30:31], s[74:75], v0, s30, 0
	v_add3_u32 v31, v31, v32, v9
	v_lshlrev_b64 v[30:31], 3, v[30:31]
	v_add_co_u32_e32 v30, vcc, v16, v30
	v_addc_co_u32_e32 v31, vcc, v1, v31, vcc
	s_waitcnt lgkmcnt(0)
	global_store_dwordx2 v[30:31], v[28:29], off
	s_branch .LBB117_88
.LBB117_92:
	s_endpgm
	.section	.rodata,"a",@progbits
	.p2align	6, 0x0
	.amdhsa_kernel _ZN9rocsparseL38bsrgemm_block_per_row_atomic_multipassILj256ELj32ELj4ElldEEv20rocsparse_direction_T3_S2_PKS2_S4_NS_24const_host_device_scalarIT4_EEPKT2_S4_PKS6_SA_S4_SC_S7_SA_S4_SC_SA_PS2_PS6_PS8_21rocsparse_index_base_SG_SG_SG_bbb
		.amdhsa_group_segment_fixed_size 6280
		.amdhsa_private_segment_fixed_size 0
		.amdhsa_kernarg_size 180
		.amdhsa_user_sgpr_count 6
		.amdhsa_user_sgpr_private_segment_buffer 1
		.amdhsa_user_sgpr_dispatch_ptr 0
		.amdhsa_user_sgpr_queue_ptr 0
		.amdhsa_user_sgpr_kernarg_segment_ptr 1
		.amdhsa_user_sgpr_dispatch_id 0
		.amdhsa_user_sgpr_flat_scratch_init 0
		.amdhsa_user_sgpr_kernarg_preload_length 0
		.amdhsa_user_sgpr_kernarg_preload_offset 0
		.amdhsa_user_sgpr_private_segment_size 0
		.amdhsa_uses_dynamic_stack 0
		.amdhsa_system_sgpr_private_segment_wavefront_offset 0
		.amdhsa_system_sgpr_workgroup_id_x 1
		.amdhsa_system_sgpr_workgroup_id_y 0
		.amdhsa_system_sgpr_workgroup_id_z 0
		.amdhsa_system_sgpr_workgroup_info 0
		.amdhsa_system_vgpr_workitem_id 0
		.amdhsa_next_free_vgpr 66
		.amdhsa_next_free_sgpr 94
		.amdhsa_accum_offset 68
		.amdhsa_reserve_vcc 1
		.amdhsa_reserve_flat_scratch 0
		.amdhsa_float_round_mode_32 0
		.amdhsa_float_round_mode_16_64 0
		.amdhsa_float_denorm_mode_32 3
		.amdhsa_float_denorm_mode_16_64 3
		.amdhsa_dx10_clamp 1
		.amdhsa_ieee_mode 1
		.amdhsa_fp16_overflow 0
		.amdhsa_tg_split 0
		.amdhsa_exception_fp_ieee_invalid_op 0
		.amdhsa_exception_fp_denorm_src 0
		.amdhsa_exception_fp_ieee_div_zero 0
		.amdhsa_exception_fp_ieee_overflow 0
		.amdhsa_exception_fp_ieee_underflow 0
		.amdhsa_exception_fp_ieee_inexact 0
		.amdhsa_exception_int_div_zero 0
	.end_amdhsa_kernel
	.section	.text._ZN9rocsparseL38bsrgemm_block_per_row_atomic_multipassILj256ELj32ELj4ElldEEv20rocsparse_direction_T3_S2_PKS2_S4_NS_24const_host_device_scalarIT4_EEPKT2_S4_PKS6_SA_S4_SC_S7_SA_S4_SC_SA_PS2_PS6_PS8_21rocsparse_index_base_SG_SG_SG_bbb,"axG",@progbits,_ZN9rocsparseL38bsrgemm_block_per_row_atomic_multipassILj256ELj32ELj4ElldEEv20rocsparse_direction_T3_S2_PKS2_S4_NS_24const_host_device_scalarIT4_EEPKT2_S4_PKS6_SA_S4_SC_S7_SA_S4_SC_SA_PS2_PS6_PS8_21rocsparse_index_base_SG_SG_SG_bbb,comdat
.Lfunc_end117:
	.size	_ZN9rocsparseL38bsrgemm_block_per_row_atomic_multipassILj256ELj32ELj4ElldEEv20rocsparse_direction_T3_S2_PKS2_S4_NS_24const_host_device_scalarIT4_EEPKT2_S4_PKS6_SA_S4_SC_S7_SA_S4_SC_SA_PS2_PS6_PS8_21rocsparse_index_base_SG_SG_SG_bbb, .Lfunc_end117-_ZN9rocsparseL38bsrgemm_block_per_row_atomic_multipassILj256ELj32ELj4ElldEEv20rocsparse_direction_T3_S2_PKS2_S4_NS_24const_host_device_scalarIT4_EEPKT2_S4_PKS6_SA_S4_SC_S7_SA_S4_SC_SA_PS2_PS6_PS8_21rocsparse_index_base_SG_SG_SG_bbb
                                        ; -- End function
	.section	.AMDGPU.csdata,"",@progbits
; Kernel info:
; codeLenInByte = 3560
; NumSgprs: 98
; NumVgprs: 66
; NumAgprs: 0
; TotalNumVgprs: 66
; ScratchSize: 0
; MemoryBound: 0
; FloatMode: 240
; IeeeMode: 1
; LDSByteSize: 6280 bytes/workgroup (compile time only)
; SGPRBlocks: 12
; VGPRBlocks: 8
; NumSGPRsForWavesPerEU: 98
; NumVGPRsForWavesPerEU: 66
; AccumOffset: 68
; Occupancy: 7
; WaveLimiterHint : 1
; COMPUTE_PGM_RSRC2:SCRATCH_EN: 0
; COMPUTE_PGM_RSRC2:USER_SGPR: 6
; COMPUTE_PGM_RSRC2:TRAP_HANDLER: 0
; COMPUTE_PGM_RSRC2:TGID_X_EN: 1
; COMPUTE_PGM_RSRC2:TGID_Y_EN: 0
; COMPUTE_PGM_RSRC2:TGID_Z_EN: 0
; COMPUTE_PGM_RSRC2:TIDIG_COMP_CNT: 0
; COMPUTE_PGM_RSRC3_GFX90A:ACCUM_OFFSET: 16
; COMPUTE_PGM_RSRC3_GFX90A:TG_SPLIT: 0
	.section	.text._ZN9rocsparseL38bsrgemm_block_per_row_atomic_multipassILj256ELj64ELj4ElldEEv20rocsparse_direction_T3_S2_PKS2_S4_NS_24const_host_device_scalarIT4_EEPKT2_S4_PKS6_SA_S4_SC_S7_SA_S4_SC_SA_PS2_PS6_PS8_21rocsparse_index_base_SG_SG_SG_bbb,"axG",@progbits,_ZN9rocsparseL38bsrgemm_block_per_row_atomic_multipassILj256ELj64ELj4ElldEEv20rocsparse_direction_T3_S2_PKS2_S4_NS_24const_host_device_scalarIT4_EEPKT2_S4_PKS6_SA_S4_SC_S7_SA_S4_SC_SA_PS2_PS6_PS8_21rocsparse_index_base_SG_SG_SG_bbb,comdat
	.globl	_ZN9rocsparseL38bsrgemm_block_per_row_atomic_multipassILj256ELj64ELj4ElldEEv20rocsparse_direction_T3_S2_PKS2_S4_NS_24const_host_device_scalarIT4_EEPKT2_S4_PKS6_SA_S4_SC_S7_SA_S4_SC_SA_PS2_PS6_PS8_21rocsparse_index_base_SG_SG_SG_bbb ; -- Begin function _ZN9rocsparseL38bsrgemm_block_per_row_atomic_multipassILj256ELj64ELj4ElldEEv20rocsparse_direction_T3_S2_PKS2_S4_NS_24const_host_device_scalarIT4_EEPKT2_S4_PKS6_SA_S4_SC_S7_SA_S4_SC_SA_PS2_PS6_PS8_21rocsparse_index_base_SG_SG_SG_bbb
	.p2align	8
	.type	_ZN9rocsparseL38bsrgemm_block_per_row_atomic_multipassILj256ELj64ELj4ElldEEv20rocsparse_direction_T3_S2_PKS2_S4_NS_24const_host_device_scalarIT4_EEPKT2_S4_PKS6_SA_S4_SC_S7_SA_S4_SC_SA_PS2_PS6_PS8_21rocsparse_index_base_SG_SG_SG_bbb,@function
_ZN9rocsparseL38bsrgemm_block_per_row_atomic_multipassILj256ELj64ELj4ElldEEv20rocsparse_direction_T3_S2_PKS2_S4_NS_24const_host_device_scalarIT4_EEPKT2_S4_PKS6_SA_S4_SC_S7_SA_S4_SC_SA_PS2_PS6_PS8_21rocsparse_index_base_SG_SG_SG_bbb: ; @_ZN9rocsparseL38bsrgemm_block_per_row_atomic_multipassILj256ELj64ELj4ElldEEv20rocsparse_direction_T3_S2_PKS2_S4_NS_24const_host_device_scalarIT4_EEPKT2_S4_PKS6_SA_S4_SC_S7_SA_S4_SC_SA_PS2_PS6_PS8_21rocsparse_index_base_SG_SG_SG_bbb
; %bb.0:
	s_load_dword s7, s[4:5], 0xb0
	s_load_dwordx4 s[44:47], s[4:5], 0xa0
	s_load_dwordx2 s[8:9], s[4:5], 0x28
	s_waitcnt lgkmcnt(0)
	s_and_b32 s0, 1, s7
	s_bitcmp1_b32 s7, 16
	s_cselect_b64 s[2:3], -1, 0
	s_cmp_eq_u32 s0, 1
	s_load_dwordx2 s[0:1], s[4:5], 0x60
	s_cselect_b64 s[12:13], -1, 0
	s_and_b64 s[10:11], s[12:13], exec
	s_cselect_b32 s11, s9, 0
	s_cselect_b32 s10, s8, 0
	s_xor_b64 s[14:15], s[12:13], -1
	s_or_b64 s[14:15], s[14:15], s[2:3]
	s_and_b64 vcc, exec, s[14:15]
	v_pk_mov_b32 v[2:3], s[10:11], s[10:11] op_sel:[0,1]
	s_cbranch_vccnz .LBB118_2
; %bb.1:
	v_pk_mov_b32 v[2:3], s[8:9], s[8:9] op_sel:[0,1]
	flat_load_dwordx2 v[2:3], v[2:3]
.LBB118_2:
	s_bitcmp1_b32 s7, 8
	s_load_dwordx2 s[8:9], s[4:5], 0x20
	s_cselect_b64 s[34:35], -1, 0
	s_and_b64 s[10:11], s[34:35], exec
	s_waitcnt lgkmcnt(0)
	s_cselect_b32 s11, s1, 0
	s_cselect_b32 s10, s0, 0
	s_xor_b64 s[14:15], s[34:35], -1
	s_or_b64 s[2:3], s[14:15], s[2:3]
	s_and_b64 vcc, exec, s[2:3]
	v_pk_mov_b32 v[4:5], s[10:11], s[10:11] op_sel:[0,1]
	s_cbranch_vccnz .LBB118_4
; %bb.3:
	v_pk_mov_b32 v[4:5], s[0:1], s[0:1] op_sel:[0,1]
	flat_load_dwordx2 v[4:5], v[4:5]
.LBB118_4:
	s_load_dwordx2 s[2:3], s[4:5], 0x30
	s_mov_b64 s[56:57], 0
	s_cmp_eq_u64 s[8:9], 0
	s_mov_b32 s7, 0
	s_cbranch_scc1 .LBB118_6
; %bb.5:
	s_load_dwordx2 s[0:1], s[4:5], 0x18
	s_waitcnt lgkmcnt(0)
	s_load_dwordx2 s[0:1], s[0:1], 0x0
	s_waitcnt lgkmcnt(0)
	s_lshl_b64 s[0:1], s[0:1], 3
	s_add_u32 s8, s8, s0
	s_addc_u32 s9, s9, s1
	s_lshl_b64 s[0:1], s[6:7], 3
	s_add_u32 s0, s8, s0
	s_addc_u32 s1, s9, s1
	s_load_dwordx2 s[6:7], s[0:1], 0x0
.LBB118_6:
	v_cndmask_b32_e64 v1, 0, 1, s[12:13]
	v_cmp_ne_u32_e64 s[0:1], 1, v1
	s_andn2_b64 vcc, exec, s[12:13]
	s_cbranch_vccz .LBB118_9
; %bb.7:
	s_and_b64 vcc, exec, s[0:1]
	s_mov_b64 s[58:59], 0
	s_cbranch_vccz .LBB118_10
.LBB118_8:
	s_load_dwordx4 s[48:51], s[4:5], 0x8
	s_waitcnt lgkmcnt(0)
	v_cmp_lt_i64_e64 s[0:1], s[48:49], 1
	s_and_b64 vcc, exec, s[0:1]
	s_cbranch_vccz .LBB118_11
	s_branch .LBB118_92
.LBB118_9:
	s_waitcnt lgkmcnt(0)
	s_lshl_b64 s[8:9], s[6:7], 3
	s_add_u32 s8, s2, s8
	s_addc_u32 s9, s3, s9
	s_load_dwordx2 s[8:9], s[8:9], 0x0
	s_waitcnt lgkmcnt(0)
	s_sub_u32 s56, s8, s44
	s_subb_u32 s57, s9, 0
	s_and_b64 vcc, exec, s[0:1]
	s_mov_b64 s[58:59], 0
	s_cbranch_vccnz .LBB118_8
.LBB118_10:
	s_waitcnt lgkmcnt(0)
	s_lshl_b64 s[0:1], s[6:7], 3
	s_add_u32 s0, s2, s0
	s_addc_u32 s1, s3, s1
	s_load_dwordx2 s[0:1], s[0:1], 0x8
	s_waitcnt lgkmcnt(0)
	s_sub_u32 s58, s0, s44
	s_subb_u32 s59, s1, 0
	s_load_dwordx4 s[48:51], s[4:5], 0x8
	s_waitcnt lgkmcnt(0)
	v_cmp_lt_i64_e64 s[0:1], s[48:49], 1
	s_and_b64 vcc, exec, s[0:1]
	s_cbranch_vccnz .LBB118_92
.LBB118_11:
	s_load_dwordx2 s[60:61], s[4:5], 0x98
	s_load_dwordx4 s[52:55], s[4:5], 0x88
	s_load_dwordx8 s[24:31], s[4:5], 0x68
	s_load_dwordx2 s[62:63], s[4:5], 0x58
	s_load_dwordx8 s[36:43], s[4:5], 0x38
	s_lshl_b64 s[6:7], s[6:7], 3
	s_load_dword s14, s[4:5], 0x0
	s_waitcnt lgkmcnt(0)
	s_add_u32 s0, s30, s6
	s_addc_u32 s1, s31, s7
	s_load_dwordx2 s[0:1], s[0:1], 0x0
	s_mul_i32 s4, s50, s51
	s_mul_hi_u32 s5, s50, s50
	v_bfe_u32 v16, v0, 2, 2
	v_pk_mov_b32 v[10:11], s[58:59], s[58:59] op_sel:[0,1]
	s_waitcnt lgkmcnt(0)
	s_sub_u32 s22, s0, s46
	s_subb_u32 s23, s1, 0
	s_add_i32 s5, s5, s4
	v_cmp_lt_i64_e32 vcc, s[56:57], v[10:11]
	s_add_i32 s31, s5, s4
	v_mad_u64_u32 v[10:11], s[4:5], v16, s50, 0
	v_lshlrev_b32_e32 v13, 3, v0
	v_mov_b32_e32 v12, v11
	v_mad_u64_u32 v[14:15], s[4:5], v16, s51, v[12:13]
	v_mov_b32_e32 v11, v14
	v_lshlrev_b64 v[14:15], 3, v[10:11]
	v_and_b32_e32 v8, 3, v0
	v_mov_b32_e32 v10, s39
	v_add_co_u32_e64 v12, s[4:5], s38, v14
	v_addc_co_u32_e64 v18, s[4:5], v10, v15, s[4:5]
	v_lshlrev_b32_e32 v10, 3, v8
	v_mov_b32_e32 v7, 0
	v_add_co_u32_e64 v43, s[4:5], v12, v10
	v_mov_b32_e32 v9, v7
	v_mov_b32_e32 v17, v7
	v_addc_co_u32_e64 v44, s[4:5], 0, v18, s[4:5]
	v_cmp_gt_i64_e64 s[10:11], s[50:51], v[8:9]
	v_cmp_gt_i64_e64 s[4:5], s[50:51], v[16:17]
	s_and_b64 s[38:39], s[10:11], s[4:5]
	v_mad_u64_u32 v[18:19], s[4:5], v8, s50, 0
	v_mov_b32_e32 v12, v19
	v_mad_u64_u32 v[20:21], s[4:5], v8, s51, v[12:13]
	v_mov_b32_e32 v19, v20
	v_lshlrev_b64 v[18:19], 3, v[18:19]
	v_mov_b32_e32 v9, s55
	v_add_co_u32_e64 v12, s[4:5], s54, v18
	v_cmp_gt_u64_e64 s[8:9], s[50:51], v[16:17]
	v_lshlrev_b64 v[20:21], 3, v[16:17]
	v_addc_co_u32_e64 v17, s[4:5], v9, v19, s[4:5]
	v_add_co_u32_e64 v12, s[4:5], v12, v20
	v_addc_co_u32_e64 v17, s[4:5], v17, v21, s[4:5]
	v_add_co_u32_e64 v22, s[4:5], s54, v14
	;; [unrolled: 2-line block ×3, first 2 shown]
	v_lshrrev_b32_e32 v6, 4, v0
	v_addc_co_u32_e64 v9, s[4:5], 0, v9, s[4:5]
	v_subrev_co_u32_e64 v46, s[4:5], s47, v6
	v_subb_co_u32_e64 v47, s[4:5], 0, 0, s[4:5]
	v_mov_b32_e32 v23, s29
	v_add_co_u32_e64 v18, s[4:5], s28, v18
	v_addc_co_u32_e64 v19, s[4:5], v23, v19, s[4:5]
	v_add_co_u32_e64 v18, s[4:5], v18, v20
	v_addc_co_u32_e64 v19, s[4:5], v19, v21, s[4:5]
	;; [unrolled: 2-line block ×3, first 2 shown]
	s_cmp_eq_u32 s14, 0
	v_add_co_u32_e64 v14, s[4:5], v14, v10
	v_and_b32_e32 v1, 15, v0
	s_cselect_b64 s[20:21], -1, 0
	s_cmp_lg_u32 s14, 0
	v_addc_co_u32_e64 v15, s[4:5], 0, v15, s[4:5]
	v_mov_b32_e32 v23, 0x2800
	v_cmp_gt_u32_e64 s[0:1], 64, v0
	v_cmp_eq_u32_e64 s[2:3], 0, v0
	s_cselect_b64 s[54:55], -1, 0
	v_and_b32_e32 v45, 12, v0
	s_add_u32 s24, s24, s6
	v_cmp_eq_u32_e64 s[4:5], 15, v1
	v_and_b32_e32 v1, 63, v0
	v_lshl_or_b32 v50, v0, 2, v23
	v_or_b32_e32 v56, 0xffffff00, v0
	v_lshlrev_b32_e32 v0, 3, v16
	s_addc_u32 s25, s25, s7
	s_and_b64 s[28:29], s[12:13], vcc
	s_and_b64 s[64:65], s[10:11], s[8:9]
	v_lshl_or_b32 v0, v6, 7, v0
	s_mov_b32 s89, s47
	s_add_u32 s47, s40, 8
	v_add_u32_e32 v57, 0x2000, v0
	v_mov_b32_e32 v0, s63
	v_add_co_u32_e32 v16, vcc, s62, v10
	v_lshlrev_b32_e32 v20, 2, v1
	v_add_co_u32_e64 v21, s[6:7], -1, v1
	v_cmp_ne_u32_e64 s[8:9], 0, v1
	v_cmp_lt_u32_e64 s[10:11], 1, v1
	v_cmp_lt_u32_e64 s[12:13], 3, v1
	;; [unrolled: 1-line block ×5, first 2 shown]
	v_cndmask_b32_e64 v1, v17, v9, s[20:21]
	s_addc_u32 s91, s41, 0
	v_addc_co_u32_e32 v17, vcc, 0, v0, vcc
	s_mov_b32 s33, 0
	s_mul_i32 s30, s50, s50
	v_lshl_add_u32 v49, v21, 2, v23
	v_cndmask_b32_e64 v12, v12, v22, s[20:21]
	s_add_u32 s92, s52, -8
	v_and_b32_e32 v0, 0x7e0, v13
	v_add_co_u32_e32 v59, vcc, 16, v46
	v_lshl_or_b32 v61, v6, 2, v23
	v_mov_b32_e32 v22, 64
	v_or_b32_e32 v42, 0x2000, v13
	v_mov_b32_e32 v11, v7
	s_mov_b32 s88, s33
	s_mov_b32 s90, s33
	v_or_b32_e32 v48, 0x2800, v20
	v_add_u32_e32 v51, 0x27f8, v20
	v_add_u32_e32 v52, 0x27f0, v20
	;; [unrolled: 1-line block ×5, first 2 shown]
	v_cndmask_b32_e64 v15, v19, v15, s[20:21]
	v_cndmask_b32_e64 v14, v18, v14, s[20:21]
	s_addc_u32 s93, s53, -1
	s_lshl_b64 s[52:53], s[50:51], 3
	s_lshl_b64 s[66:67], s[30:31], 3
	v_or_b32_e32 v58, 0x2000, v0
	s_lshl_b64 s[68:69], s[30:31], 7
	v_addc_co_u32_e32 v60, vcc, 0, v47, vcc
	s_mov_b64 s[70:71], 0
	v_mov_b32_e32 v23, 0
	v_pk_mov_b32 v[18:19], s[22:23], s[22:23] op_sel:[0,1]
	s_movk_i32 s94, 0x2ff
	v_mov_b32_e32 v62, 1
	v_mov_b32_e32 v20, v7
	;; [unrolled: 1-line block ×3, first 2 shown]
	s_branch .LBB118_13
.LBB118_12:                             ;   in Loop: Header=BB118_13 Depth=1
	s_or_b64 exec, exec, s[20:21]
	s_barrier
	ds_read_b64 v[26:27], v7 offset:10496
	v_ashrrev_i32_e32 v0, 31, v24
	v_add_co_u32_e32 v18, vcc, v18, v24
	v_addc_co_u32_e32 v19, vcc, v19, v0, vcc
	s_waitcnt lgkmcnt(0)
	v_add_co_u32_e32 v22, vcc, 64, v26
	v_addc_co_u32_e32 v23, vcc, 0, v27, vcc
	v_cmp_le_i64_e32 vcc, s[48:49], v[26:27]
	v_readfirstlane_b32 s70, v26
	v_readfirstlane_b32 s71, v27
	s_barrier
	s_cbranch_vccnz .LBB118_92
.LBB118_13:                             ; =>This Loop Header: Depth=1
                                        ;     Child Loop BB118_16 Depth 2
                                        ;     Child Loop BB118_22 Depth 2
                                        ;       Child Loop BB118_37 Depth 3
                                        ;         Child Loop BB118_49 Depth 4
                                        ;         Child Loop BB118_45 Depth 4
                                        ;     Child Loop BB118_59 Depth 2
                                        ;     Child Loop BB118_68 Depth 2
	;; [unrolled: 1-line block ×3, first 2 shown]
	s_and_saveexec_b64 s[20:21], s[0:1]
	s_cbranch_execz .LBB118_15
; %bb.14:                               ;   in Loop: Header=BB118_13 Depth=1
	ds_write_b32 v50, v7
.LBB118_15:                             ;   in Loop: Header=BB118_13 Depth=1
	s_or_b64 exec, exec, s[20:21]
	s_mov_b64 s[20:21], 0
	v_mov_b32_e32 v0, v13
	v_mov_b32_e32 v9, v56
.LBB118_16:                             ;   Parent Loop BB118_13 Depth=1
                                        ; =>  This Inner Loop Header: Depth=2
	v_add_u32_e32 v9, 0x100, v9
	v_cmp_lt_u32_e32 vcc, s94, v9
	ds_write_b64 v0, v[20:21]
	s_or_b64 s[20:21], vcc, s[20:21]
	v_add_u32_e32 v0, 0x800, v0
	s_andn2_b64 exec, exec, s[20:21]
	s_cbranch_execnz .LBB118_16
; %bb.17:                               ;   in Loop: Header=BB118_13 Depth=1
	s_or_b64 exec, exec, s[20:21]
	s_and_saveexec_b64 s[20:21], s[2:3]
	s_cbranch_execz .LBB118_19
; %bb.18:                               ;   in Loop: Header=BB118_13 Depth=1
	v_pk_mov_b32 v[24:25], s[48:49], s[48:49] op_sel:[0,1]
	ds_write_b64 v7, v[24:25] offset:10496
.LBB118_19:                             ;   in Loop: Header=BB118_13 Depth=1
	s_or_b64 exec, exec, s[20:21]
	s_andn2_b64 vcc, exec, s[28:29]
	v_pk_mov_b32 v[24:25], s[48:49], s[48:49] op_sel:[0,1]
	s_waitcnt lgkmcnt(0)
	s_barrier
	s_cbranch_vccnz .LBB118_54
; %bb.20:                               ;   in Loop: Header=BB118_13 Depth=1
	s_cmp_lg_u64 s[70:71], 0
	s_cselect_b64 s[72:73], -1, 0
	v_pk_mov_b32 v[24:25], s[48:49], s[48:49] op_sel:[0,1]
	s_mov_b64 s[74:75], s[56:57]
	s_branch .LBB118_22
.LBB118_21:                             ;   in Loop: Header=BB118_22 Depth=2
	s_or_b64 exec, exec, s[22:23]
	s_add_u32 s74, s74, 16
	s_addc_u32 s75, s75, 0
	v_pk_mov_b32 v[26:27], s[58:59], s[58:59] op_sel:[0,1]
	v_cmp_lt_i64_e32 vcc, s[74:75], v[26:27]
	s_cbranch_vccz .LBB118_54
.LBB118_22:                             ;   Parent Loop BB118_13 Depth=1
                                        ; =>  This Loop Header: Depth=2
                                        ;       Child Loop BB118_37 Depth 3
                                        ;         Child Loop BB118_49 Depth 4
                                        ;         Child Loop BB118_45 Depth 4
	v_mov_b32_e32 v0, s75
	v_add_co_u32_e32 v26, vcc, s74, v6
	v_addc_co_u32_e32 v27, vcc, 0, v0, vcc
	v_cmp_gt_i64_e64 s[20:21], s[58:59], v[26:27]
	s_barrier
	s_and_saveexec_b64 s[22:23], s[20:21]
	s_cbranch_execz .LBB118_26
; %bb.23:                               ;   in Loop: Header=BB118_22 Depth=2
	v_pk_mov_b32 v[28:29], 0, 0
	s_and_saveexec_b64 s[76:77], s[64:65]
	s_cbranch_execz .LBB118_25
; %bb.24:                               ;   in Loop: Header=BB118_22 Depth=2
	v_mul_lo_u32 v0, v27, s30
	v_mul_lo_u32 v9, v26, s31
	v_mad_u64_u32 v[28:29], s[78:79], v26, s30, 0
	v_add3_u32 v29, v29, v9, v0
	v_lshlrev_b64 v[28:29], 3, v[28:29]
	v_add_co_u32_e32 v28, vcc, v43, v28
	v_addc_co_u32_e32 v29, vcc, v44, v29, vcc
	global_load_dwordx2 v[28:29], v[28:29], off
.LBB118_25:                             ;   in Loop: Header=BB118_22 Depth=2
	s_or_b64 exec, exec, s[76:77]
	s_waitcnt vmcnt(0)
	ds_write_b64 v42, v[28:29]
.LBB118_26:                             ;   in Loop: Header=BB118_22 Depth=2
	s_or_b64 exec, exec, s[22:23]
	v_pk_mov_b32 v[28:29], 0, 0
	v_lshlrev_b64 v[26:27], 3, v[26:27]
	s_waitcnt lgkmcnt(0)
	s_barrier
	s_and_saveexec_b64 s[76:77], s[20:21]
	s_cbranch_execz .LBB118_52
; %bb.27:                               ;   in Loop: Header=BB118_22 Depth=2
	v_mov_b32_e32 v0, s37
	v_add_co_u32_e32 v28, vcc, s36, v26
	v_addc_co_u32_e32 v29, vcc, v0, v27, vcc
	global_load_dwordx2 v[30:31], v[28:29], off
	s_and_b64 vcc, exec, s[72:73]
	s_cbranch_vccz .LBB118_29
; %bb.28:                               ;   in Loop: Header=BB118_22 Depth=2
	v_mov_b32_e32 v0, s61
	v_add_co_u32_e32 v28, vcc, s60, v26
	v_addc_co_u32_e32 v29, vcc, v0, v27, vcc
	global_load_dwordx2 v[28:29], v[28:29], off
	s_mov_b64 s[22:23], 0
	s_branch .LBB118_30
.LBB118_29:                             ;   in Loop: Header=BB118_22 Depth=2
	s_mov_b64 s[22:23], -1
                                        ; implicit-def: $vgpr28_vgpr29
.LBB118_30:                             ;   in Loop: Header=BB118_22 Depth=2
	v_mov_b32_e32 v0, s88
	s_waitcnt vmcnt(0)
	v_subrev_co_u32_e32 v30, vcc, s44, v30
	v_subb_co_u32_e32 v31, vcc, v31, v0, vcc
	s_andn2_b64 vcc, exec, s[22:23]
	v_lshlrev_b64 v[30:31], 3, v[30:31]
	s_cbranch_vccnz .LBB118_32
; %bb.31:                               ;   in Loop: Header=BB118_22 Depth=2
	v_mov_b32_e32 v0, s41
	v_add_co_u32_e32 v28, vcc, s40, v30
	v_addc_co_u32_e32 v29, vcc, v0, v31, vcc
	global_load_dwordx2 v[28:29], v[28:29], off
	v_mov_b32_e32 v0, s33
	s_waitcnt vmcnt(0)
	v_subrev_co_u32_e32 v28, vcc, s45, v28
	v_subb_co_u32_e32 v29, vcc, v29, v0, vcc
.LBB118_32:                             ;   in Loop: Header=BB118_22 Depth=2
	v_mov_b32_e32 v0, s91
	v_add_co_u32_e32 v30, vcc, s47, v30
	v_addc_co_u32_e32 v31, vcc, v0, v31, vcc
	global_load_dwordx2 v[30:31], v[30:31], off
	v_mov_b32_e32 v0, s33
	s_waitcnt vmcnt(0)
	v_subrev_co_u32_e32 v30, vcc, s45, v30
	v_subb_co_u32_e32 v31, vcc, v31, v0, vcc
	v_cmp_lt_i64_e32 vcc, v[28:29], v[30:31]
	s_and_saveexec_b64 s[78:79], vcc
	s_cbranch_execz .LBB118_51
; %bb.33:                               ;   in Loop: Header=BB118_22 Depth=2
	v_mad_u64_u32 v[32:33], s[22:23], s52, v28, v[10:11]
	v_mul_lo_u32 v0, s52, v29
	v_mul_lo_u32 v9, s53, v28
	v_add3_u32 v0, v9, v33, v0
	v_pk_mov_b32 v[34:35], s[62:63], s[62:63] op_sel:[0,1]
	v_mul_lo_u32 v9, s51, v32
	v_mul_lo_u32 v0, s50, v0
	v_mad_u64_u32 v[32:33], s[22:23], s50, v32, v[34:35]
	v_add3_u32 v33, v9, v33, v0
	v_mad_u64_u32 v[34:35], s[22:23], s66, v28, v[16:17]
	v_mul_lo_u32 v0, s66, v29
	v_mul_lo_u32 v9, s67, v28
	v_add3_u32 v35, v9, v35, v0
	s_mov_b64 s[80:81], 0
	v_pk_mov_b32 v[36:37], v[28:29], v[28:29] op_sel:[0,1]
	s_branch .LBB118_37
.LBB118_34:                             ;   in Loop: Header=BB118_37 Depth=3
	v_lshlrev_b32_e32 v0, 4, v0
	v_or3_b32 v0, v0, v45, v8
	v_lshlrev_b32_e32 v0, 3, v0
	v_mul_f64 v[38:39], v[2:3], v[38:39]
	ds_add_f64 v0, v[38:39]
.LBB118_35:                             ;   in Loop: Header=BB118_37 Depth=3
	s_or_b64 exec, exec, s[84:85]
	s_or_b64 s[22:23], s[22:23], exec
.LBB118_36:                             ;   in Loop: Header=BB118_37 Depth=3
	s_or_b64 exec, exec, s[82:83]
	v_add_co_u32_e32 v28, vcc, 1, v28
	v_addc_co_u32_e32 v29, vcc, 0, v29, vcc
	v_cmp_ge_i64_e32 vcc, v[28:29], v[30:31]
	s_xor_b64 s[22:23], s[22:23], -1
	s_or_b64 s[22:23], s[22:23], vcc
	v_mov_b32_e32 v0, s67
	v_add_co_u32_e32 v32, vcc, s66, v32
	v_addc_co_u32_e32 v33, vcc, v33, v0, vcc
	s_and_b64 s[22:23], exec, s[22:23]
	v_add_co_u32_e32 v34, vcc, s66, v34
	s_or_b64 s[80:81], s[22:23], s[80:81]
	v_addc_co_u32_e32 v35, vcc, v35, v0, vcc
	s_andn2_b64 exec, exec, s[80:81]
	s_cbranch_execz .LBB118_50
.LBB118_37:                             ;   Parent Loop BB118_13 Depth=1
                                        ;     Parent Loop BB118_22 Depth=2
                                        ; =>    This Loop Header: Depth=3
                                        ;         Child Loop BB118_49 Depth 4
                                        ;         Child Loop BB118_45 Depth 4
	v_lshlrev_b64 v[38:39], 3, v[28:29]
	v_mov_b32_e32 v0, s43
	v_add_co_u32_e32 v38, vcc, s42, v38
	v_addc_co_u32_e32 v39, vcc, v0, v39, vcc
	global_load_dwordx2 v[38:39], v[38:39], off
	v_mov_b32_e32 v0, s33
	s_waitcnt vmcnt(0)
	v_subrev_co_u32_e32 v38, vcc, s45, v38
	v_subb_co_u32_e32 v39, vcc, v39, v0, vcc
	v_cmp_gt_i64_e64 s[22:23], s[70:71], v[38:39]
	v_cmp_ge_i64_e32 vcc, v[38:39], v[22:23]
	s_or_b64 s[82:83], s[22:23], vcc
                                        ; implicit-def: $sgpr22_sgpr23
	s_and_saveexec_b64 s[84:85], s[82:83]
	s_xor_b64 s[82:83], exec, s[84:85]
	s_cbranch_execz .LBB118_41
; %bb.38:                               ;   in Loop: Header=BB118_37 Depth=3
	s_mov_b64 s[22:23], -1
	s_and_saveexec_b64 s[84:85], vcc
; %bb.39:                               ;   in Loop: Header=BB118_37 Depth=3
	v_cmp_lt_i64_e32 vcc, v[38:39], v[24:25]
	v_cndmask_b32_e32 v25, v25, v39, vcc
	v_cndmask_b32_e32 v24, v24, v38, vcc
	s_xor_b64 s[22:23], exec, -1
	v_pk_mov_b32 v[36:37], v[28:29], v[28:29] op_sel:[0,1]
; %bb.40:                               ;   in Loop: Header=BB118_37 Depth=3
	s_or_b64 exec, exec, s[84:85]
	s_and_b64 s[22:23], s[22:23], exec
                                        ; implicit-def: $vgpr38_vgpr39
.LBB118_41:                             ;   in Loop: Header=BB118_37 Depth=3
	s_andn2_saveexec_b64 s[82:83], s[82:83]
	s_cbranch_execz .LBB118_36
; %bb.42:                               ;   in Loop: Header=BB118_37 Depth=3
	v_subrev_u32_e32 v0, s70, v38
	v_lshlrev_b32_e32 v9, 2, v0
	ds_write_b32 v9, v62 offset:10240
	s_and_saveexec_b64 s[84:85], s[38:39]
	s_cbranch_execz .LBB118_35
; %bb.43:                               ;   in Loop: Header=BB118_37 Depth=3
	s_andn2_b64 vcc, exec, s[54:55]
	s_cbranch_vccnz .LBB118_47
; %bb.44:                               ;   in Loop: Header=BB118_37 Depth=3
	v_pk_mov_b32 v[38:39], 0, 0
	v_mov_b32_e32 v9, v57
	s_mov_b64 s[86:87], s[50:51]
	v_pk_mov_b32 v[40:41], v[32:33], v[32:33] op_sel:[0,1]
.LBB118_45:                             ;   Parent Loop BB118_13 Depth=1
                                        ;     Parent Loop BB118_22 Depth=2
                                        ;       Parent Loop BB118_37 Depth=3
                                        ; =>      This Inner Loop Header: Depth=4
	global_load_dwordx2 v[64:65], v[40:41], off
	ds_read_b64 v[66:67], v9
	s_add_u32 s86, s86, -1
	v_add_co_u32_e32 v40, vcc, 8, v40
	s_addc_u32 s87, s87, -1
	v_addc_co_u32_e32 v41, vcc, 0, v41, vcc
	v_add_u32_e32 v9, 32, v9
	s_cmp_lg_u64 s[86:87], 0
	s_waitcnt vmcnt(0) lgkmcnt(0)
	v_fmac_f64_e32 v[38:39], v[66:67], v[64:65]
	s_cbranch_scc1 .LBB118_45
; %bb.46:                               ;   in Loop: Header=BB118_37 Depth=3
	s_branch .LBB118_34
.LBB118_47:                             ;   in Loop: Header=BB118_37 Depth=3
                                        ; implicit-def: $vgpr38_vgpr39
	s_cbranch_execz .LBB118_34
; %bb.48:                               ;   in Loop: Header=BB118_37 Depth=3
	v_pk_mov_b32 v[38:39], 0, 0
	v_mov_b32_e32 v9, v58
	v_pk_mov_b32 v[40:41], v[34:35], v[34:35] op_sel:[0,1]
	s_mov_b64 s[86:87], s[50:51]
.LBB118_49:                             ;   Parent Loop BB118_13 Depth=1
                                        ;     Parent Loop BB118_22 Depth=2
                                        ;       Parent Loop BB118_37 Depth=3
                                        ; =>      This Inner Loop Header: Depth=4
	global_load_dwordx2 v[64:65], v[40:41], off
	ds_read_b64 v[66:67], v9
	s_add_u32 s86, s86, -1
	v_mov_b32_e32 v63, s53
	v_add_co_u32_e32 v40, vcc, s52, v40
	s_addc_u32 s87, s87, -1
	v_add_u32_e32 v9, 8, v9
	v_addc_co_u32_e32 v41, vcc, v41, v63, vcc
	s_cmp_eq_u64 s[86:87], 0
	s_waitcnt vmcnt(0) lgkmcnt(0)
	v_fmac_f64_e32 v[38:39], v[66:67], v[64:65]
	s_cbranch_scc0 .LBB118_49
	s_branch .LBB118_34
.LBB118_50:                             ;   in Loop: Header=BB118_22 Depth=2
	s_or_b64 exec, exec, s[80:81]
	v_pk_mov_b32 v[28:29], v[36:37], v[36:37] op_sel:[0,1]
.LBB118_51:                             ;   in Loop: Header=BB118_22 Depth=2
	s_or_b64 exec, exec, s[78:79]
.LBB118_52:                             ;   in Loop: Header=BB118_22 Depth=2
	s_or_b64 exec, exec, s[76:77]
	s_waitcnt lgkmcnt(0)
	s_barrier
	s_and_saveexec_b64 s[22:23], s[20:21]
	s_cbranch_execz .LBB118_21
; %bb.53:                               ;   in Loop: Header=BB118_22 Depth=2
	v_mov_b32_e32 v0, s61
	v_add_co_u32_e32 v26, vcc, s60, v26
	v_addc_co_u32_e32 v27, vcc, v0, v27, vcc
	global_store_dwordx2 v[26:27], v[28:29], off
	s_branch .LBB118_21
.LBB118_54:                             ;   in Loop: Header=BB118_13 Depth=1
	s_andn2_b64 vcc, exec, s[34:35]
	s_cbranch_vccnz .LBB118_66
; %bb.55:                               ;   in Loop: Header=BB118_13 Depth=1
	s_load_dwordx4 s[20:23], s[24:25], 0x0
	s_waitcnt lgkmcnt(0)
	s_sub_u32 s22, s22, s89
	v_mov_b32_e32 v0, s21
	v_add_co_u32_e32 v30, vcc, s20, v46
	s_subb_u32 s23, s23, 0
	v_addc_co_u32_e32 v31, vcc, v0, v47, vcc
	v_cmp_gt_i64_e32 vcc, s[22:23], v[30:31]
	s_and_saveexec_b64 s[72:73], vcc
	s_cbranch_execz .LBB118_65
; %bb.56:                               ;   in Loop: Header=BB118_13 Depth=1
	v_lshlrev_b64 v[26:27], 3, v[30:31]
	v_mov_b32_e32 v0, s27
	v_add_co_u32_e32 v26, vcc, s26, v26
	v_addc_co_u32_e32 v27, vcc, v0, v27, vcc
	v_mad_u64_u32 v[28:29], s[74:75], s66, v30, v[14:15]
	v_mul_lo_u32 v0, s66, v31
	v_mul_lo_u32 v9, s67, v30
	v_add3_u32 v29, v9, v29, v0
	v_mov_b32_e32 v0, s21
	v_add_co_u32_e32 v30, vcc, s20, v59
	v_addc_co_u32_e32 v31, vcc, v60, v0, vcc
	s_mov_b64 s[74:75], 0
	s_branch .LBB118_59
.LBB118_57:                             ;   in Loop: Header=BB118_59 Depth=2
	s_or_b64 exec, exec, s[78:79]
	s_or_b64 s[20:21], s[20:21], exec
.LBB118_58:                             ;   in Loop: Header=BB118_59 Depth=2
	s_or_b64 exec, exec, s[76:77]
	v_cmp_le_i64_e32 vcc, s[22:23], v[30:31]
	s_xor_b64 s[20:21], s[20:21], -1
	s_or_b64 s[20:21], s[20:21], vcc
	v_add_co_u32_e32 v26, vcc, 0x80, v26
	v_addc_co_u32_e32 v27, vcc, 0, v27, vcc
	v_mov_b32_e32 v0, s69
	v_add_co_u32_e32 v28, vcc, s68, v28
	v_addc_co_u32_e32 v29, vcc, v29, v0, vcc
	s_and_b64 s[20:21], exec, s[20:21]
	v_add_co_u32_e32 v30, vcc, 16, v30
	s_or_b64 s[74:75], s[20:21], s[74:75]
	v_addc_co_u32_e32 v31, vcc, 0, v31, vcc
	s_andn2_b64 exec, exec, s[74:75]
	s_cbranch_execz .LBB118_64
.LBB118_59:                             ;   Parent Loop BB118_13 Depth=1
                                        ; =>  This Inner Loop Header: Depth=2
	global_load_dwordx2 v[32:33], v[26:27], off
	v_mov_b32_e32 v0, s90
	s_waitcnt vmcnt(0)
	v_subrev_co_u32_e32 v32, vcc, s89, v32
	v_subb_co_u32_e32 v33, vcc, v33, v0, vcc
	v_cmp_lt_i64_e32 vcc, v[32:33], v[22:23]
	v_cmp_gt_i64_e64 s[20:21], s[70:71], v[32:33]
	s_xor_b64 s[76:77], vcc, -1
	s_or_b64 s[76:77], s[20:21], s[76:77]
                                        ; implicit-def: $sgpr20_sgpr21
	s_and_saveexec_b64 s[78:79], s[76:77]
	s_xor_b64 s[76:77], exec, s[78:79]
; %bb.60:                               ;   in Loop: Header=BB118_59 Depth=2
	v_cmp_lt_i64_e64 s[20:21], v[32:33], v[24:25]
	v_cndmask_b32_e64 v0, v24, v32, s[20:21]
	v_cndmask_b32_e64 v9, v25, v33, s[20:21]
	v_cndmask_b32_e32 v25, v9, v25, vcc
	v_cndmask_b32_e32 v24, v0, v24, vcc
	s_and_b64 s[20:21], vcc, exec
                                        ; implicit-def: $vgpr32
; %bb.61:                               ;   in Loop: Header=BB118_59 Depth=2
	s_andn2_saveexec_b64 s[76:77], s[76:77]
	s_cbranch_execz .LBB118_58
; %bb.62:                               ;   in Loop: Header=BB118_59 Depth=2
	v_subrev_u32_e32 v0, s70, v32
	v_lshlrev_b32_e32 v9, 2, v0
	ds_write_b32 v9, v62 offset:10240
	s_and_saveexec_b64 s[78:79], s[64:65]
	s_cbranch_execz .LBB118_57
; %bb.63:                               ;   in Loop: Header=BB118_59 Depth=2
	global_load_dwordx2 v[32:33], v[28:29], off
	v_lshlrev_b32_e32 v0, 4, v0
	v_or3_b32 v0, v0, v45, v8
	v_lshlrev_b32_e32 v0, 3, v0
	s_waitcnt vmcnt(0)
	v_mul_f64 v[32:33], v[4:5], v[32:33]
	ds_add_f64 v0, v[32:33]
	s_branch .LBB118_57
.LBB118_64:                             ;   in Loop: Header=BB118_13 Depth=1
	s_or_b64 exec, exec, s[74:75]
.LBB118_65:                             ;   in Loop: Header=BB118_13 Depth=1
	s_or_b64 exec, exec, s[72:73]
.LBB118_66:                             ;   in Loop: Header=BB118_13 Depth=1
	s_and_saveexec_b64 s[20:21], s[4:5]
	s_cbranch_execz .LBB118_71
; %bb.67:                               ;   in Loop: Header=BB118_13 Depth=1
	s_mov_b64 s[72:73], exec
	s_mov_b64 s[22:23], -1
.LBB118_68:                             ;   Parent Loop BB118_13 Depth=1
                                        ; =>  This Inner Loop Header: Depth=2
	s_ff1_i32_b64 s76, s[72:73]
	v_readlane_b32 s77, v25, s76
	v_readlane_b32 s78, v24, s76
	v_mov_b32_e32 v22, s78
	v_mov_b32_e32 v23, s77
	v_cmp_lt_u64_e32 vcc, s[22:23], v[22:23]
	s_and_b64 s[74:75], vcc, exec
	s_cselect_b32 s23, s23, s77
	s_cselect_b32 s22, s22, s78
	s_lshl_b64 s[74:75], 1, s76
	s_andn2_b64 s[72:73], s[72:73], s[74:75]
	s_cmp_lg_u64 s[72:73], 0
	s_cbranch_scc1 .LBB118_68
; %bb.69:                               ;   in Loop: Header=BB118_13 Depth=1
	v_mbcnt_lo_u32_b32 v0, exec_lo, 0
	v_mbcnt_hi_u32_b32 v0, exec_hi, v0
	v_cmp_eq_u32_e32 vcc, 0, v0
	s_and_saveexec_b64 s[72:73], vcc
	s_xor_b64 s[72:73], exec, s[72:73]
	s_cbranch_execz .LBB118_71
; %bb.70:                               ;   in Loop: Header=BB118_13 Depth=1
	v_pk_mov_b32 v[22:23], s[22:23], s[22:23] op_sel:[0,1]
	ds_min_u64 v7, v[22:23] offset:10496
.LBB118_71:                             ;   in Loop: Header=BB118_13 Depth=1
	s_or_b64 exec, exec, s[20:21]
	s_waitcnt lgkmcnt(0)
	s_barrier
	ds_read_b32 v0, v48
	s_waitcnt lgkmcnt(0)
	s_barrier
	s_and_saveexec_b64 s[20:21], s[8:9]
	s_cbranch_execz .LBB118_73
; %bb.72:                               ;   in Loop: Header=BB118_13 Depth=1
	ds_read_b32 v9, v49
	s_waitcnt lgkmcnt(0)
	v_add_u32_e32 v0, v9, v0
.LBB118_73:                             ;   in Loop: Header=BB118_13 Depth=1
	s_or_b64 exec, exec, s[20:21]
	s_barrier
	ds_write_b32 v48, v0
	s_waitcnt lgkmcnt(0)
	s_barrier
	s_and_saveexec_b64 s[20:21], s[10:11]
	s_cbranch_execz .LBB118_75
; %bb.74:                               ;   in Loop: Header=BB118_13 Depth=1
	ds_read_b32 v9, v51
	s_waitcnt lgkmcnt(0)
	v_add_u32_e32 v0, v9, v0
.LBB118_75:                             ;   in Loop: Header=BB118_13 Depth=1
	s_or_b64 exec, exec, s[20:21]
	s_barrier
	ds_write_b32 v48, v0
	;; [unrolled: 12-line block ×6, first 2 shown]
	s_waitcnt lgkmcnt(0)
	s_barrier
	ds_read_b32 v24, v7 offset:10492
	v_mov_b32_e32 v9, 0
	s_and_saveexec_b64 s[20:21], s[6:7]
	s_cbranch_execz .LBB118_85
; %bb.84:                               ;   in Loop: Header=BB118_13 Depth=1
	ds_read_b32 v9, v49
.LBB118_85:                             ;   in Loop: Header=BB118_13 Depth=1
	s_or_b64 exec, exec, s[20:21]
	s_waitcnt lgkmcnt(0)
	v_cmp_eq_u32_e32 vcc, v0, v9
	s_and_b64 s[22:23], s[6:7], vcc
	s_barrier
	s_and_saveexec_b64 s[20:21], s[22:23]
	s_cbranch_execz .LBB118_87
; %bb.86:                               ;   in Loop: Header=BB118_13 Depth=1
	ds_write_b32 v48, v7
.LBB118_87:                             ;   in Loop: Header=BB118_13 Depth=1
	s_or_b64 exec, exec, s[20:21]
	v_add_co_u32_e32 v25, vcc, -1, v18
	s_add_u32 s70, s46, s70
	v_addc_co_u32_e32 v26, vcc, -1, v19, vcc
	s_addc_u32 s71, 0, s71
	s_mov_b64 s[20:21], 0
	v_mov_b32_e32 v27, v61
	v_mov_b32_e32 v28, v13
	v_pk_mov_b32 v[22:23], v[6:7], v[6:7] op_sel:[0,1]
	s_waitcnt lgkmcnt(0)
	s_barrier
	s_branch .LBB118_89
.LBB118_88:                             ;   in Loop: Header=BB118_89 Depth=2
	s_or_b64 exec, exec, s[22:23]
	v_add_co_u32_e32 v22, vcc, 16, v22
	v_addc_co_u32_e32 v23, vcc, 0, v23, vcc
	v_add_u32_e32 v0, -16, v22
	v_cmp_lt_u32_e32 vcc, 47, v0
	v_add_u32_e32 v28, 0x800, v28
	s_or_b64 s[20:21], vcc, s[20:21]
	v_add_u32_e32 v27, 64, v27
	s_andn2_b64 exec, exec, s[20:21]
	s_cbranch_execz .LBB118_12
.LBB118_89:                             ;   Parent Loop BB118_13 Depth=1
                                        ; =>  This Inner Loop Header: Depth=2
	ds_read_b32 v0, v27
	s_waitcnt lgkmcnt(0)
	v_cmp_ne_u32_e32 vcc, 0, v0
	s_and_saveexec_b64 s[22:23], vcc
	s_cbranch_execz .LBB118_88
; %bb.90:                               ;   in Loop: Header=BB118_89 Depth=2
	v_mov_b32_e32 v29, s71
	v_add_co_u32_e32 v30, vcc, s70, v22
	v_addc_co_u32_e32 v31, vcc, v29, v23, vcc
	v_ashrrev_i32_e32 v9, 31, v0
	v_add_co_u32_e32 v32, vcc, v18, v0
	v_addc_co_u32_e32 v33, vcc, v19, v9, vcc
	v_lshlrev_b64 v[32:33], 3, v[32:33]
	v_mov_b32_e32 v29, s93
	v_add_co_u32_e32 v32, vcc, s92, v32
	v_addc_co_u32_e32 v33, vcc, v29, v33, vcc
	global_store_dwordx2 v[32:33], v[30:31], off
	s_and_b64 exec, exec, s[64:65]
	s_cbranch_execz .LBB118_88
; %bb.91:                               ;   in Loop: Header=BB118_89 Depth=2
	v_add_co_u32_e32 v0, vcc, v25, v0
	v_addc_co_u32_e32 v9, vcc, v26, v9, vcc
	ds_read_b64 v[30:31], v28
	v_mul_lo_u32 v9, v9, s30
	v_mul_lo_u32 v29, v0, s31
	v_mad_u64_u32 v[32:33], s[72:73], v0, s30, 0
	v_add3_u32 v33, v33, v29, v9
	v_lshlrev_b64 v[32:33], 3, v[32:33]
	v_add_co_u32_e32 v32, vcc, v12, v32
	v_addc_co_u32_e32 v33, vcc, v1, v33, vcc
	s_waitcnt lgkmcnt(0)
	global_store_dwordx2 v[32:33], v[30:31], off
	s_branch .LBB118_88
.LBB118_92:
	s_endpgm
	.section	.rodata,"a",@progbits
	.p2align	6, 0x0
	.amdhsa_kernel _ZN9rocsparseL38bsrgemm_block_per_row_atomic_multipassILj256ELj64ELj4ElldEEv20rocsparse_direction_T3_S2_PKS2_S4_NS_24const_host_device_scalarIT4_EEPKT2_S4_PKS6_SA_S4_SC_S7_SA_S4_SC_SA_PS2_PS6_PS8_21rocsparse_index_base_SG_SG_SG_bbb
		.amdhsa_group_segment_fixed_size 10504
		.amdhsa_private_segment_fixed_size 0
		.amdhsa_kernarg_size 180
		.amdhsa_user_sgpr_count 6
		.amdhsa_user_sgpr_private_segment_buffer 1
		.amdhsa_user_sgpr_dispatch_ptr 0
		.amdhsa_user_sgpr_queue_ptr 0
		.amdhsa_user_sgpr_kernarg_segment_ptr 1
		.amdhsa_user_sgpr_dispatch_id 0
		.amdhsa_user_sgpr_flat_scratch_init 0
		.amdhsa_user_sgpr_kernarg_preload_length 0
		.amdhsa_user_sgpr_kernarg_preload_offset 0
		.amdhsa_user_sgpr_private_segment_size 0
		.amdhsa_uses_dynamic_stack 0
		.amdhsa_system_sgpr_private_segment_wavefront_offset 0
		.amdhsa_system_sgpr_workgroup_id_x 1
		.amdhsa_system_sgpr_workgroup_id_y 0
		.amdhsa_system_sgpr_workgroup_id_z 0
		.amdhsa_system_sgpr_workgroup_info 0
		.amdhsa_system_vgpr_workitem_id 0
		.amdhsa_next_free_vgpr 68
		.amdhsa_next_free_sgpr 95
		.amdhsa_accum_offset 68
		.amdhsa_reserve_vcc 1
		.amdhsa_reserve_flat_scratch 0
		.amdhsa_float_round_mode_32 0
		.amdhsa_float_round_mode_16_64 0
		.amdhsa_float_denorm_mode_32 3
		.amdhsa_float_denorm_mode_16_64 3
		.amdhsa_dx10_clamp 1
		.amdhsa_ieee_mode 1
		.amdhsa_fp16_overflow 0
		.amdhsa_tg_split 0
		.amdhsa_exception_fp_ieee_invalid_op 0
		.amdhsa_exception_fp_denorm_src 0
		.amdhsa_exception_fp_ieee_div_zero 0
		.amdhsa_exception_fp_ieee_overflow 0
		.amdhsa_exception_fp_ieee_underflow 0
		.amdhsa_exception_fp_ieee_inexact 0
		.amdhsa_exception_int_div_zero 0
	.end_amdhsa_kernel
	.section	.text._ZN9rocsparseL38bsrgemm_block_per_row_atomic_multipassILj256ELj64ELj4ElldEEv20rocsparse_direction_T3_S2_PKS2_S4_NS_24const_host_device_scalarIT4_EEPKT2_S4_PKS6_SA_S4_SC_S7_SA_S4_SC_SA_PS2_PS6_PS8_21rocsparse_index_base_SG_SG_SG_bbb,"axG",@progbits,_ZN9rocsparseL38bsrgemm_block_per_row_atomic_multipassILj256ELj64ELj4ElldEEv20rocsparse_direction_T3_S2_PKS2_S4_NS_24const_host_device_scalarIT4_EEPKT2_S4_PKS6_SA_S4_SC_S7_SA_S4_SC_SA_PS2_PS6_PS8_21rocsparse_index_base_SG_SG_SG_bbb,comdat
.Lfunc_end118:
	.size	_ZN9rocsparseL38bsrgemm_block_per_row_atomic_multipassILj256ELj64ELj4ElldEEv20rocsparse_direction_T3_S2_PKS2_S4_NS_24const_host_device_scalarIT4_EEPKT2_S4_PKS6_SA_S4_SC_S7_SA_S4_SC_SA_PS2_PS6_PS8_21rocsparse_index_base_SG_SG_SG_bbb, .Lfunc_end118-_ZN9rocsparseL38bsrgemm_block_per_row_atomic_multipassILj256ELj64ELj4ElldEEv20rocsparse_direction_T3_S2_PKS2_S4_NS_24const_host_device_scalarIT4_EEPKT2_S4_PKS6_SA_S4_SC_S7_SA_S4_SC_SA_PS2_PS6_PS8_21rocsparse_index_base_SG_SG_SG_bbb
                                        ; -- End function
	.section	.AMDGPU.csdata,"",@progbits
; Kernel info:
; codeLenInByte = 3592
; NumSgprs: 99
; NumVgprs: 68
; NumAgprs: 0
; TotalNumVgprs: 68
; ScratchSize: 0
; MemoryBound: 0
; FloatMode: 240
; IeeeMode: 1
; LDSByteSize: 10504 bytes/workgroup (compile time only)
; SGPRBlocks: 12
; VGPRBlocks: 8
; NumSGPRsForWavesPerEU: 99
; NumVGPRsForWavesPerEU: 68
; AccumOffset: 68
; Occupancy: 6
; WaveLimiterHint : 1
; COMPUTE_PGM_RSRC2:SCRATCH_EN: 0
; COMPUTE_PGM_RSRC2:USER_SGPR: 6
; COMPUTE_PGM_RSRC2:TRAP_HANDLER: 0
; COMPUTE_PGM_RSRC2:TGID_X_EN: 1
; COMPUTE_PGM_RSRC2:TGID_Y_EN: 0
; COMPUTE_PGM_RSRC2:TGID_Z_EN: 0
; COMPUTE_PGM_RSRC2:TIDIG_COMP_CNT: 0
; COMPUTE_PGM_RSRC3_GFX90A:ACCUM_OFFSET: 16
; COMPUTE_PGM_RSRC3_GFX90A:TG_SPLIT: 0
	.section	.text._ZN9rocsparseL38bsrgemm_block_per_row_atomic_multipassILj256ELj128ELj4ElldEEv20rocsparse_direction_T3_S2_PKS2_S4_NS_24const_host_device_scalarIT4_EEPKT2_S4_PKS6_SA_S4_SC_S7_SA_S4_SC_SA_PS2_PS6_PS8_21rocsparse_index_base_SG_SG_SG_bbb,"axG",@progbits,_ZN9rocsparseL38bsrgemm_block_per_row_atomic_multipassILj256ELj128ELj4ElldEEv20rocsparse_direction_T3_S2_PKS2_S4_NS_24const_host_device_scalarIT4_EEPKT2_S4_PKS6_SA_S4_SC_S7_SA_S4_SC_SA_PS2_PS6_PS8_21rocsparse_index_base_SG_SG_SG_bbb,comdat
	.globl	_ZN9rocsparseL38bsrgemm_block_per_row_atomic_multipassILj256ELj128ELj4ElldEEv20rocsparse_direction_T3_S2_PKS2_S4_NS_24const_host_device_scalarIT4_EEPKT2_S4_PKS6_SA_S4_SC_S7_SA_S4_SC_SA_PS2_PS6_PS8_21rocsparse_index_base_SG_SG_SG_bbb ; -- Begin function _ZN9rocsparseL38bsrgemm_block_per_row_atomic_multipassILj256ELj128ELj4ElldEEv20rocsparse_direction_T3_S2_PKS2_S4_NS_24const_host_device_scalarIT4_EEPKT2_S4_PKS6_SA_S4_SC_S7_SA_S4_SC_SA_PS2_PS6_PS8_21rocsparse_index_base_SG_SG_SG_bbb
	.p2align	8
	.type	_ZN9rocsparseL38bsrgemm_block_per_row_atomic_multipassILj256ELj128ELj4ElldEEv20rocsparse_direction_T3_S2_PKS2_S4_NS_24const_host_device_scalarIT4_EEPKT2_S4_PKS6_SA_S4_SC_S7_SA_S4_SC_SA_PS2_PS6_PS8_21rocsparse_index_base_SG_SG_SG_bbb,@function
_ZN9rocsparseL38bsrgemm_block_per_row_atomic_multipassILj256ELj128ELj4ElldEEv20rocsparse_direction_T3_S2_PKS2_S4_NS_24const_host_device_scalarIT4_EEPKT2_S4_PKS6_SA_S4_SC_S7_SA_S4_SC_SA_PS2_PS6_PS8_21rocsparse_index_base_SG_SG_SG_bbb: ; @_ZN9rocsparseL38bsrgemm_block_per_row_atomic_multipassILj256ELj128ELj4ElldEEv20rocsparse_direction_T3_S2_PKS2_S4_NS_24const_host_device_scalarIT4_EEPKT2_S4_PKS6_SA_S4_SC_S7_SA_S4_SC_SA_PS2_PS6_PS8_21rocsparse_index_base_SG_SG_SG_bbb
; %bb.0:
	s_load_dword s7, s[4:5], 0xb0
	s_load_dwordx4 s[52:55], s[4:5], 0xa0
	s_load_dwordx2 s[8:9], s[4:5], 0x28
	s_waitcnt lgkmcnt(0)
	s_and_b32 s0, 1, s7
	s_bitcmp1_b32 s7, 16
	s_cselect_b64 s[2:3], -1, 0
	s_cmp_eq_u32 s0, 1
	s_load_dwordx2 s[0:1], s[4:5], 0x60
	s_cselect_b64 s[12:13], -1, 0
	s_and_b64 s[10:11], s[12:13], exec
	s_cselect_b32 s11, s9, 0
	s_cselect_b32 s10, s8, 0
	s_xor_b64 s[14:15], s[12:13], -1
	s_or_b64 s[14:15], s[14:15], s[2:3]
	s_and_b64 vcc, exec, s[14:15]
	v_pk_mov_b32 v[2:3], s[10:11], s[10:11] op_sel:[0,1]
	s_cbranch_vccnz .LBB119_2
; %bb.1:
	v_pk_mov_b32 v[2:3], s[8:9], s[8:9] op_sel:[0,1]
	flat_load_dwordx2 v[2:3], v[2:3]
.LBB119_2:
	s_bitcmp1_b32 s7, 8
	s_load_dwordx2 s[8:9], s[4:5], 0x20
	s_cselect_b64 s[34:35], -1, 0
	s_and_b64 s[10:11], s[34:35], exec
	s_waitcnt lgkmcnt(0)
	s_cselect_b32 s11, s1, 0
	s_cselect_b32 s10, s0, 0
	s_xor_b64 s[14:15], s[34:35], -1
	s_or_b64 s[2:3], s[14:15], s[2:3]
	s_and_b64 vcc, exec, s[2:3]
	v_pk_mov_b32 v[4:5], s[10:11], s[10:11] op_sel:[0,1]
	s_cbranch_vccnz .LBB119_4
; %bb.3:
	v_pk_mov_b32 v[4:5], s[0:1], s[0:1] op_sel:[0,1]
	flat_load_dwordx2 v[4:5], v[4:5]
.LBB119_4:
	s_load_dwordx2 s[2:3], s[4:5], 0x30
	s_mov_b64 s[60:61], 0
	s_cmp_eq_u64 s[8:9], 0
	s_mov_b32 s7, 0
	s_cbranch_scc1 .LBB119_6
; %bb.5:
	s_load_dwordx2 s[0:1], s[4:5], 0x18
	s_waitcnt lgkmcnt(0)
	s_load_dwordx2 s[0:1], s[0:1], 0x0
	s_waitcnt lgkmcnt(0)
	s_lshl_b64 s[0:1], s[0:1], 3
	s_add_u32 s8, s8, s0
	s_addc_u32 s9, s9, s1
	s_lshl_b64 s[0:1], s[6:7], 3
	s_add_u32 s0, s8, s0
	s_addc_u32 s1, s9, s1
	s_load_dwordx2 s[6:7], s[0:1], 0x0
.LBB119_6:
	v_cndmask_b32_e64 v1, 0, 1, s[12:13]
	v_cmp_ne_u32_e64 s[0:1], 1, v1
	s_andn2_b64 vcc, exec, s[12:13]
	s_cbranch_vccz .LBB119_9
; %bb.7:
	s_and_b64 vcc, exec, s[0:1]
	s_mov_b64 s[62:63], 0
	s_cbranch_vccz .LBB119_10
.LBB119_8:
	s_load_dwordx4 s[56:59], s[4:5], 0x8
	s_waitcnt lgkmcnt(0)
	v_cmp_lt_i64_e64 s[0:1], s[56:57], 1
	s_and_b64 vcc, exec, s[0:1]
	s_cbranch_vccz .LBB119_11
	s_branch .LBB119_98
.LBB119_9:
	s_waitcnt lgkmcnt(0)
	s_lshl_b64 s[8:9], s[6:7], 3
	s_add_u32 s8, s2, s8
	s_addc_u32 s9, s3, s9
	s_load_dwordx2 s[8:9], s[8:9], 0x0
	s_waitcnt lgkmcnt(0)
	s_sub_u32 s60, s8, s52
	s_subb_u32 s61, s9, 0
	s_and_b64 vcc, exec, s[0:1]
	s_mov_b64 s[62:63], 0
	s_cbranch_vccnz .LBB119_8
.LBB119_10:
	s_waitcnt lgkmcnt(0)
	s_lshl_b64 s[0:1], s[6:7], 3
	s_add_u32 s0, s2, s0
	s_addc_u32 s1, s3, s1
	s_load_dwordx2 s[0:1], s[0:1], 0x8
	s_waitcnt lgkmcnt(0)
	s_sub_u32 s62, s0, s52
	s_subb_u32 s63, s1, 0
	s_load_dwordx4 s[56:59], s[4:5], 0x8
	s_waitcnt lgkmcnt(0)
	v_cmp_lt_i64_e64 s[0:1], s[56:57], 1
	s_and_b64 vcc, exec, s[0:1]
	s_cbranch_vccnz .LBB119_98
.LBB119_11:
	s_load_dwordx2 s[64:65], s[4:5], 0x98
	s_load_dwordx4 s[28:31], s[4:5], 0x88
	s_load_dwordx8 s[16:23], s[4:5], 0x68
	s_load_dwordx2 s[78:79], s[4:5], 0x58
	s_load_dwordx8 s[44:51], s[4:5], 0x38
	s_lshl_b64 s[6:7], s[6:7], 3
	s_load_dword s14, s[4:5], 0x0
	s_waitcnt lgkmcnt(0)
	s_add_u32 s0, s22, s6
	s_addc_u32 s1, s23, s7
	s_load_dwordx2 s[0:1], s[0:1], 0x0
	s_mul_i32 s4, s58, s59
	s_mul_hi_u32 s5, s58, s58
	v_bfe_u32 v18, v0, 2, 2
	v_lshlrev_b32_e32 v15, 3, v0
	s_waitcnt lgkmcnt(0)
	s_sub_u32 s80, s0, s54
	s_subb_u32 s81, s1, 0
	s_add_i32 s5, s5, s4
	s_add_i32 s43, s5, s4
	v_mad_u64_u32 v[12:13], s[4:5], v18, s58, 0
	v_mov_b32_e32 v14, v13
	v_mad_u64_u32 v[16:17], s[4:5], v18, s59, v[14:15]
	v_mov_b32_e32 v13, v16
	v_pk_mov_b32 v[10:11], s[62:63], s[62:63] op_sel:[0,1]
	v_lshlrev_b64 v[16:17], 3, v[12:13]
	v_and_b32_e32 v8, 3, v0
	v_cmp_lt_i64_e32 vcc, s[60:61], v[10:11]
	v_mov_b32_e32 v11, s47
	v_add_co_u32_e64 v14, s[4:5], s46, v16
	v_addc_co_u32_e64 v11, s[4:5], v11, v17, s[4:5]
	v_lshlrev_b32_e32 v12, 3, v8
	v_mov_b32_e32 v10, 0
	v_add_co_u32_e64 v47, s[4:5], v14, v12
	v_mov_b32_e32 v9, v10
	v_mov_b32_e32 v19, v10
	v_addc_co_u32_e64 v48, s[4:5], 0, v11, s[4:5]
	v_cmp_gt_i64_e64 s[10:11], s[58:59], v[8:9]
	v_cmp_gt_i64_e64 s[4:5], s[58:59], v[18:19]
	s_and_b64 s[46:47], s[10:11], s[4:5]
	v_mad_u64_u32 v[20:21], s[4:5], v8, s58, 0
	v_mov_b32_e32 v14, v21
	v_mad_u64_u32 v[22:23], s[4:5], v8, s59, v[14:15]
	v_mov_b32_e32 v21, v22
	v_lshlrev_b64 v[20:21], 3, v[20:21]
	v_mov_b32_e32 v9, s31
	v_add_co_u32_e64 v11, s[4:5], s30, v20
	v_lshlrev_b64 v[22:23], 3, v[18:19]
	v_addc_co_u32_e64 v14, s[4:5], v9, v21, s[4:5]
	v_add_co_u32_e64 v11, s[4:5], v11, v22
	v_addc_co_u32_e64 v14, s[4:5], v14, v23, s[4:5]
	v_cmp_gt_u64_e64 s[8:9], s[58:59], v[18:19]
	v_add_co_u32_e64 v19, s[4:5], s30, v16
	v_addc_co_u32_e64 v9, s[4:5], v9, v17, s[4:5]
	v_add_co_u32_e64 v19, s[4:5], v19, v12
	v_lshrrev_b32_e32 v6, 4, v0
	s_cmp_eq_u32 s14, 0
	v_addc_co_u32_e64 v9, s[4:5], 0, v9, s[4:5]
	s_cselect_b64 s[22:23], -1, 0
	s_cmp_lg_u32 s14, 0
	v_subrev_co_u32_e64 v50, s[4:5], s55, v6
	s_cselect_b64 s[66:67], -1, 0
	s_add_u32 s36, s16, s6
	v_subb_co_u32_e64 v51, s[4:5], 0, 0, s[4:5]
                                        ; implicit-def: $vgpr67 : SGPR spill to VGPR lane
	s_addc_u32 s37, s17, s7
	v_mov_b32_e32 v24, s21
	v_add_co_u32_e64 v20, s[4:5], s20, v20
	v_writelane_b32 v67, s16, 0
	v_writelane_b32 v67, s17, 1
	v_addc_co_u32_e64 v21, s[4:5], v24, v21, s[4:5]
	v_writelane_b32 v67, s18, 2
	v_add_co_u32_e64 v20, s[4:5], v20, v22
	v_writelane_b32 v67, s19, 3
	v_addc_co_u32_e64 v21, s[4:5], v21, v23, s[4:5]
	v_writelane_b32 v67, s20, 4
	v_writelane_b32 v67, s21, 5
	v_add_co_u32_e64 v16, s[4:5], s20, v16
	v_writelane_b32 v67, s22, 6
	v_addc_co_u32_e64 v17, s[4:5], v24, v17, s[4:5]
	s_movk_i32 s24, 0x200
	v_writelane_b32 v67, s23, 7
	v_add_co_u32_e64 v16, s[4:5], v16, v12
	v_cmp_gt_u32_e64 s[24:25], s24, v0
	v_and_b32_e32 v1, 15, v0
	v_addc_co_u32_e64 v17, s[4:5], 0, v17, s[4:5]
	v_writelane_b32 v67, s24, 8
	s_movk_i32 s0, 0x80
	v_cmp_eq_u32_e64 s[4:5], 15, v1
	v_and_b32_e32 v1, 0x7f, v0
	v_mov_b32_e32 v24, 0x4800
	v_writelane_b32 v67, s25, 9
	s_movk_i32 s24, 0x100
	v_cmp_gt_u32_e64 s[0:1], s0, v0
	v_cmp_eq_u32_e64 s[2:3], 0, v0
	v_and_b32_e32 v49, 12, v0
	v_lshlrev_b32_e32 v22, 2, v1
	v_add_co_u32_e64 v23, s[6:7], -1, v1
	v_lshl_or_b32 v54, v0, 2, v24
	s_and_b64 s[40:41], s[12:13], vcc
	s_and_b64 s[68:69], s[10:11], s[8:9]
	v_cmp_ne_u32_e64 s[8:9], 0, v1
	v_cmp_lt_u32_e64 s[10:11], 1, v1
	v_cmp_lt_u32_e64 s[12:13], 3, v1
	;; [unrolled: 1-line block ×6, first 2 shown]
	v_cndmask_b32_e64 v1, v14, v9, s[22:23]
	v_or_b32_e32 v9, 0x400, v0
	v_cmp_gt_u32_e64 s[24:25], s24, v0
	v_lshlrev_b32_e32 v0, 3, v18
	v_lshl_or_b32 v0, v6, 7, v0
	s_add_u32 s27, s48, 8
	v_add_u32_e32 v61, 0x4000, v0
	v_mov_b32_e32 v0, s79
	v_add_co_u32_e32 v18, vcc, s78, v12
	s_mov_b32 s33, 0
	s_mov_b32 s95, s55
	v_cndmask_b32_e64 v14, v11, v19, s[22:23]
	v_writelane_b32 v67, s24, 10
	s_addc_u32 s55, s49, 0
	v_addc_co_u32_e32 v19, vcc, 0, v0, vcc
	s_mul_i32 s42, s58, s58
	v_cndmask_b32_e64 v17, v21, v17, s[22:23]
	v_cndmask_b32_e64 v16, v20, v16, s[22:23]
	s_movk_i32 s22, 0x700
	v_writelane_b32 v67, s25, 11
	s_add_u32 s38, s28, -8
	v_and_b32_e32 v0, 0x7e0, v15
	v_add_co_u32_e32 v63, vcc, 16, v50
	v_mov_b32_e32 v26, 0x80
	s_mov_b32 s24, s33
	s_mov_b32 s25, s33
	v_mov_b32_e32 v7, v10
	v_or_b32_e32 v46, 0x4000, v15
	v_mov_b32_e32 v13, v10
	s_mov_b32 s94, s33
	s_mov_b32 s26, s33
	v_or_b32_e32 v52, 0x4800, v22
	v_lshl_add_u32 v53, v23, 2, v24
	v_add_u32_e32 v55, 0x47f8, v22
	v_add_u32_e32 v56, 0x47f0, v22
	;; [unrolled: 1-line block ×6, first 2 shown]
	v_cmp_gt_u32_e64 s[22:23], s22, v9
	s_addc_u32 s39, s29, -1
	s_lshl_b64 s[70:71], s[58:59], 3
	s_lshl_b64 s[72:73], s[42:43], 3
	v_or_b32_e32 v62, 0x4000, v0
	s_lshl_b64 s[74:75], s[42:43], 7
	v_addc_co_u32_e32 v64, vcc, 0, v51, vcc
	v_lshl_or_b32 v65, v6, 2, v24
	s_mov_b64 s[76:77], 0
	v_mov_b32_e32 v27, 0
	v_pk_mov_b32 v[20:21], s[80:81], s[80:81] op_sel:[0,1]
	v_pk_mov_b32 v[22:23], s[24:25], s[24:25] op_sel:[0,1]
	v_mov_b32_e32 v66, 1
	s_movk_i32 s24, 0x6f
	v_pk_mov_b32 v[24:25], s[78:79], s[78:79] op_sel:[0,1]
	s_branch .LBB119_13
.LBB119_12:                             ;   in Loop: Header=BB119_13 Depth=1
	s_or_b64 exec, exec, s[28:29]
	s_barrier
	ds_read_b64 v[28:29], v10 offset:18944
	v_ashrrev_i32_e32 v0, 31, v11
	v_add_co_u32_e32 v20, vcc, v20, v11
	v_addc_co_u32_e32 v21, vcc, v21, v0, vcc
	s_waitcnt lgkmcnt(0)
	v_add_co_u32_e32 v26, vcc, 0x80, v28
	v_addc_co_u32_e32 v27, vcc, 0, v29, vcc
	v_cmp_le_i64_e32 vcc, s[56:57], v[28:29]
	v_readfirstlane_b32 s76, v28
	v_readfirstlane_b32 s77, v29
	s_barrier
	s_cbranch_vccnz .LBB119_98
.LBB119_13:                             ; =>This Loop Header: Depth=1
                                        ;     Child Loop BB119_26 Depth 2
                                        ;       Child Loop BB119_41 Depth 3
                                        ;         Child Loop BB119_53 Depth 4
                                        ;         Child Loop BB119_49 Depth 4
                                        ;     Child Loop BB119_63 Depth 2
                                        ;     Child Loop BB119_72 Depth 2
	;; [unrolled: 1-line block ×3, first 2 shown]
	s_and_saveexec_b64 s[28:29], s[0:1]
	s_cbranch_execz .LBB119_15
; %bb.14:                               ;   in Loop: Header=BB119_13 Depth=1
	ds_write_b32 v54, v10
.LBB119_15:                             ;   in Loop: Header=BB119_13 Depth=1
	s_or_b64 exec, exec, s[28:29]
	ds_write2st64_b64 v15, v[22:23], v[22:23] offset1:4
	ds_write2st64_b64 v15, v[22:23], v[22:23] offset0:8 offset1:12
	ds_write_b64 v15, v[22:23] offset:8192
	s_and_saveexec_b64 s[28:29], s[22:23]
	s_xor_b64 s[28:29], exec, s[28:29]
	s_cbranch_execz .LBB119_21
; %bb.16:                               ;   in Loop: Header=BB119_13 Depth=1
	v_mov_b32_e32 v11, v10
	ds_write_b64 v15, v[10:11] offset:10240
	s_mov_b64 s[30:31], exec
	v_readlane_b32 s78, v67, 8
	v_readlane_b32 s79, v67, 9
	s_and_b64 s[78:79], s[30:31], s[78:79]
	s_xor_b64 s[30:31], s[78:79], s[30:31]
	s_mov_b64 exec, s[78:79]
	s_cbranch_execz .LBB119_20
; %bb.17:                               ;   in Loop: Header=BB119_13 Depth=1
	ds_write_b64 v15, v[10:11] offset:12288
	s_mov_b64 s[78:79], exec
	v_readlane_b32 s80, v67, 10
	v_readlane_b32 s81, v67, 11
	s_and_b64 s[80:81], s[78:79], s[80:81]
	s_xor_b64 s[78:79], s[80:81], s[78:79]
	s_mov_b64 exec, s[80:81]
	s_cbranch_execz .LBB119_19
; %bb.18:                               ;   in Loop: Header=BB119_13 Depth=1
	v_mov_b32_e32 v11, v10
	ds_write_b64 v15, v[10:11] offset:14336
.LBB119_19:                             ;   in Loop: Header=BB119_13 Depth=1
	s_or_b64 exec, exec, s[78:79]
.LBB119_20:                             ;   in Loop: Header=BB119_13 Depth=1
	s_or_b64 exec, exec, s[30:31]
.LBB119_21:                             ;   in Loop: Header=BB119_13 Depth=1
	s_or_b64 exec, exec, s[28:29]
	s_and_saveexec_b64 s[28:29], s[2:3]
	s_cbranch_execz .LBB119_23
; %bb.22:                               ;   in Loop: Header=BB119_13 Depth=1
	v_pk_mov_b32 v[28:29], s[56:57], s[56:57] op_sel:[0,1]
	ds_write_b64 v10, v[28:29] offset:18944
.LBB119_23:                             ;   in Loop: Header=BB119_13 Depth=1
	s_or_b64 exec, exec, s[28:29]
	s_andn2_b64 vcc, exec, s[40:41]
	v_pk_mov_b32 v[28:29], s[56:57], s[56:57] op_sel:[0,1]
	s_waitcnt lgkmcnt(0)
	s_barrier
	s_cbranch_vccnz .LBB119_58
; %bb.24:                               ;   in Loop: Header=BB119_13 Depth=1
	s_cmp_lg_u64 s[76:77], 0
	s_cselect_b64 s[78:79], -1, 0
	v_pk_mov_b32 v[28:29], s[56:57], s[56:57] op_sel:[0,1]
	s_mov_b64 s[80:81], s[60:61]
	s_branch .LBB119_26
.LBB119_25:                             ;   in Loop: Header=BB119_26 Depth=2
	s_or_b64 exec, exec, s[30:31]
	s_add_u32 s80, s80, 16
	s_addc_u32 s81, s81, 0
	v_pk_mov_b32 v[30:31], s[62:63], s[62:63] op_sel:[0,1]
	v_cmp_lt_i64_e32 vcc, s[80:81], v[30:31]
	s_cbranch_vccz .LBB119_58
.LBB119_26:                             ;   Parent Loop BB119_13 Depth=1
                                        ; =>  This Loop Header: Depth=2
                                        ;       Child Loop BB119_41 Depth 3
                                        ;         Child Loop BB119_53 Depth 4
                                        ;         Child Loop BB119_49 Depth 4
	v_mov_b32_e32 v0, s81
	v_add_co_u32_e32 v30, vcc, s80, v6
	v_addc_co_u32_e32 v31, vcc, 0, v0, vcc
	v_cmp_gt_i64_e64 s[28:29], s[62:63], v[30:31]
	s_barrier
	s_and_saveexec_b64 s[30:31], s[28:29]
	s_cbranch_execz .LBB119_30
; %bb.27:                               ;   in Loop: Header=BB119_26 Depth=2
	v_pk_mov_b32 v[32:33], 0, 0
	s_and_saveexec_b64 s[82:83], s[68:69]
	s_cbranch_execz .LBB119_29
; %bb.28:                               ;   in Loop: Header=BB119_26 Depth=2
	v_mul_lo_u32 v0, v31, s42
	v_mul_lo_u32 v9, v30, s43
	v_mad_u64_u32 v[32:33], s[84:85], v30, s42, 0
	v_add3_u32 v33, v33, v9, v0
	v_lshlrev_b64 v[32:33], 3, v[32:33]
	v_add_co_u32_e32 v32, vcc, v47, v32
	v_addc_co_u32_e32 v33, vcc, v48, v33, vcc
	global_load_dwordx2 v[32:33], v[32:33], off
.LBB119_29:                             ;   in Loop: Header=BB119_26 Depth=2
	s_or_b64 exec, exec, s[82:83]
	s_waitcnt vmcnt(0)
	ds_write_b64 v46, v[32:33]
.LBB119_30:                             ;   in Loop: Header=BB119_26 Depth=2
	s_or_b64 exec, exec, s[30:31]
	v_pk_mov_b32 v[32:33], 0, 0
	v_lshlrev_b64 v[30:31], 3, v[30:31]
	s_waitcnt lgkmcnt(0)
	s_barrier
	s_and_saveexec_b64 s[82:83], s[28:29]
	s_cbranch_execz .LBB119_56
; %bb.31:                               ;   in Loop: Header=BB119_26 Depth=2
	v_mov_b32_e32 v0, s45
	v_add_co_u32_e32 v32, vcc, s44, v30
	v_addc_co_u32_e32 v33, vcc, v0, v31, vcc
	global_load_dwordx2 v[34:35], v[32:33], off
	s_and_b64 vcc, exec, s[78:79]
	s_cbranch_vccz .LBB119_33
; %bb.32:                               ;   in Loop: Header=BB119_26 Depth=2
	v_mov_b32_e32 v0, s65
	v_add_co_u32_e32 v32, vcc, s64, v30
	v_addc_co_u32_e32 v33, vcc, v0, v31, vcc
	global_load_dwordx2 v[32:33], v[32:33], off
	s_mov_b64 s[30:31], 0
	s_branch .LBB119_34
.LBB119_33:                             ;   in Loop: Header=BB119_26 Depth=2
	s_mov_b64 s[30:31], -1
                                        ; implicit-def: $vgpr32_vgpr33
.LBB119_34:                             ;   in Loop: Header=BB119_26 Depth=2
	v_mov_b32_e32 v0, s94
	s_waitcnt vmcnt(0)
	v_subrev_co_u32_e32 v34, vcc, s52, v34
	v_subb_co_u32_e32 v35, vcc, v35, v0, vcc
	s_andn2_b64 vcc, exec, s[30:31]
	v_lshlrev_b64 v[34:35], 3, v[34:35]
	s_cbranch_vccnz .LBB119_36
; %bb.35:                               ;   in Loop: Header=BB119_26 Depth=2
	v_mov_b32_e32 v0, s49
	v_add_co_u32_e32 v32, vcc, s48, v34
	v_addc_co_u32_e32 v33, vcc, v0, v35, vcc
	global_load_dwordx2 v[32:33], v[32:33], off
	v_mov_b32_e32 v0, s33
	s_waitcnt vmcnt(0)
	v_subrev_co_u32_e32 v32, vcc, s53, v32
	v_subb_co_u32_e32 v33, vcc, v33, v0, vcc
.LBB119_36:                             ;   in Loop: Header=BB119_26 Depth=2
	v_mov_b32_e32 v0, s55
	v_add_co_u32_e32 v34, vcc, s27, v34
	v_addc_co_u32_e32 v35, vcc, v0, v35, vcc
	global_load_dwordx2 v[34:35], v[34:35], off
	v_mov_b32_e32 v0, s33
	s_waitcnt vmcnt(0)
	v_subrev_co_u32_e32 v34, vcc, s53, v34
	v_subb_co_u32_e32 v35, vcc, v35, v0, vcc
	v_cmp_lt_i64_e32 vcc, v[32:33], v[34:35]
	s_and_saveexec_b64 s[84:85], vcc
	s_cbranch_execz .LBB119_55
; %bb.37:                               ;   in Loop: Header=BB119_26 Depth=2
	v_mad_u64_u32 v[36:37], s[30:31], s70, v32, v[12:13]
	v_mul_lo_u32 v0, s70, v33
	v_mul_lo_u32 v9, s71, v32
	v_add3_u32 v0, v9, v37, v0
	v_mul_lo_u32 v9, s59, v36
	v_mul_lo_u32 v0, s58, v0
	v_mad_u64_u32 v[36:37], s[30:31], s58, v36, v[24:25]
	v_add3_u32 v37, v9, v37, v0
	v_mad_u64_u32 v[38:39], s[30:31], s72, v32, v[18:19]
	v_mul_lo_u32 v0, s72, v33
	v_mul_lo_u32 v9, s73, v32
	v_add3_u32 v39, v9, v39, v0
	s_mov_b64 s[86:87], 0
	v_pk_mov_b32 v[40:41], v[32:33], v[32:33] op_sel:[0,1]
	s_branch .LBB119_41
.LBB119_38:                             ;   in Loop: Header=BB119_41 Depth=3
	v_lshlrev_b32_e32 v0, 4, v0
	v_or3_b32 v0, v0, v49, v8
	v_lshlrev_b32_e32 v0, 3, v0
	v_mul_f64 v[42:43], v[2:3], v[42:43]
	ds_add_f64 v0, v[42:43]
.LBB119_39:                             ;   in Loop: Header=BB119_41 Depth=3
	s_or_b64 exec, exec, s[90:91]
	s_or_b64 s[30:31], s[30:31], exec
.LBB119_40:                             ;   in Loop: Header=BB119_41 Depth=3
	s_or_b64 exec, exec, s[88:89]
	v_add_co_u32_e32 v32, vcc, 1, v32
	v_addc_co_u32_e32 v33, vcc, 0, v33, vcc
	v_cmp_ge_i64_e32 vcc, v[32:33], v[34:35]
	s_xor_b64 s[30:31], s[30:31], -1
	s_or_b64 s[30:31], s[30:31], vcc
	v_mov_b32_e32 v0, s73
	v_add_co_u32_e32 v36, vcc, s72, v36
	v_addc_co_u32_e32 v37, vcc, v37, v0, vcc
	s_and_b64 s[30:31], exec, s[30:31]
	v_add_co_u32_e32 v38, vcc, s72, v38
	s_or_b64 s[86:87], s[30:31], s[86:87]
	v_addc_co_u32_e32 v39, vcc, v39, v0, vcc
	s_andn2_b64 exec, exec, s[86:87]
	s_cbranch_execz .LBB119_54
.LBB119_41:                             ;   Parent Loop BB119_13 Depth=1
                                        ;     Parent Loop BB119_26 Depth=2
                                        ; =>    This Loop Header: Depth=3
                                        ;         Child Loop BB119_53 Depth 4
                                        ;         Child Loop BB119_49 Depth 4
	v_lshlrev_b64 v[42:43], 3, v[32:33]
	v_mov_b32_e32 v0, s51
	v_add_co_u32_e32 v42, vcc, s50, v42
	v_addc_co_u32_e32 v43, vcc, v0, v43, vcc
	global_load_dwordx2 v[42:43], v[42:43], off
	v_mov_b32_e32 v0, s33
	s_waitcnt vmcnt(0)
	v_subrev_co_u32_e32 v42, vcc, s53, v42
	v_subb_co_u32_e32 v43, vcc, v43, v0, vcc
	v_cmp_gt_i64_e64 s[30:31], s[76:77], v[42:43]
	v_cmp_ge_i64_e32 vcc, v[42:43], v[26:27]
	s_or_b64 s[88:89], s[30:31], vcc
                                        ; implicit-def: $sgpr30_sgpr31
	s_and_saveexec_b64 s[90:91], s[88:89]
	s_xor_b64 s[88:89], exec, s[90:91]
	s_cbranch_execz .LBB119_45
; %bb.42:                               ;   in Loop: Header=BB119_41 Depth=3
	s_mov_b64 s[30:31], -1
	s_and_saveexec_b64 s[90:91], vcc
; %bb.43:                               ;   in Loop: Header=BB119_41 Depth=3
	v_cmp_lt_i64_e32 vcc, v[42:43], v[28:29]
	v_cndmask_b32_e32 v29, v29, v43, vcc
	v_cndmask_b32_e32 v28, v28, v42, vcc
	s_xor_b64 s[30:31], exec, -1
	v_pk_mov_b32 v[40:41], v[32:33], v[32:33] op_sel:[0,1]
; %bb.44:                               ;   in Loop: Header=BB119_41 Depth=3
	s_or_b64 exec, exec, s[90:91]
	s_and_b64 s[30:31], s[30:31], exec
                                        ; implicit-def: $vgpr42_vgpr43
.LBB119_45:                             ;   in Loop: Header=BB119_41 Depth=3
	s_andn2_saveexec_b64 s[88:89], s[88:89]
	s_cbranch_execz .LBB119_40
; %bb.46:                               ;   in Loop: Header=BB119_41 Depth=3
	v_subrev_u32_e32 v0, s76, v42
	v_lshlrev_b32_e32 v9, 2, v0
	ds_write_b32 v9, v66 offset:18432
	s_and_saveexec_b64 s[90:91], s[46:47]
	s_cbranch_execz .LBB119_39
; %bb.47:                               ;   in Loop: Header=BB119_41 Depth=3
	s_andn2_b64 vcc, exec, s[66:67]
	s_cbranch_vccnz .LBB119_51
; %bb.48:                               ;   in Loop: Header=BB119_41 Depth=3
	v_pk_mov_b32 v[42:43], 0, 0
	v_mov_b32_e32 v9, v61
	s_mov_b64 s[92:93], s[58:59]
	v_pk_mov_b32 v[44:45], v[36:37], v[36:37] op_sel:[0,1]
.LBB119_49:                             ;   Parent Loop BB119_13 Depth=1
                                        ;     Parent Loop BB119_26 Depth=2
                                        ;       Parent Loop BB119_41 Depth=3
                                        ; =>      This Inner Loop Header: Depth=4
	global_load_dwordx2 v[68:69], v[44:45], off
	ds_read_b64 v[70:71], v9
	s_add_u32 s92, s92, -1
	v_add_co_u32_e32 v44, vcc, 8, v44
	s_addc_u32 s93, s93, -1
	v_addc_co_u32_e32 v45, vcc, 0, v45, vcc
	v_add_u32_e32 v9, 32, v9
	s_cmp_lg_u64 s[92:93], 0
	s_waitcnt vmcnt(0) lgkmcnt(0)
	v_fmac_f64_e32 v[42:43], v[70:71], v[68:69]
	s_cbranch_scc1 .LBB119_49
; %bb.50:                               ;   in Loop: Header=BB119_41 Depth=3
	s_branch .LBB119_38
.LBB119_51:                             ;   in Loop: Header=BB119_41 Depth=3
                                        ; implicit-def: $vgpr42_vgpr43
	s_cbranch_execz .LBB119_38
; %bb.52:                               ;   in Loop: Header=BB119_41 Depth=3
	v_pk_mov_b32 v[42:43], 0, 0
	v_mov_b32_e32 v9, v62
	v_pk_mov_b32 v[44:45], v[38:39], v[38:39] op_sel:[0,1]
	s_mov_b64 s[92:93], s[58:59]
.LBB119_53:                             ;   Parent Loop BB119_13 Depth=1
                                        ;     Parent Loop BB119_26 Depth=2
                                        ;       Parent Loop BB119_41 Depth=3
                                        ; =>      This Inner Loop Header: Depth=4
	global_load_dwordx2 v[68:69], v[44:45], off
	ds_read_b64 v[70:71], v9
	s_add_u32 s92, s92, -1
	v_mov_b32_e32 v11, s71
	v_add_co_u32_e32 v44, vcc, s70, v44
	s_addc_u32 s93, s93, -1
	v_add_u32_e32 v9, 8, v9
	v_addc_co_u32_e32 v45, vcc, v45, v11, vcc
	s_cmp_eq_u64 s[92:93], 0
	s_waitcnt vmcnt(0) lgkmcnt(0)
	v_fmac_f64_e32 v[42:43], v[70:71], v[68:69]
	s_cbranch_scc0 .LBB119_53
	s_branch .LBB119_38
.LBB119_54:                             ;   in Loop: Header=BB119_26 Depth=2
	s_or_b64 exec, exec, s[86:87]
	v_pk_mov_b32 v[32:33], v[40:41], v[40:41] op_sel:[0,1]
.LBB119_55:                             ;   in Loop: Header=BB119_26 Depth=2
	s_or_b64 exec, exec, s[84:85]
.LBB119_56:                             ;   in Loop: Header=BB119_26 Depth=2
	s_or_b64 exec, exec, s[82:83]
	s_waitcnt lgkmcnt(0)
	s_barrier
	s_and_saveexec_b64 s[30:31], s[28:29]
	s_cbranch_execz .LBB119_25
; %bb.57:                               ;   in Loop: Header=BB119_26 Depth=2
	v_mov_b32_e32 v0, s65
	v_add_co_u32_e32 v30, vcc, s64, v30
	v_addc_co_u32_e32 v31, vcc, v0, v31, vcc
	global_store_dwordx2 v[30:31], v[32:33], off
	s_branch .LBB119_25
.LBB119_58:                             ;   in Loop: Header=BB119_13 Depth=1
	s_andn2_b64 vcc, exec, s[34:35]
	s_cbranch_vccnz .LBB119_70
; %bb.59:                               ;   in Loop: Header=BB119_13 Depth=1
	s_load_dwordx4 s[28:31], s[36:37], 0x0
	s_waitcnt lgkmcnt(0)
	s_sub_u32 s30, s30, s95
	v_mov_b32_e32 v0, s29
	v_add_co_u32_e32 v34, vcc, s28, v50
	s_subb_u32 s31, s31, 0
	v_addc_co_u32_e32 v35, vcc, v0, v51, vcc
	v_cmp_gt_i64_e32 vcc, s[30:31], v[34:35]
	s_and_saveexec_b64 s[78:79], vcc
	s_cbranch_execz .LBB119_69
; %bb.60:                               ;   in Loop: Header=BB119_13 Depth=1
	v_readlane_b32 s80, v67, 0
	v_lshlrev_b64 v[30:31], 3, v[34:35]
	v_readlane_b32 s82, v67, 2
	v_readlane_b32 s83, v67, 3
	;; [unrolled: 1-line block ×3, first 2 shown]
	v_mov_b32_e32 v0, s83
	v_add_co_u32_e32 v30, vcc, s82, v30
	v_addc_co_u32_e32 v31, vcc, v0, v31, vcc
	v_mad_u64_u32 v[32:33], s[80:81], s72, v34, v[16:17]
	v_mul_lo_u32 v0, s72, v35
	v_mul_lo_u32 v9, s73, v34
	v_add3_u32 v33, v9, v33, v0
	v_mov_b32_e32 v0, s29
	v_add_co_u32_e32 v34, vcc, s28, v63
	v_addc_co_u32_e32 v35, vcc, v64, v0, vcc
	s_mov_b64 s[80:81], 0
	v_readlane_b32 s84, v67, 4
	v_readlane_b32 s85, v67, 5
	;; [unrolled: 1-line block ×4, first 2 shown]
	s_branch .LBB119_63
.LBB119_61:                             ;   in Loop: Header=BB119_63 Depth=2
	s_or_b64 exec, exec, s[84:85]
	s_or_b64 s[28:29], s[28:29], exec
.LBB119_62:                             ;   in Loop: Header=BB119_63 Depth=2
	s_or_b64 exec, exec, s[82:83]
	v_cmp_le_i64_e32 vcc, s[30:31], v[34:35]
	s_xor_b64 s[28:29], s[28:29], -1
	s_or_b64 s[28:29], s[28:29], vcc
	v_add_co_u32_e32 v30, vcc, 0x80, v30
	v_addc_co_u32_e32 v31, vcc, 0, v31, vcc
	v_mov_b32_e32 v0, s75
	v_add_co_u32_e32 v32, vcc, s74, v32
	v_addc_co_u32_e32 v33, vcc, v33, v0, vcc
	s_and_b64 s[28:29], exec, s[28:29]
	v_add_co_u32_e32 v34, vcc, 16, v34
	s_or_b64 s[80:81], s[28:29], s[80:81]
	v_addc_co_u32_e32 v35, vcc, 0, v35, vcc
	s_andn2_b64 exec, exec, s[80:81]
	s_cbranch_execz .LBB119_68
.LBB119_63:                             ;   Parent Loop BB119_13 Depth=1
                                        ; =>  This Inner Loop Header: Depth=2
	global_load_dwordx2 v[36:37], v[30:31], off
	v_mov_b32_e32 v0, s26
	s_waitcnt vmcnt(0)
	v_subrev_co_u32_e32 v36, vcc, s95, v36
	v_subb_co_u32_e32 v37, vcc, v37, v0, vcc
	v_cmp_lt_i64_e32 vcc, v[36:37], v[26:27]
	v_cmp_gt_i64_e64 s[28:29], s[76:77], v[36:37]
	s_xor_b64 s[82:83], vcc, -1
	s_or_b64 s[82:83], s[28:29], s[82:83]
                                        ; implicit-def: $sgpr28_sgpr29
	s_and_saveexec_b64 s[84:85], s[82:83]
	s_xor_b64 s[82:83], exec, s[84:85]
; %bb.64:                               ;   in Loop: Header=BB119_63 Depth=2
	v_cmp_lt_i64_e64 s[28:29], v[36:37], v[28:29]
	v_cndmask_b32_e64 v0, v28, v36, s[28:29]
	v_cndmask_b32_e64 v9, v29, v37, s[28:29]
	v_cndmask_b32_e32 v29, v9, v29, vcc
	v_cndmask_b32_e32 v28, v0, v28, vcc
	s_and_b64 s[28:29], vcc, exec
                                        ; implicit-def: $vgpr36
; %bb.65:                               ;   in Loop: Header=BB119_63 Depth=2
	s_andn2_saveexec_b64 s[82:83], s[82:83]
	s_cbranch_execz .LBB119_62
; %bb.66:                               ;   in Loop: Header=BB119_63 Depth=2
	v_subrev_u32_e32 v0, s76, v36
	v_lshlrev_b32_e32 v9, 2, v0
	ds_write_b32 v9, v66 offset:18432
	s_and_saveexec_b64 s[84:85], s[68:69]
	s_cbranch_execz .LBB119_61
; %bb.67:                               ;   in Loop: Header=BB119_63 Depth=2
	global_load_dwordx2 v[36:37], v[32:33], off
	v_lshlrev_b32_e32 v0, 4, v0
	v_or3_b32 v0, v0, v49, v8
	v_lshlrev_b32_e32 v0, 3, v0
	s_waitcnt vmcnt(0)
	v_mul_f64 v[36:37], v[4:5], v[36:37]
	ds_add_f64 v0, v[36:37]
	s_branch .LBB119_61
.LBB119_68:                             ;   in Loop: Header=BB119_13 Depth=1
	s_or_b64 exec, exec, s[80:81]
.LBB119_69:                             ;   in Loop: Header=BB119_13 Depth=1
	s_or_b64 exec, exec, s[78:79]
.LBB119_70:                             ;   in Loop: Header=BB119_13 Depth=1
	s_and_saveexec_b64 s[28:29], s[4:5]
	s_cbranch_execz .LBB119_75
; %bb.71:                               ;   in Loop: Header=BB119_13 Depth=1
	s_mov_b64 s[78:79], exec
	s_mov_b64 s[30:31], -1
.LBB119_72:                             ;   Parent Loop BB119_13 Depth=1
                                        ; =>  This Inner Loop Header: Depth=2
	s_ff1_i32_b64 s25, s[78:79]
	v_readlane_b32 s82, v29, s25
	v_readlane_b32 s83, v28, s25
	v_mov_b32_e32 v26, s83
	v_mov_b32_e32 v27, s82
	v_cmp_lt_u64_e32 vcc, s[30:31], v[26:27]
	s_and_b64 s[80:81], vcc, exec
	s_cselect_b32 s31, s31, s82
	s_cselect_b32 s30, s30, s83
	s_lshl_b64 s[80:81], 1, s25
	s_andn2_b64 s[78:79], s[78:79], s[80:81]
	s_cmp_lg_u64 s[78:79], 0
	s_cbranch_scc1 .LBB119_72
; %bb.73:                               ;   in Loop: Header=BB119_13 Depth=1
	v_mbcnt_lo_u32_b32 v0, exec_lo, 0
	v_mbcnt_hi_u32_b32 v0, exec_hi, v0
	v_cmp_eq_u32_e32 vcc, 0, v0
	s_and_saveexec_b64 s[78:79], vcc
	s_xor_b64 s[78:79], exec, s[78:79]
	s_cbranch_execz .LBB119_75
; %bb.74:                               ;   in Loop: Header=BB119_13 Depth=1
	v_pk_mov_b32 v[26:27], s[30:31], s[30:31] op_sel:[0,1]
	ds_min_u64 v10, v[26:27] offset:18944
.LBB119_75:                             ;   in Loop: Header=BB119_13 Depth=1
	s_or_b64 exec, exec, s[28:29]
	s_waitcnt lgkmcnt(0)
	s_barrier
	ds_read_b32 v0, v52
	s_waitcnt lgkmcnt(0)
	s_barrier
	s_and_saveexec_b64 s[28:29], s[8:9]
	s_cbranch_execz .LBB119_77
; %bb.76:                               ;   in Loop: Header=BB119_13 Depth=1
	ds_read_b32 v9, v53
	s_waitcnt lgkmcnt(0)
	v_add_u32_e32 v0, v9, v0
.LBB119_77:                             ;   in Loop: Header=BB119_13 Depth=1
	s_or_b64 exec, exec, s[28:29]
	s_barrier
	ds_write_b32 v52, v0
	s_waitcnt lgkmcnt(0)
	s_barrier
	s_and_saveexec_b64 s[28:29], s[10:11]
	s_cbranch_execz .LBB119_79
; %bb.78:                               ;   in Loop: Header=BB119_13 Depth=1
	ds_read_b32 v9, v55
	s_waitcnt lgkmcnt(0)
	v_add_u32_e32 v0, v9, v0
.LBB119_79:                             ;   in Loop: Header=BB119_13 Depth=1
	s_or_b64 exec, exec, s[28:29]
	s_barrier
	ds_write_b32 v52, v0
	;; [unrolled: 12-line block ×7, first 2 shown]
	s_waitcnt lgkmcnt(0)
	s_barrier
	ds_read_b32 v11, v10 offset:18940
	v_mov_b32_e32 v9, 0
	s_and_saveexec_b64 s[28:29], s[6:7]
	s_cbranch_execz .LBB119_91
; %bb.90:                               ;   in Loop: Header=BB119_13 Depth=1
	ds_read_b32 v9, v53
.LBB119_91:                             ;   in Loop: Header=BB119_13 Depth=1
	s_or_b64 exec, exec, s[28:29]
	s_waitcnt lgkmcnt(0)
	v_cmp_eq_u32_e32 vcc, v0, v9
	s_and_b64 s[30:31], s[6:7], vcc
	s_barrier
	s_and_saveexec_b64 s[28:29], s[30:31]
	s_cbranch_execz .LBB119_93
; %bb.92:                               ;   in Loop: Header=BB119_13 Depth=1
	ds_write_b32 v52, v10
.LBB119_93:                             ;   in Loop: Header=BB119_13 Depth=1
	s_or_b64 exec, exec, s[28:29]
	v_add_co_u32_e32 v28, vcc, -1, v20
	s_add_u32 s25, s54, s76
	v_addc_co_u32_e32 v29, vcc, -1, v21, vcc
	s_addc_u32 s76, 0, s77
	s_mov_b64 s[28:29], 0
	v_mov_b32_e32 v30, v65
	v_mov_b32_e32 v31, v15
	v_pk_mov_b32 v[26:27], v[6:7], v[6:7] op_sel:[0,1]
	s_waitcnt lgkmcnt(0)
	s_barrier
	s_branch .LBB119_95
.LBB119_94:                             ;   in Loop: Header=BB119_95 Depth=2
	s_or_b64 exec, exec, s[30:31]
	v_add_co_u32_e32 v26, vcc, 16, v26
	v_addc_co_u32_e32 v27, vcc, 0, v27, vcc
	v_add_u32_e32 v0, -16, v26
	v_cmp_lt_u32_e32 vcc, s24, v0
	v_add_u32_e32 v31, 0x800, v31
	s_or_b64 s[28:29], vcc, s[28:29]
	v_add_u32_e32 v30, 64, v30
	s_andn2_b64 exec, exec, s[28:29]
	s_cbranch_execz .LBB119_12
.LBB119_95:                             ;   Parent Loop BB119_13 Depth=1
                                        ; =>  This Inner Loop Header: Depth=2
	ds_read_b32 v0, v30
	s_waitcnt lgkmcnt(0)
	v_cmp_ne_u32_e32 vcc, 0, v0
	s_and_saveexec_b64 s[30:31], vcc
	s_cbranch_execz .LBB119_94
; %bb.96:                               ;   in Loop: Header=BB119_95 Depth=2
	v_mov_b32_e32 v33, s76
	v_add_co_u32_e32 v32, vcc, s25, v26
	v_addc_co_u32_e32 v33, vcc, v33, v27, vcc
	v_ashrrev_i32_e32 v9, 31, v0
	v_add_co_u32_e32 v34, vcc, v20, v0
	v_addc_co_u32_e32 v35, vcc, v21, v9, vcc
	v_lshlrev_b64 v[34:35], 3, v[34:35]
	v_mov_b32_e32 v36, s39
	v_add_co_u32_e32 v34, vcc, s38, v34
	v_addc_co_u32_e32 v35, vcc, v36, v35, vcc
	global_store_dwordx2 v[34:35], v[32:33], off
	s_and_b64 exec, exec, s[68:69]
	s_cbranch_execz .LBB119_94
; %bb.97:                               ;   in Loop: Header=BB119_95 Depth=2
	v_add_co_u32_e32 v0, vcc, v28, v0
	v_addc_co_u32_e32 v9, vcc, v29, v9, vcc
	ds_read_b64 v[32:33], v31
	v_mul_lo_u32 v9, v9, s42
	v_mul_lo_u32 v36, v0, s43
	v_mad_u64_u32 v[34:35], s[78:79], v0, s42, 0
	v_add3_u32 v35, v35, v36, v9
	v_lshlrev_b64 v[34:35], 3, v[34:35]
	v_add_co_u32_e32 v34, vcc, v14, v34
	v_addc_co_u32_e32 v35, vcc, v1, v35, vcc
	s_waitcnt lgkmcnt(0)
	global_store_dwordx2 v[34:35], v[32:33], off
	s_branch .LBB119_94
.LBB119_98:
	s_endpgm
	.section	.rodata,"a",@progbits
	.p2align	6, 0x0
	.amdhsa_kernel _ZN9rocsparseL38bsrgemm_block_per_row_atomic_multipassILj256ELj128ELj4ElldEEv20rocsparse_direction_T3_S2_PKS2_S4_NS_24const_host_device_scalarIT4_EEPKT2_S4_PKS6_SA_S4_SC_S7_SA_S4_SC_SA_PS2_PS6_PS8_21rocsparse_index_base_SG_SG_SG_bbb
		.amdhsa_group_segment_fixed_size 18952
		.amdhsa_private_segment_fixed_size 0
		.amdhsa_kernarg_size 180
		.amdhsa_user_sgpr_count 6
		.amdhsa_user_sgpr_private_segment_buffer 1
		.amdhsa_user_sgpr_dispatch_ptr 0
		.amdhsa_user_sgpr_queue_ptr 0
		.amdhsa_user_sgpr_kernarg_segment_ptr 1
		.amdhsa_user_sgpr_dispatch_id 0
		.amdhsa_user_sgpr_flat_scratch_init 0
		.amdhsa_user_sgpr_kernarg_preload_length 0
		.amdhsa_user_sgpr_kernarg_preload_offset 0
		.amdhsa_user_sgpr_private_segment_size 0
		.amdhsa_uses_dynamic_stack 0
		.amdhsa_system_sgpr_private_segment_wavefront_offset 0
		.amdhsa_system_sgpr_workgroup_id_x 1
		.amdhsa_system_sgpr_workgroup_id_y 0
		.amdhsa_system_sgpr_workgroup_id_z 0
		.amdhsa_system_sgpr_workgroup_info 0
		.amdhsa_system_vgpr_workitem_id 0
		.amdhsa_next_free_vgpr 72
		.amdhsa_next_free_sgpr 96
		.amdhsa_accum_offset 72
		.amdhsa_reserve_vcc 1
		.amdhsa_reserve_flat_scratch 0
		.amdhsa_float_round_mode_32 0
		.amdhsa_float_round_mode_16_64 0
		.amdhsa_float_denorm_mode_32 3
		.amdhsa_float_denorm_mode_16_64 3
		.amdhsa_dx10_clamp 1
		.amdhsa_ieee_mode 1
		.amdhsa_fp16_overflow 0
		.amdhsa_tg_split 0
		.amdhsa_exception_fp_ieee_invalid_op 0
		.amdhsa_exception_fp_denorm_src 0
		.amdhsa_exception_fp_ieee_div_zero 0
		.amdhsa_exception_fp_ieee_overflow 0
		.amdhsa_exception_fp_ieee_underflow 0
		.amdhsa_exception_fp_ieee_inexact 0
		.amdhsa_exception_int_div_zero 0
	.end_amdhsa_kernel
	.section	.text._ZN9rocsparseL38bsrgemm_block_per_row_atomic_multipassILj256ELj128ELj4ElldEEv20rocsparse_direction_T3_S2_PKS2_S4_NS_24const_host_device_scalarIT4_EEPKT2_S4_PKS6_SA_S4_SC_S7_SA_S4_SC_SA_PS2_PS6_PS8_21rocsparse_index_base_SG_SG_SG_bbb,"axG",@progbits,_ZN9rocsparseL38bsrgemm_block_per_row_atomic_multipassILj256ELj128ELj4ElldEEv20rocsparse_direction_T3_S2_PKS2_S4_NS_24const_host_device_scalarIT4_EEPKT2_S4_PKS6_SA_S4_SC_S7_SA_S4_SC_SA_PS2_PS6_PS8_21rocsparse_index_base_SG_SG_SG_bbb,comdat
.Lfunc_end119:
	.size	_ZN9rocsparseL38bsrgemm_block_per_row_atomic_multipassILj256ELj128ELj4ElldEEv20rocsparse_direction_T3_S2_PKS2_S4_NS_24const_host_device_scalarIT4_EEPKT2_S4_PKS6_SA_S4_SC_S7_SA_S4_SC_SA_PS2_PS6_PS8_21rocsparse_index_base_SG_SG_SG_bbb, .Lfunc_end119-_ZN9rocsparseL38bsrgemm_block_per_row_atomic_multipassILj256ELj128ELj4ElldEEv20rocsparse_direction_T3_S2_PKS2_S4_NS_24const_host_device_scalarIT4_EEPKT2_S4_PKS6_SA_S4_SC_S7_SA_S4_SC_SA_PS2_PS6_PS8_21rocsparse_index_base_SG_SG_SG_bbb
                                        ; -- End function
	.section	.AMDGPU.csdata,"",@progbits
; Kernel info:
; codeLenInByte = 3976
; NumSgprs: 100
; NumVgprs: 72
; NumAgprs: 0
; TotalNumVgprs: 72
; ScratchSize: 0
; MemoryBound: 0
; FloatMode: 240
; IeeeMode: 1
; LDSByteSize: 18952 bytes/workgroup (compile time only)
; SGPRBlocks: 12
; VGPRBlocks: 8
; NumSGPRsForWavesPerEU: 100
; NumVGPRsForWavesPerEU: 72
; AccumOffset: 72
; Occupancy: 3
; WaveLimiterHint : 1
; COMPUTE_PGM_RSRC2:SCRATCH_EN: 0
; COMPUTE_PGM_RSRC2:USER_SGPR: 6
; COMPUTE_PGM_RSRC2:TRAP_HANDLER: 0
; COMPUTE_PGM_RSRC2:TGID_X_EN: 1
; COMPUTE_PGM_RSRC2:TGID_Y_EN: 0
; COMPUTE_PGM_RSRC2:TGID_Z_EN: 0
; COMPUTE_PGM_RSRC2:TIDIG_COMP_CNT: 0
; COMPUTE_PGM_RSRC3_GFX90A:ACCUM_OFFSET: 17
; COMPUTE_PGM_RSRC3_GFX90A:TG_SPLIT: 0
	.section	.text._ZN9rocsparseL23bsrgemm_fill_wf_per_rowILj256ELj64ELj8ELj137ELj8ElldEEv20rocsparse_direction_T5_S2_S2_PKS2_S4_NS_24const_host_device_scalarIT6_EEPKT4_S4_PKS6_SA_S4_SC_S7_SA_S4_SC_SA_PS2_PS6_21rocsparse_index_base_SF_SF_SF_bbb,"axG",@progbits,_ZN9rocsparseL23bsrgemm_fill_wf_per_rowILj256ELj64ELj8ELj137ELj8ElldEEv20rocsparse_direction_T5_S2_S2_PKS2_S4_NS_24const_host_device_scalarIT6_EEPKT4_S4_PKS6_SA_S4_SC_S7_SA_S4_SC_SA_PS2_PS6_21rocsparse_index_base_SF_SF_SF_bbb,comdat
	.globl	_ZN9rocsparseL23bsrgemm_fill_wf_per_rowILj256ELj64ELj8ELj137ELj8ElldEEv20rocsparse_direction_T5_S2_S2_PKS2_S4_NS_24const_host_device_scalarIT6_EEPKT4_S4_PKS6_SA_S4_SC_S7_SA_S4_SC_SA_PS2_PS6_21rocsparse_index_base_SF_SF_SF_bbb ; -- Begin function _ZN9rocsparseL23bsrgemm_fill_wf_per_rowILj256ELj64ELj8ELj137ELj8ElldEEv20rocsparse_direction_T5_S2_S2_PKS2_S4_NS_24const_host_device_scalarIT6_EEPKT4_S4_PKS6_SA_S4_SC_S7_SA_S4_SC_SA_PS2_PS6_21rocsparse_index_base_SF_SF_SF_bbb
	.p2align	8
	.type	_ZN9rocsparseL23bsrgemm_fill_wf_per_rowILj256ELj64ELj8ELj137ELj8ElldEEv20rocsparse_direction_T5_S2_S2_PKS2_S4_NS_24const_host_device_scalarIT6_EEPKT4_S4_PKS6_SA_S4_SC_S7_SA_S4_SC_SA_PS2_PS6_21rocsparse_index_base_SF_SF_SF_bbb,@function
_ZN9rocsparseL23bsrgemm_fill_wf_per_rowILj256ELj64ELj8ELj137ELj8ElldEEv20rocsparse_direction_T5_S2_S2_PKS2_S4_NS_24const_host_device_scalarIT6_EEPKT4_S4_PKS6_SA_S4_SC_S7_SA_S4_SC_SA_PS2_PS6_21rocsparse_index_base_SF_SF_SF_bbb: ; @_ZN9rocsparseL23bsrgemm_fill_wf_per_rowILj256ELj64ELj8ELj137ELj8ElldEEv20rocsparse_direction_T5_S2_S2_PKS2_S4_NS_24const_host_device_scalarIT6_EEPKT4_S4_PKS6_SA_S4_SC_S7_SA_S4_SC_SA_PS2_PS6_21rocsparse_index_base_SF_SF_SF_bbb
; %bb.0:
	s_load_dword s7, s[4:5], 0xb0
	s_load_dwordx2 s[2:3], s[4:5], 0x30
	s_load_dwordx2 s[8:9], s[4:5], 0x68
	s_waitcnt lgkmcnt(0)
	s_and_b32 s0, 1, s7
	s_bitcmp1_b32 s7, 16
	s_cselect_b64 s[10:11], -1, 0
	s_cmp_eq_u32 s0, 1
	s_cselect_b64 s[0:1], -1, 0
	s_and_b64 s[12:13], s[0:1], exec
	s_cselect_b32 s13, s3, 0
	s_cselect_b32 s12, s2, 0
	s_xor_b64 s[14:15], s[0:1], -1
	s_or_b64 s[14:15], s[14:15], s[10:11]
	s_and_b64 vcc, exec, s[14:15]
	v_pk_mov_b32 v[14:15], s[12:13], s[12:13] op_sel:[0,1]
	s_cbranch_vccnz .LBB120_2
; %bb.1:
	v_pk_mov_b32 v[2:3], s[2:3], s[2:3] op_sel:[0,1]
	flat_load_dwordx2 v[14:15], v[2:3]
.LBB120_2:
	s_bitcmp1_b32 s7, 8
	s_load_dwordx4 s[36:39], s[4:5], 0xa0
	s_cselect_b64 s[2:3], -1, 0
	s_and_b64 s[12:13], s[2:3], exec
	s_cselect_b32 s13, s9, 0
	s_cselect_b32 s12, s8, 0
	s_xor_b64 s[14:15], s[2:3], -1
	s_or_b64 s[10:11], s[14:15], s[10:11]
	s_and_b64 vcc, exec, s[10:11]
	v_pk_mov_b32 v[6:7], s[12:13], s[12:13] op_sel:[0,1]
	s_cbranch_vccnz .LBB120_4
; %bb.3:
	v_pk_mov_b32 v[2:3], s[8:9], s[8:9] op_sel:[0,1]
	flat_load_dwordx2 v[6:7], v[2:3]
.LBB120_4:
	s_load_dwordx4 s[40:43], s[4:5], 0x90
	s_load_dwordx8 s[16:23], s[4:5], 0x70
	s_load_dwordx4 s[44:47], s[4:5], 0x58
	s_load_dwordx8 s[8:15], s[4:5], 0x8
	s_load_dwordx2 s[34:35], s[4:5], 0x28
	s_load_dwordx8 s[24:31], s[4:5], 0x38
	v_and_b32_e32 v1, 63, v0
	v_and_b32_e32 v2, 0xc0, v0
	v_lshrrev_b32_e32 v41, 6, v0
	v_or_b32_e32 v40, 0x4000, v2
	v_cmp_gt_u32_e32 vcc, 8, v1
	s_and_saveexec_b64 s[48:49], vcc
	s_cbranch_execz .LBB120_6
; %bb.5:
	v_lshl_add_u32 v4, v1, 3, v40
	s_waitcnt lgkmcnt(0)
	v_pk_mov_b32 v[2:3], s[10:11], s[10:11] op_sel:[0,1]
	ds_write_b64 v4, v[2:3]
.LBB120_6:
	s_or_b64 exec, exec, s[48:49]
	v_lshlrev_b32_e32 v42, 12, v41
	v_mov_b32_e32 v2, 0
	v_or_b32_e32 v4, 0xffffffc0, v1
	v_lshl_or_b32 v5, v1, 3, v42
	s_mov_b64 s[48:49], 0
	v_mov_b32_e32 v3, v2
	s_movk_i32 s7, 0x1bf
.LBB120_7:                              ; =>This Inner Loop Header: Depth=1
	v_add_u32_e32 v4, 64, v4
	v_cmp_lt_u32_e32 vcc, s7, v4
	ds_write_b64 v5, v[2:3]
	s_or_b64 s[48:49], vcc, s[48:49]
	v_add_u32_e32 v5, 0x200, v5
	s_andn2_b64 exec, exec, s[48:49]
	s_cbranch_execnz .LBB120_7
; %bb.8:
	s_or_b64 exec, exec, s[48:49]
	v_lshl_or_b32 v2, s6, 2, v41
	v_mov_b32_e32 v3, 0
	s_waitcnt lgkmcnt(0)
	v_cmp_gt_i64_e32 vcc, s[8:9], v[2:3]
	s_barrier
	s_and_saveexec_b64 s[6:7], vcc
	s_cbranch_execz .LBB120_62
; %bb.9:
	s_cmp_eq_u64 s[34:35], 0
	s_cbranch_scc1 .LBB120_11
; %bb.10:
	s_load_dwordx2 s[6:7], s[14:15], 0x0
	v_lshlrev_b64 v[2:3], 3, v[2:3]
	s_waitcnt lgkmcnt(0)
	s_lshl_b64 s[6:7], s[6:7], 3
	s_add_u32 s6, s34, s6
	s_addc_u32 s7, s35, s7
	v_mov_b32_e32 v4, s7
	v_add_co_u32_e32 v2, vcc, s6, v2
	v_addc_co_u32_e32 v3, vcc, v4, v3, vcc
	global_load_dwordx2 v[2:3], v[2:3], off
.LBB120_11:
	s_load_dword s63, s[4:5], 0x0
	v_lshrrev_b32_e32 v10, 3, v1
	v_lshlrev_b32_e32 v1, 6, v0
	v_and_b32_e32 v8, 7, v0
	v_and_b32_e32 v1, 0x3000, v1
	s_andn2_b64 vcc, exec, s[0:1]
	s_waitcnt vmcnt(0)
	v_lshlrev_b64 v[12:13], 3, v[2:3]
	s_mul_i32 s33, s12, s13
	s_mul_hi_u32 s62, s12, s12
	s_mul_i32 s4, s12, s12
	s_cbranch_vccnz .LBB120_39
; %bb.12:
	v_mov_b32_e32 v3, s25
	v_add_co_u32_e32 v2, vcc, s24, v12
	v_addc_co_u32_e32 v3, vcc, v3, v13, vcc
	global_load_dwordx4 v[2:5], v[2:3], off
	s_waitcnt vmcnt(0)
	v_cmp_lt_i64_e32 vcc, v[2:3], v[4:5]
	s_and_saveexec_b64 s[6:7], vcc
	s_cbranch_execz .LBB120_38
; %bb.13:
	v_subrev_co_u32_e32 v16, vcc, s36, v4
	v_subbrev_co_u32_e32 v17, vcc, 0, v5, vcc
	v_subrev_co_u32_e32 v18, vcc, s36, v2
	v_mov_b32_e32 v9, 0
	v_subbrev_co_u32_e32 v19, vcc, 0, v3, vcc
	v_mov_b32_e32 v11, v9
	v_cmp_gt_i64_e32 vcc, s[12:13], v[8:9]
	v_cmp_gt_u64_e64 s[0:1], s[12:13], v[10:11]
	s_waitcnt lgkmcnt(0)
	s_cmp_lg_u32 s63, 0
	s_cselect_b64 s[34:35], -1, 0
	v_and_b32_e32 v2, 56, v0
	s_and_b64 s[8:9], vcc, s[0:1]
	s_add_i32 s0, s62, s33
	v_lshlrev_b32_e32 v20, 3, v8
	v_lshlrev_b32_e32 v2, 3, v2
	s_add_i32 s5, s0, s33
	v_add3_u32 v11, v1, v20, v2
	v_mul_lo_u32 v4, s5, v18
	v_mul_lo_u32 v5, s4, v19
	v_mad_u64_u32 v[2:3], s[0:1], s4, v18, 0
	v_add3_u32 v3, v3, v5, v4
	v_lshlrev_b64 v[2:3], 3, v[2:3]
	v_lshlrev_b32_e32 v4, 3, v10
	v_add_co_u32_e32 v2, vcc, v2, v4
	v_addc_co_u32_e32 v3, vcc, 0, v3, vcc
	v_mov_b32_e32 v5, s29
	v_add_co_u32_e32 v22, vcc, s28, v2
	v_mov_b32_e32 v21, v9
	v_addc_co_u32_e32 v23, vcc, v5, v3, vcc
	v_mul_lo_u32 v5, s13, v18
	v_mul_lo_u32 v9, s12, v19
	v_mad_u64_u32 v[2:3], s[0:1], s12, v18, 0
	v_add3_u32 v3, v3, v9, v5
	v_lshlrev_b64 v[2:3], 3, v[2:3]
	v_add_co_u32_e32 v4, vcc, v2, v4
	v_addc_co_u32_e32 v2, vcc, 0, v3, vcc
	v_mul_lo_u32 v5, s12, v2
	v_pk_mov_b32 v[2:3], s[28:29], s[28:29] op_sel:[0,1]
	v_mad_u64_u32 v[24:25], s[0:1], s12, v4, v[2:3]
	v_mov_b32_e32 v2, s47
	v_add_co_u32_e32 v26, vcc, s46, v20
	s_mov_b32 s48, 0
	s_lshl_b64 s[14:15], s[12:13], 3
	v_mul_lo_u32 v9, s13, v4
	v_addc_co_u32_e32 v27, vcc, 0, v2, vcc
	v_cndmask_b32_e64 v2, 0, 1, s[34:35]
	s_mov_b32 s64, s36
	s_mov_b32 s65, s37
	;; [unrolled: 1-line block ×3, first 2 shown]
	s_lshl_b64 s[24:25], s[4:5], 3
	v_add3_u32 v25, v9, v25, v5
	s_mov_b64 s[28:29], 0
	v_mov_b32_e32 v9, s27
	v_mov_b32_e32 v43, s48
	;; [unrolled: 1-line block ×3, first 2 shown]
	v_cmp_ne_u32_e64 s[0:1], 1, v2
	v_mov_b32_e32 v45, s15
	s_branch .LBB120_15
.LBB120_14:                             ;   in Loop: Header=BB120_15 Depth=1
	s_or_b64 exec, exec, s[34:35]
	v_add_co_u32_e32 v18, vcc, 1, v18
	v_addc_co_u32_e32 v19, vcc, 0, v19, vcc
	v_mov_b32_e32 v2, s25
	v_add_co_u32_e32 v22, vcc, s24, v22
	v_addc_co_u32_e32 v23, vcc, v23, v2, vcc
	v_cmp_ge_i64_e32 vcc, v[18:19], v[16:17]
	s_or_b64 s[28:29], vcc, s[28:29]
	v_add_co_u32_e32 v24, vcc, s24, v24
	v_addc_co_u32_e32 v25, vcc, v25, v2, vcc
	s_andn2_b64 exec, exec, s[28:29]
	s_cbranch_execz .LBB120_38
.LBB120_15:                             ; =>This Loop Header: Depth=1
                                        ;     Child Loop BB120_18 Depth 2
                                        ;       Child Loop BB120_25 Depth 3
                                        ;       Child Loop BB120_21 Depth 3
	;; [unrolled: 1-line block ×3, first 2 shown]
	v_lshlrev_b64 v[2:3], 3, v[18:19]
	v_add_co_u32_e32 v2, vcc, s26, v2
	v_addc_co_u32_e32 v3, vcc, v9, v3, vcc
	global_load_dwordx2 v[2:3], v[2:3], off
	s_waitcnt vmcnt(0)
	v_subrev_co_u32_e32 v2, vcc, s64, v2
	v_subb_co_u32_e32 v3, vcc, v3, v43, vcc
	v_lshlrev_b64 v[2:3], 3, v[2:3]
	v_add_co_u32_e32 v2, vcc, s30, v2
	v_addc_co_u32_e32 v3, vcc, v44, v3, vcc
	global_load_dwordx4 v[2:5], v[2:3], off
	s_waitcnt vmcnt(0)
	v_cmp_lt_i64_e32 vcc, v[2:3], v[4:5]
	s_and_saveexec_b64 s[34:35], vcc
	s_cbranch_execz .LBB120_14
; %bb.16:                               ;   in Loop: Header=BB120_15 Depth=1
	v_mov_b32_e32 v28, s66
	v_subrev_co_u32_e32 v4, vcc, s65, v4
	v_subb_co_u32_e32 v5, vcc, v5, v28, vcc
	v_subrev_co_u32_e32 v2, vcc, s65, v2
	v_subb_co_u32_e32 v3, vcc, v3, v28, vcc
	v_mul_lo_u32 v30, s14, v3
	v_mul_lo_u32 v31, s15, v2
	v_mad_u64_u32 v[28:29], s[36:37], s14, v2, v[20:21]
	v_add3_u32 v29, v31, v29, v30
	v_pk_mov_b32 v[30:31], s[46:47], s[46:47] op_sel:[0,1]
	v_mul_lo_u32 v32, s12, v29
	v_mul_lo_u32 v33, s13, v28
	v_mad_u64_u32 v[28:29], s[36:37], s12, v28, v[30:31]
	v_add3_u32 v29, v33, v29, v32
	v_mul_lo_u32 v32, s24, v3
	v_mul_lo_u32 v33, s25, v2
	v_mad_u64_u32 v[30:31], s[36:37], s24, v2, v[26:27]
	v_add3_u32 v31, v33, v31, v32
	s_mov_b64 s[36:37], 0
	s_branch .LBB120_18
.LBB120_17:                             ;   in Loop: Header=BB120_18 Depth=2
	s_or_b64 exec, exec, s[48:49]
	v_add_co_u32_e32 v2, vcc, 1, v2
	v_addc_co_u32_e32 v3, vcc, 0, v3, vcc
	v_mov_b32_e32 v32, s25
	v_add_co_u32_e32 v28, vcc, s24, v28
	v_addc_co_u32_e32 v29, vcc, v29, v32, vcc
	v_cmp_ge_i64_e32 vcc, v[2:3], v[4:5]
	s_or_b64 s[36:37], vcc, s[36:37]
	v_add_co_u32_e32 v30, vcc, s24, v30
	v_addc_co_u32_e32 v31, vcc, v31, v32, vcc
	s_andn2_b64 exec, exec, s[36:37]
	s_cbranch_execz .LBB120_14
.LBB120_18:                             ;   Parent Loop BB120_15 Depth=1
                                        ; =>  This Loop Header: Depth=2
                                        ;       Child Loop BB120_25 Depth 3
                                        ;       Child Loop BB120_21 Depth 3
	;; [unrolled: 1-line block ×3, first 2 shown]
	s_and_saveexec_b64 s[48:49], s[8:9]
	s_cbranch_execz .LBB120_17
; %bb.19:                               ;   in Loop: Header=BB120_18 Depth=2
	v_lshlrev_b64 v[32:33], 3, v[2:3]
	v_mov_b32_e32 v34, s45
	v_add_co_u32_e32 v32, vcc, s44, v32
	v_addc_co_u32_e32 v33, vcc, v34, v33, vcc
	global_load_dwordx2 v[32:33], v[32:33], off
	s_and_b64 vcc, exec, s[0:1]
	s_cbranch_vccnz .LBB120_23
; %bb.20:                               ;   in Loop: Header=BB120_18 Depth=2
	v_pk_mov_b32 v[34:35], 0, 0
	v_pk_mov_b32 v[36:37], v[22:23], v[22:23] op_sel:[0,1]
	s_mov_b64 s[50:51], s[12:13]
	v_pk_mov_b32 v[38:39], v[28:29], v[28:29] op_sel:[0,1]
.LBB120_21:                             ;   Parent Loop BB120_15 Depth=1
                                        ;     Parent Loop BB120_18 Depth=2
                                        ; =>    This Inner Loop Header: Depth=3
	global_load_dwordx2 v[46:47], v[36:37], off
	global_load_dwordx2 v[48:49], v[38:39], off
	v_add_co_u32_e32 v38, vcc, 8, v38
	v_addc_co_u32_e32 v39, vcc, 0, v39, vcc
	s_add_u32 s50, s50, -1
	v_add_co_u32_e32 v36, vcc, s14, v36
	s_addc_u32 s51, s51, -1
	v_addc_co_u32_e32 v37, vcc, v37, v45, vcc
	s_cmp_lg_u64 s[50:51], 0
	s_waitcnt vmcnt(0)
	v_fmac_f64_e32 v[34:35], v[46:47], v[48:49]
	s_cbranch_scc1 .LBB120_21
; %bb.22:                               ;   in Loop: Header=BB120_18 Depth=2
	s_branch .LBB120_26
.LBB120_23:                             ;   in Loop: Header=BB120_18 Depth=2
                                        ; implicit-def: $vgpr34_vgpr35
	s_cbranch_execz .LBB120_26
; %bb.24:                               ;   in Loop: Header=BB120_18 Depth=2
	v_pk_mov_b32 v[34:35], 0, 0
	v_pk_mov_b32 v[36:37], v[30:31], v[30:31] op_sel:[0,1]
	s_mov_b64 s[50:51], s[12:13]
	v_pk_mov_b32 v[38:39], v[24:25], v[24:25] op_sel:[0,1]
.LBB120_25:                             ;   Parent Loop BB120_15 Depth=1
                                        ;     Parent Loop BB120_18 Depth=2
                                        ; =>    This Inner Loop Header: Depth=3
	global_load_dwordx2 v[46:47], v[38:39], off
	global_load_dwordx2 v[48:49], v[36:37], off
	v_add_co_u32_e32 v38, vcc, 8, v38
	v_addc_co_u32_e32 v39, vcc, 0, v39, vcc
	s_add_u32 s50, s50, -1
	v_add_co_u32_e32 v36, vcc, s14, v36
	s_addc_u32 s51, s51, -1
	v_addc_co_u32_e32 v37, vcc, v37, v45, vcc
	s_cmp_eq_u64 s[50:51], 0
	s_waitcnt vmcnt(0)
	v_fmac_f64_e32 v[34:35], v[46:47], v[48:49]
	s_cbranch_scc0 .LBB120_25
.LBB120_26:                             ;   in Loop: Header=BB120_18 Depth=2
	v_mov_b32_e32 v36, s66
	s_waitcnt vmcnt(0)
	v_subrev_co_u32_e32 v32, vcc, s65, v32
	v_subb_co_u32_e32 v33, vcc, v33, v36, vcc
	v_mul_f64 v[34:35], v[14:15], v[34:35]
	v_and_b32_e32 v36, 7, v32
	s_mov_b64 s[50:51], 0
	s_branch .LBB120_28
.LBB120_27:                             ;   in Loop: Header=BB120_28 Depth=3
	s_or_b64 exec, exec, s[52:53]
	s_xor_b64 s[52:53], s[54:55], -1
	s_and_b64 s[52:53], exec, s[52:53]
	s_or_b64 s[50:51], s[52:53], s[50:51]
	s_andn2_b64 exec, exec, s[50:51]
	s_cbranch_execz .LBB120_17
.LBB120_28:                             ;   Parent Loop BB120_15 Depth=1
                                        ;     Parent Loop BB120_18 Depth=2
                                        ; =>    This Inner Loop Header: Depth=3
	v_lshl_add_u32 v37, v36, 3, v40
	ds_read_b64 v[38:39], v37
                                        ; implicit-def: $sgpr54_sgpr55
	s_waitcnt lgkmcnt(0)
	v_cmp_ne_u64_e32 vcc, v[38:39], v[32:33]
	s_and_saveexec_b64 s[52:53], vcc
	s_xor_b64 s[52:53], exec, s[52:53]
	s_cbranch_execz .LBB120_36
; %bb.29:                               ;   in Loop: Header=BB120_28 Depth=3
	v_cmp_ne_u64_e32 vcc, s[10:11], v[38:39]
                                        ; implicit-def: $sgpr54_sgpr55
	s_and_saveexec_b64 s[56:57], vcc
	s_xor_b64 s[56:57], exec, s[56:57]
; %bb.30:                               ;   in Loop: Header=BB120_28 Depth=3
	v_add_u32_e32 v36, 1, v36
	v_and_b32_e32 v36, 7, v36
	s_mov_b64 s[54:55], -1
                                        ; implicit-def: $vgpr37
; %bb.31:                               ;   in Loop: Header=BB120_28 Depth=3
	s_andn2_saveexec_b64 s[56:57], s[56:57]
	s_cbranch_execz .LBB120_35
; %bb.32:                               ;   in Loop: Header=BB120_28 Depth=3
	v_pk_mov_b32 v[38:39], s[10:11], s[10:11] op_sel:[0,1]
	ds_cmpst_rtn_b64 v[38:39], v37, v[38:39], v[32:33]
	s_mov_b64 s[58:59], -1
	s_waitcnt lgkmcnt(0)
	v_cmp_eq_u64_e32 vcc, s[10:11], v[38:39]
	s_and_saveexec_b64 s[60:61], vcc
	s_cbranch_execz .LBB120_34
; %bb.33:                               ;   in Loop: Header=BB120_28 Depth=3
	v_lshl_add_u32 v37, v36, 9, v11
	ds_add_f64 v37, v[34:35]
	s_xor_b64 s[58:59], exec, -1
.LBB120_34:                             ;   in Loop: Header=BB120_28 Depth=3
	s_or_b64 exec, exec, s[60:61]
	s_andn2_b64 s[54:55], s[54:55], exec
	s_and_b64 s[58:59], s[58:59], exec
	s_or_b64 s[54:55], s[54:55], s[58:59]
.LBB120_35:                             ;   in Loop: Header=BB120_28 Depth=3
	s_or_b64 exec, exec, s[56:57]
	s_and_b64 s[54:55], s[54:55], exec
.LBB120_36:                             ;   in Loop: Header=BB120_28 Depth=3
	s_andn2_saveexec_b64 s[52:53], s[52:53]
	s_cbranch_execz .LBB120_27
; %bb.37:                               ;   in Loop: Header=BB120_28 Depth=3
	v_lshl_add_u32 v37, v36, 9, v11
	ds_add_f64 v37, v[34:35]
	s_andn2_b64 s[54:55], s[54:55], exec
	s_branch .LBB120_27
.LBB120_38:
	s_or_b64 exec, exec, s[6:7]
.LBB120_39:
	s_andn2_b64 vcc, exec, s[2:3]
	s_waitcnt lgkmcnt(0)
	s_barrier
	s_cbranch_vccnz .LBB120_57
; %bb.40:
	v_mov_b32_e32 v3, s17
	v_add_co_u32_e32 v2, vcc, s16, v12
	v_addc_co_u32_e32 v3, vcc, v3, v13, vcc
	global_load_dwordx4 v[2:5], v[2:3], off
	s_waitcnt vmcnt(0)
	v_cmp_lt_i64_e32 vcc, v[2:3], v[4:5]
	s_and_saveexec_b64 s[6:7], vcc
	s_cbranch_execz .LBB120_56
; %bb.41:
	v_mad_u64_u32 v[14:15], s[2:3], v8, s12, 0
	v_subrev_co_u32_e32 v4, vcc, s39, v4
	v_mov_b32_e32 v16, v15
	v_subbrev_co_u32_e32 v5, vcc, 0, v5, vcc
	v_mad_u64_u32 v[16:17], s[2:3], v8, s13, v[16:17]
	v_subrev_co_u32_e32 v2, vcc, s39, v2
	v_mov_b32_e32 v15, v16
	v_subbrev_co_u32_e32 v3, vcc, 0, v3, vcc
	v_mov_b32_e32 v9, 0
	v_lshlrev_b64 v[14:15], 3, v[14:15]
	v_cmp_gt_i64_e32 vcc, s[12:13], v[8:9]
	v_mov_b32_e32 v11, v9
	v_mov_b32_e32 v9, s21
	v_add_co_u32_e64 v16, s[2:3], s20, v14
	v_addc_co_u32_e64 v17, s[2:3], v9, v15, s[2:3]
	v_lshlrev_b64 v[14:15], 3, v[10:11]
	v_cmp_gt_u64_e64 s[0:1], s[12:13], v[10:11]
	v_add_co_u32_e64 v11, s[2:3], v16, v14
	v_addc_co_u32_e64 v19, s[2:3], v17, v15, s[2:3]
	v_mad_u64_u32 v[14:15], s[2:3], v10, s12, 0
	v_mov_b32_e32 v16, v15
	v_mad_u64_u32 v[16:17], s[2:3], v10, s13, v[16:17]
	v_mov_b32_e32 v15, v16
	v_lshlrev_b64 v[14:15], 3, v[14:15]
	v_add_co_u32_e64 v14, s[2:3], s20, v14
	v_lshlrev_b32_e32 v18, 3, v8
	v_addc_co_u32_e64 v9, s[2:3], v9, v15, s[2:3]
	v_add_co_u32_e64 v14, s[2:3], v14, v18
	s_cmp_eq_u32 s63, 0
	v_addc_co_u32_e64 v15, s[2:3], 0, v9, s[2:3]
	v_and_b32_e32 v9, 56, v0
	s_cselect_b64 s[2:3], -1, 0
	s_add_i32 s8, s62, s33
	v_lshlrev_b32_e32 v9, 3, v9
	s_mov_b32 s5, 0
	s_mov_b32 s30, s39
	s_add_i32 s31, s8, s33
	v_add3_u32 v9, v1, v18, v9
	s_and_b64 s[0:1], vcc, s[0:1]
	v_cndmask_b32_e64 v1, v19, v15, s[2:3]
	v_cndmask_b32_e64 v14, v11, v14, s[2:3]
	s_mov_b64 s[2:3], 0
	s_branch .LBB120_43
.LBB120_42:                             ;   in Loop: Header=BB120_43 Depth=1
	s_or_b64 exec, exec, s[8:9]
	v_add_co_u32_e32 v2, vcc, 1, v2
	v_addc_co_u32_e32 v3, vcc, 0, v3, vcc
	v_cmp_ge_i64_e32 vcc, v[2:3], v[4:5]
	s_or_b64 s[2:3], vcc, s[2:3]
	s_andn2_b64 exec, exec, s[2:3]
	s_cbranch_execz .LBB120_56
.LBB120_43:                             ; =>This Loop Header: Depth=1
                                        ;     Child Loop BB120_46 Depth 2
	s_and_saveexec_b64 s[8:9], s[0:1]
	s_cbranch_execz .LBB120_42
; %bb.44:                               ;   in Loop: Header=BB120_43 Depth=1
	v_lshlrev_b64 v[16:17], 3, v[2:3]
	v_mov_b32_e32 v11, s19
	v_add_co_u32_e32 v16, vcc, s18, v16
	v_addc_co_u32_e32 v17, vcc, v11, v17, vcc
	v_mul_lo_u32 v11, s31, v2
	v_mul_lo_u32 v15, s4, v3
	v_mad_u64_u32 v[18:19], s[14:15], s4, v2, 0
	v_add3_u32 v19, v19, v15, v11
	v_lshlrev_b64 v[18:19], 3, v[18:19]
	v_add_co_u32_e32 v18, vcc, v14, v18
	global_load_dwordx2 v[16:17], v[16:17], off
	v_addc_co_u32_e32 v19, vcc, v1, v19, vcc
	global_load_dwordx2 v[18:19], v[18:19], off
	v_mov_b32_e32 v11, s5
	s_mov_b64 s[14:15], 0
	s_waitcnt vmcnt(1)
	v_subrev_co_u32_e32 v16, vcc, s30, v16
	v_subb_co_u32_e32 v17, vcc, v17, v11, vcc
	v_and_b32_e32 v20, 7, v16
	s_waitcnt vmcnt(0)
	v_mul_f64 v[18:19], v[6:7], v[18:19]
	s_branch .LBB120_46
.LBB120_45:                             ;   in Loop: Header=BB120_46 Depth=2
	s_or_b64 exec, exec, s[16:17]
	s_xor_b64 s[16:17], s[20:21], -1
	s_and_b64 s[16:17], exec, s[16:17]
	s_or_b64 s[14:15], s[16:17], s[14:15]
	s_andn2_b64 exec, exec, s[14:15]
	s_cbranch_execz .LBB120_42
.LBB120_46:                             ;   Parent Loop BB120_43 Depth=1
                                        ; =>  This Inner Loop Header: Depth=2
	v_lshl_add_u32 v11, v20, 3, v40
	ds_read_b64 v[22:23], v11
                                        ; implicit-def: $sgpr20_sgpr21
	s_waitcnt lgkmcnt(0)
	v_cmp_ne_u64_e32 vcc, v[22:23], v[16:17]
	s_and_saveexec_b64 s[16:17], vcc
	s_xor_b64 s[16:17], exec, s[16:17]
	s_cbranch_execz .LBB120_54
; %bb.47:                               ;   in Loop: Header=BB120_46 Depth=2
	v_cmp_ne_u64_e32 vcc, s[10:11], v[22:23]
                                        ; implicit-def: $sgpr20_sgpr21
	s_and_saveexec_b64 s[24:25], vcc
	s_xor_b64 s[24:25], exec, s[24:25]
; %bb.48:                               ;   in Loop: Header=BB120_46 Depth=2
	v_add_u32_e32 v11, 1, v20
	v_and_b32_e32 v20, 7, v11
	s_mov_b64 s[20:21], -1
                                        ; implicit-def: $vgpr11
; %bb.49:                               ;   in Loop: Header=BB120_46 Depth=2
	s_andn2_saveexec_b64 s[24:25], s[24:25]
	s_cbranch_execz .LBB120_53
; %bb.50:                               ;   in Loop: Header=BB120_46 Depth=2
	v_pk_mov_b32 v[22:23], s[10:11], s[10:11] op_sel:[0,1]
	ds_cmpst_rtn_b64 v[22:23], v11, v[22:23], v[16:17]
	s_mov_b64 s[26:27], -1
	s_waitcnt lgkmcnt(0)
	v_cmp_eq_u64_e32 vcc, s[10:11], v[22:23]
	s_and_saveexec_b64 s[28:29], vcc
	s_cbranch_execz .LBB120_52
; %bb.51:                               ;   in Loop: Header=BB120_46 Depth=2
	v_lshl_add_u32 v11, v20, 9, v9
	ds_add_f64 v11, v[18:19]
	s_xor_b64 s[26:27], exec, -1
.LBB120_52:                             ;   in Loop: Header=BB120_46 Depth=2
	s_or_b64 exec, exec, s[28:29]
	s_andn2_b64 s[20:21], s[20:21], exec
	s_and_b64 s[26:27], s[26:27], exec
	s_or_b64 s[20:21], s[20:21], s[26:27]
.LBB120_53:                             ;   in Loop: Header=BB120_46 Depth=2
	s_or_b64 exec, exec, s[24:25]
	s_and_b64 s[20:21], s[20:21], exec
.LBB120_54:                             ;   in Loop: Header=BB120_46 Depth=2
	s_andn2_saveexec_b64 s[16:17], s[16:17]
	s_cbranch_execz .LBB120_45
; %bb.55:                               ;   in Loop: Header=BB120_46 Depth=2
	v_lshl_add_u32 v11, v20, 9, v9
	ds_add_f64 v11, v[18:19]
	s_andn2_b64 s[20:21], s[20:21], exec
	s_branch .LBB120_45
.LBB120_56:
	s_or_b64 exec, exec, s[6:7]
.LBB120_57:
	v_mov_b32_e32 v1, s23
	v_add_co_u32_e32 v2, vcc, s22, v12
	v_addc_co_u32_e32 v3, vcc, v1, v13, vcc
	s_waitcnt lgkmcnt(0)
	s_barrier
	global_load_dwordx2 v[2:3], v[2:3], off
	s_cmp_eq_u32 s63, 0
	v_mad_u64_u32 v[6:7], s[0:1], v10, s12, 0
	v_lshlrev_b32_e32 v12, 3, v8
	v_and_b32_e32 v1, 56, v0
	s_cselect_b64 s[0:1], -1, 0
	v_mov_b32_e32 v0, v7
	v_mov_b32_e32 v9, 0
	v_cndmask_b32_e64 v5, v12, v1, s[0:1]
	v_mad_u64_u32 v[0:1], s[8:9], v10, s13, v[0:1]
	v_mov_b32_e32 v11, v9
	v_cndmask_b32_e64 v1, v10, v8, s[0:1]
	v_mov_b32_e32 v7, v0
	v_cmp_gt_i64_e32 vcc, s[12:13], v[8:9]
	v_cmp_gt_u64_e64 s[2:3], s[12:13], v[10:11]
	v_or_b32_e32 v5, v1, v5
	v_lshlrev_b64 v[0:1], 3, v[6:7]
	v_mov_b32_e32 v13, s43
	s_and_b64 s[0:1], vcc, s[2:3]
	v_add_co_u32_e32 v0, vcc, s42, v0
	v_addc_co_u32_e32 v1, vcc, v13, v1, vcc
	v_add_co_u32_e32 v6, vcc, v0, v12
	v_addc_co_u32_e32 v7, vcc, 0, v1, vcc
	s_mov_b32 s5, 0
	v_mov_b32_e32 v4, 0x4000
	s_add_i32 s6, s62, s33
	v_lshl_or_b32 v4, v41, 6, v4
	s_add_i32 s6, s6, s33
	v_lshl_add_u32 v5, v5, 3, v42
	s_mov_b32 s7, s5
	s_waitcnt vmcnt(0)
	v_subrev_co_u32_e32 v8, vcc, s38, v2
	v_subbrev_co_u32_e32 v9, vcc, 0, v3, vcc
	s_branch .LBB120_59
.LBB120_58:                             ;   in Loop: Header=BB120_59 Depth=1
	s_or_b64 exec, exec, s[2:3]
	s_add_i32 s7, s7, 8
	s_cmp_lg_u32 s7, 64
	v_add_u32_e32 v5, 0x200, v5
	s_cbranch_scc0 .LBB120_62
.LBB120_59:                             ; =>This Inner Loop Header: Depth=1
	v_add_u32_e32 v0, s7, v4
	ds_read_b64 v[0:1], v0
	s_waitcnt lgkmcnt(0)
	v_cmp_gt_i64_e32 vcc, s[10:11], v[0:1]
	s_and_saveexec_b64 s[2:3], vcc
	s_cbranch_execz .LBB120_58
; %bb.60:                               ;   in Loop: Header=BB120_59 Depth=1
	ds_read_b128 v[10:13], v40
	ds_read_b128 v[14:17], v40 offset:16
	ds_read_b128 v[18:21], v40 offset:32
	;; [unrolled: 1-line block ×3, first 2 shown]
	s_waitcnt lgkmcnt(3)
	v_cmp_gt_i64_e32 vcc, v[0:1], v[10:11]
	v_cndmask_b32_e64 v2, 0, 1, vcc
	v_add_co_u32_e32 v2, vcc, v8, v2
	v_addc_co_u32_e32 v3, vcc, 0, v9, vcc
	v_cmp_gt_i64_e32 vcc, v[0:1], v[12:13]
	v_cndmask_b32_e64 v10, 0, 1, vcc
	v_add_co_u32_e32 v2, vcc, v2, v10
	v_addc_co_u32_e32 v3, vcc, 0, v3, vcc
	s_waitcnt lgkmcnt(2)
	v_cmp_gt_i64_e32 vcc, v[0:1], v[14:15]
	v_cndmask_b32_e64 v10, 0, 1, vcc
	v_add_co_u32_e32 v2, vcc, v2, v10
	v_addc_co_u32_e32 v3, vcc, 0, v3, vcc
	v_cmp_gt_i64_e32 vcc, v[0:1], v[16:17]
	v_cndmask_b32_e64 v10, 0, 1, vcc
	v_add_co_u32_e32 v2, vcc, v2, v10
	v_addc_co_u32_e32 v3, vcc, 0, v3, vcc
	;; [unrolled: 9-line block ×4, first 2 shown]
	v_mov_b32_e32 v10, s5
	v_add_co_u32_e32 v0, vcc, s38, v0
	v_addc_co_u32_e32 v1, vcc, v1, v10, vcc
	v_lshlrev_b64 v[10:11], 3, v[2:3]
	v_mov_b32_e32 v12, s41
	v_add_co_u32_e32 v10, vcc, s40, v10
	v_addc_co_u32_e32 v11, vcc, v12, v11, vcc
	global_store_dwordx2 v[10:11], v[0:1], off
	s_and_b64 exec, exec, s[0:1]
	s_cbranch_execz .LBB120_58
; %bb.61:                               ;   in Loop: Header=BB120_59 Depth=1
	v_mul_lo_u32 v10, s6, v2
	v_mul_lo_u32 v3, s4, v3
	v_mad_u64_u32 v[0:1], s[8:9], s4, v2, 0
	v_add3_u32 v1, v1, v3, v10
	ds_read_b64 v[2:3], v5
	v_lshlrev_b64 v[0:1], 3, v[0:1]
	v_add_co_u32_e32 v0, vcc, v6, v0
	v_addc_co_u32_e32 v1, vcc, v7, v1, vcc
	s_waitcnt lgkmcnt(0)
	global_store_dwordx2 v[0:1], v[2:3], off
	s_branch .LBB120_58
.LBB120_62:
	s_endpgm
	.section	.rodata,"a",@progbits
	.p2align	6, 0x0
	.amdhsa_kernel _ZN9rocsparseL23bsrgemm_fill_wf_per_rowILj256ELj64ELj8ELj137ELj8ElldEEv20rocsparse_direction_T5_S2_S2_PKS2_S4_NS_24const_host_device_scalarIT6_EEPKT4_S4_PKS6_SA_S4_SC_S7_SA_S4_SC_SA_PS2_PS6_21rocsparse_index_base_SF_SF_SF_bbb
		.amdhsa_group_segment_fixed_size 16640
		.amdhsa_private_segment_fixed_size 0
		.amdhsa_kernarg_size 180
		.amdhsa_user_sgpr_count 6
		.amdhsa_user_sgpr_private_segment_buffer 1
		.amdhsa_user_sgpr_dispatch_ptr 0
		.amdhsa_user_sgpr_queue_ptr 0
		.amdhsa_user_sgpr_kernarg_segment_ptr 1
		.amdhsa_user_sgpr_dispatch_id 0
		.amdhsa_user_sgpr_flat_scratch_init 0
		.amdhsa_user_sgpr_kernarg_preload_length 0
		.amdhsa_user_sgpr_kernarg_preload_offset 0
		.amdhsa_user_sgpr_private_segment_size 0
		.amdhsa_uses_dynamic_stack 0
		.amdhsa_system_sgpr_private_segment_wavefront_offset 0
		.amdhsa_system_sgpr_workgroup_id_x 1
		.amdhsa_system_sgpr_workgroup_id_y 0
		.amdhsa_system_sgpr_workgroup_id_z 0
		.amdhsa_system_sgpr_workgroup_info 0
		.amdhsa_system_vgpr_workitem_id 0
		.amdhsa_next_free_vgpr 50
		.amdhsa_next_free_sgpr 67
		.amdhsa_accum_offset 52
		.amdhsa_reserve_vcc 1
		.amdhsa_reserve_flat_scratch 0
		.amdhsa_float_round_mode_32 0
		.amdhsa_float_round_mode_16_64 0
		.amdhsa_float_denorm_mode_32 3
		.amdhsa_float_denorm_mode_16_64 3
		.amdhsa_dx10_clamp 1
		.amdhsa_ieee_mode 1
		.amdhsa_fp16_overflow 0
		.amdhsa_tg_split 0
		.amdhsa_exception_fp_ieee_invalid_op 0
		.amdhsa_exception_fp_denorm_src 0
		.amdhsa_exception_fp_ieee_div_zero 0
		.amdhsa_exception_fp_ieee_overflow 0
		.amdhsa_exception_fp_ieee_underflow 0
		.amdhsa_exception_fp_ieee_inexact 0
		.amdhsa_exception_int_div_zero 0
	.end_amdhsa_kernel
	.section	.text._ZN9rocsparseL23bsrgemm_fill_wf_per_rowILj256ELj64ELj8ELj137ELj8ElldEEv20rocsparse_direction_T5_S2_S2_PKS2_S4_NS_24const_host_device_scalarIT6_EEPKT4_S4_PKS6_SA_S4_SC_S7_SA_S4_SC_SA_PS2_PS6_21rocsparse_index_base_SF_SF_SF_bbb,"axG",@progbits,_ZN9rocsparseL23bsrgemm_fill_wf_per_rowILj256ELj64ELj8ELj137ELj8ElldEEv20rocsparse_direction_T5_S2_S2_PKS2_S4_NS_24const_host_device_scalarIT6_EEPKT4_S4_PKS6_SA_S4_SC_S7_SA_S4_SC_SA_PS2_PS6_21rocsparse_index_base_SF_SF_SF_bbb,comdat
.Lfunc_end120:
	.size	_ZN9rocsparseL23bsrgemm_fill_wf_per_rowILj256ELj64ELj8ELj137ELj8ElldEEv20rocsparse_direction_T5_S2_S2_PKS2_S4_NS_24const_host_device_scalarIT6_EEPKT4_S4_PKS6_SA_S4_SC_S7_SA_S4_SC_SA_PS2_PS6_21rocsparse_index_base_SF_SF_SF_bbb, .Lfunc_end120-_ZN9rocsparseL23bsrgemm_fill_wf_per_rowILj256ELj64ELj8ELj137ELj8ElldEEv20rocsparse_direction_T5_S2_S2_PKS2_S4_NS_24const_host_device_scalarIT6_EEPKT4_S4_PKS6_SA_S4_SC_S7_SA_S4_SC_SA_PS2_PS6_21rocsparse_index_base_SF_SF_SF_bbb
                                        ; -- End function
	.section	.AMDGPU.csdata,"",@progbits
; Kernel info:
; codeLenInByte = 2876
; NumSgprs: 71
; NumVgprs: 50
; NumAgprs: 0
; TotalNumVgprs: 50
; ScratchSize: 0
; MemoryBound: 0
; FloatMode: 240
; IeeeMode: 1
; LDSByteSize: 16640 bytes/workgroup (compile time only)
; SGPRBlocks: 8
; VGPRBlocks: 6
; NumSGPRsForWavesPerEU: 71
; NumVGPRsForWavesPerEU: 50
; AccumOffset: 52
; Occupancy: 3
; WaveLimiterHint : 1
; COMPUTE_PGM_RSRC2:SCRATCH_EN: 0
; COMPUTE_PGM_RSRC2:USER_SGPR: 6
; COMPUTE_PGM_RSRC2:TRAP_HANDLER: 0
; COMPUTE_PGM_RSRC2:TGID_X_EN: 1
; COMPUTE_PGM_RSRC2:TGID_Y_EN: 0
; COMPUTE_PGM_RSRC2:TGID_Z_EN: 0
; COMPUTE_PGM_RSRC2:TIDIG_COMP_CNT: 0
; COMPUTE_PGM_RSRC3_GFX90A:ACCUM_OFFSET: 12
; COMPUTE_PGM_RSRC3_GFX90A:TG_SPLIT: 0
	.section	.text._ZN9rocsparseL38bsrgemm_block_per_row_atomic_multipassILj256ELj16ELj8ElldEEv20rocsparse_direction_T3_S2_PKS2_S4_NS_24const_host_device_scalarIT4_EEPKT2_S4_PKS6_SA_S4_SC_S7_SA_S4_SC_SA_PS2_PS6_PS8_21rocsparse_index_base_SG_SG_SG_bbb,"axG",@progbits,_ZN9rocsparseL38bsrgemm_block_per_row_atomic_multipassILj256ELj16ELj8ElldEEv20rocsparse_direction_T3_S2_PKS2_S4_NS_24const_host_device_scalarIT4_EEPKT2_S4_PKS6_SA_S4_SC_S7_SA_S4_SC_SA_PS2_PS6_PS8_21rocsparse_index_base_SG_SG_SG_bbb,comdat
	.globl	_ZN9rocsparseL38bsrgemm_block_per_row_atomic_multipassILj256ELj16ELj8ElldEEv20rocsparse_direction_T3_S2_PKS2_S4_NS_24const_host_device_scalarIT4_EEPKT2_S4_PKS6_SA_S4_SC_S7_SA_S4_SC_SA_PS2_PS6_PS8_21rocsparse_index_base_SG_SG_SG_bbb ; -- Begin function _ZN9rocsparseL38bsrgemm_block_per_row_atomic_multipassILj256ELj16ELj8ElldEEv20rocsparse_direction_T3_S2_PKS2_S4_NS_24const_host_device_scalarIT4_EEPKT2_S4_PKS6_SA_S4_SC_S7_SA_S4_SC_SA_PS2_PS6_PS8_21rocsparse_index_base_SG_SG_SG_bbb
	.p2align	8
	.type	_ZN9rocsparseL38bsrgemm_block_per_row_atomic_multipassILj256ELj16ELj8ElldEEv20rocsparse_direction_T3_S2_PKS2_S4_NS_24const_host_device_scalarIT4_EEPKT2_S4_PKS6_SA_S4_SC_S7_SA_S4_SC_SA_PS2_PS6_PS8_21rocsparse_index_base_SG_SG_SG_bbb,@function
_ZN9rocsparseL38bsrgemm_block_per_row_atomic_multipassILj256ELj16ELj8ElldEEv20rocsparse_direction_T3_S2_PKS2_S4_NS_24const_host_device_scalarIT4_EEPKT2_S4_PKS6_SA_S4_SC_S7_SA_S4_SC_SA_PS2_PS6_PS8_21rocsparse_index_base_SG_SG_SG_bbb: ; @_ZN9rocsparseL38bsrgemm_block_per_row_atomic_multipassILj256ELj16ELj8ElldEEv20rocsparse_direction_T3_S2_PKS2_S4_NS_24const_host_device_scalarIT4_EEPKT2_S4_PKS6_SA_S4_SC_S7_SA_S4_SC_SA_PS2_PS6_PS8_21rocsparse_index_base_SG_SG_SG_bbb
; %bb.0:
	s_load_dword s7, s[4:5], 0xb0
	s_load_dwordx4 s[28:31], s[4:5], 0xa0
	s_load_dwordx2 s[8:9], s[4:5], 0x28
	s_waitcnt lgkmcnt(0)
	s_and_b32 s0, 1, s7
	s_bitcmp1_b32 s7, 16
	s_cselect_b64 s[2:3], -1, 0
	s_cmp_eq_u32 s0, 1
	s_load_dwordx2 s[0:1], s[4:5], 0x60
	s_cselect_b64 s[12:13], -1, 0
	s_and_b64 s[10:11], s[12:13], exec
	s_cselect_b32 s11, s9, 0
	s_cselect_b32 s10, s8, 0
	s_xor_b64 s[14:15], s[12:13], -1
	s_or_b64 s[14:15], s[14:15], s[2:3]
	s_and_b64 vcc, exec, s[14:15]
	v_pk_mov_b32 v[2:3], s[10:11], s[10:11] op_sel:[0,1]
	s_cbranch_vccnz .LBB121_2
; %bb.1:
	v_pk_mov_b32 v[2:3], s[8:9], s[8:9] op_sel:[0,1]
	flat_load_dwordx2 v[2:3], v[2:3]
.LBB121_2:
	s_bitcmp1_b32 s7, 8
	s_load_dwordx2 s[8:9], s[4:5], 0x20
	s_cselect_b64 s[34:35], -1, 0
	s_and_b64 s[10:11], s[34:35], exec
	s_waitcnt lgkmcnt(0)
	s_cselect_b32 s11, s1, 0
	s_cselect_b32 s10, s0, 0
	s_xor_b64 s[14:15], s[34:35], -1
	s_or_b64 s[2:3], s[14:15], s[2:3]
	s_and_b64 vcc, exec, s[2:3]
	v_pk_mov_b32 v[4:5], s[10:11], s[10:11] op_sel:[0,1]
	s_cbranch_vccnz .LBB121_4
; %bb.3:
	v_pk_mov_b32 v[4:5], s[0:1], s[0:1] op_sel:[0,1]
	flat_load_dwordx2 v[4:5], v[4:5]
.LBB121_4:
	s_load_dwordx2 s[2:3], s[4:5], 0x30
	s_mov_b64 s[52:53], 0
	s_cmp_eq_u64 s[8:9], 0
	s_mov_b32 s7, 0
	s_cbranch_scc1 .LBB121_6
; %bb.5:
	s_load_dwordx2 s[0:1], s[4:5], 0x18
	s_waitcnt lgkmcnt(0)
	s_load_dwordx2 s[0:1], s[0:1], 0x0
	s_waitcnt lgkmcnt(0)
	s_lshl_b64 s[0:1], s[0:1], 3
	s_add_u32 s8, s8, s0
	s_addc_u32 s9, s9, s1
	s_lshl_b64 s[0:1], s[6:7], 3
	s_add_u32 s0, s8, s0
	s_addc_u32 s1, s9, s1
	s_load_dwordx2 s[6:7], s[0:1], 0x0
.LBB121_6:
	v_cndmask_b32_e64 v1, 0, 1, s[12:13]
	v_cmp_ne_u32_e64 s[0:1], 1, v1
	s_andn2_b64 vcc, exec, s[12:13]
	s_cbranch_vccz .LBB121_9
; %bb.7:
	s_and_b64 vcc, exec, s[0:1]
	s_mov_b64 s[54:55], 0
	s_cbranch_vccz .LBB121_10
.LBB121_8:
	s_load_dwordx4 s[44:47], s[4:5], 0x8
	s_waitcnt lgkmcnt(0)
	v_cmp_lt_i64_e64 s[0:1], s[44:45], 1
	s_and_b64 vcc, exec, s[0:1]
	s_cbranch_vccz .LBB121_11
	s_branch .LBB121_88
.LBB121_9:
	s_waitcnt lgkmcnt(0)
	s_lshl_b64 s[8:9], s[6:7], 3
	s_add_u32 s8, s2, s8
	s_addc_u32 s9, s3, s9
	s_load_dwordx2 s[8:9], s[8:9], 0x0
	s_waitcnt lgkmcnt(0)
	s_sub_u32 s52, s8, s28
	s_subb_u32 s53, s9, 0
	s_and_b64 vcc, exec, s[0:1]
	s_mov_b64 s[54:55], 0
	s_cbranch_vccnz .LBB121_8
.LBB121_10:
	s_waitcnt lgkmcnt(0)
	s_lshl_b64 s[0:1], s[6:7], 3
	s_add_u32 s0, s2, s0
	s_addc_u32 s1, s3, s1
	s_load_dwordx2 s[0:1], s[0:1], 0x8
	s_waitcnt lgkmcnt(0)
	s_sub_u32 s54, s0, s28
	s_subb_u32 s55, s1, 0
	s_load_dwordx4 s[44:47], s[4:5], 0x8
	s_waitcnt lgkmcnt(0)
	v_cmp_lt_i64_e64 s[0:1], s[44:45], 1
	s_and_b64 vcc, exec, s[0:1]
	s_cbranch_vccnz .LBB121_88
.LBB121_11:
	s_load_dwordx2 s[56:57], s[4:5], 0x98
	s_load_dwordx4 s[48:51], s[4:5], 0x88
	s_load_dwordx8 s[20:27], s[4:5], 0x68
	s_load_dwordx2 s[58:59], s[4:5], 0x58
	s_load_dwordx8 s[36:43], s[4:5], 0x38
	s_lshl_b64 s[6:7], s[6:7], 3
	s_load_dword s14, s[4:5], 0x0
	s_waitcnt lgkmcnt(0)
	s_add_u32 s0, s26, s6
	s_addc_u32 s1, s27, s7
	s_load_dwordx2 s[0:1], s[0:1], 0x0
	s_mul_i32 s4, s46, s47
	s_mul_hi_u32 s5, s46, s46
	v_bfe_u32 v14, v0, 3, 3
	v_pk_mov_b32 v[10:11], s[54:55], s[54:55] op_sel:[0,1]
	s_waitcnt lgkmcnt(0)
	s_sub_u32 s18, s0, s30
	s_subb_u32 s19, s1, 0
	s_add_i32 s5, s5, s4
	v_cmp_lt_i64_e32 vcc, s[52:53], v[10:11]
	s_add_i32 s27, s5, s4
	v_mad_u64_u32 v[10:11], s[4:5], v14, s46, 0
	v_lshlrev_b32_e32 v13, 3, v0
	v_mov_b32_e32 v12, v11
	v_mad_u64_u32 v[16:17], s[4:5], v14, s47, v[12:13]
	v_mov_b32_e32 v11, v16
	v_lshlrev_b64 v[16:17], 3, v[10:11]
	v_and_b32_e32 v8, 7, v0
	v_mov_b32_e32 v10, s39
	v_add_co_u32_e64 v12, s[4:5], s38, v16
	v_addc_co_u32_e64 v18, s[4:5], v10, v17, s[4:5]
	v_lshlrev_b32_e32 v10, 3, v8
	v_mov_b32_e32 v7, 0
	v_add_co_u32_e64 v43, s[4:5], v12, v10
	v_mov_b32_e32 v9, v7
	v_mov_b32_e32 v15, v7
	v_addc_co_u32_e64 v44, s[4:5], 0, v18, s[4:5]
	v_cmp_gt_i64_e64 s[10:11], s[46:47], v[8:9]
	v_cmp_gt_i64_e64 s[4:5], s[46:47], v[14:15]
	s_and_b64 s[38:39], s[10:11], s[4:5]
	v_mad_u64_u32 v[18:19], s[4:5], v8, s46, 0
	v_mov_b32_e32 v12, v19
	v_mad_u64_u32 v[20:21], s[4:5], v8, s47, v[12:13]
	v_mov_b32_e32 v19, v20
	v_lshlrev_b64 v[18:19], 3, v[18:19]
	v_mov_b32_e32 v9, s51
	v_add_co_u32_e64 v12, s[4:5], s50, v18
	v_cmp_gt_u64_e64 s[8:9], s[46:47], v[14:15]
	v_lshlrev_b64 v[14:15], 3, v[14:15]
	v_addc_co_u32_e64 v20, s[4:5], v9, v19, s[4:5]
	v_add_co_u32_e64 v12, s[4:5], v12, v14
	v_addc_co_u32_e64 v20, s[4:5], v20, v15, s[4:5]
	v_add_co_u32_e64 v21, s[4:5], s50, v16
	;; [unrolled: 2-line block ×3, first 2 shown]
	v_lshrrev_b32_e32 v6, 6, v0
	v_addc_co_u32_e64 v9, s[4:5], 0, v9, s[4:5]
	v_subrev_co_u32_e64 v46, s[4:5], s31, v6
	v_subb_co_u32_e64 v47, s[4:5], 0, 0, s[4:5]
	v_mov_b32_e32 v22, s25
	v_add_co_u32_e64 v18, s[4:5], s24, v18
	v_addc_co_u32_e64 v19, s[4:5], v22, v19, s[4:5]
	v_add_co_u32_e64 v14, s[4:5], v18, v14
	v_addc_co_u32_e64 v15, s[4:5], v19, v15, s[4:5]
	v_add_co_u32_e64 v16, s[4:5], s24, v16
	s_cmp_eq_u32 s14, 0
	v_addc_co_u32_e64 v17, s[4:5], v22, v17, s[4:5]
	s_cselect_b64 s[16:17], -1, 0
	s_cmp_lg_u32 s14, 0
	v_add_co_u32_e64 v16, s[4:5], v16, v10
	v_and_b32_e32 v1, 63, v0
	s_cselect_b64 s[50:51], -1, 0
	s_add_u32 s20, s20, s6
	v_addc_co_u32_e64 v17, s[4:5], 0, v17, s[4:5]
	v_mov_b32_e32 v22, 0x2800
	v_cmp_gt_u32_e64 s[0:1], 16, v0
	v_cmp_eq_u32_e64 s[2:3], 0, v0
	s_movk_i32 s64, 0x2000
	v_and_b32_e32 v45, 56, v0
	s_addc_u32 s21, s21, s7
	v_cmp_eq_u32_e64 s[4:5], 63, v1
	v_and_b32_e32 v1, 15, v0
	v_lshl_or_b32 v50, v0, 2, v22
	s_and_b64 s[24:25], s[12:13], vcc
	s_and_b64 s[60:61], s[10:11], s[8:9]
	v_or_b32_e32 v54, 0xffffff00, v0
	v_lshlrev_b32_e32 v0, 9, v6
	s_mov_b32 s85, s31
	v_cndmask_b32_e64 v14, v14, v16, s[16:17]
	s_add_u32 s31, s40, 8
	v_or3_b32 v55, v0, v45, s64
	v_mov_b32_e32 v0, s59
	v_add_co_u32_e32 v16, vcc, s58, v10
	v_add_co_u32_e64 v19, s[6:7], -1, v1
	v_cndmask_b32_e64 v15, v15, v17, s[16:17]
	s_addc_u32 s87, s41, 0
	v_addc_co_u32_e32 v17, vcc, 0, v0, vcc
	s_mov_b32 s33, 0
	s_mul_i32 s26, s46, s46
	v_lshlrev_b32_e32 v18, 2, v1
	v_lshl_add_u32 v49, v19, 2, v22
	s_add_u32 s88, s48, -8
	v_and_b32_e32 v0, 0x7c0, v13
	v_add_co_u32_e32 v57, vcc, 4, v46
	v_lshl_or_b32 v59, v6, 2, v22
	v_mov_b32_e32 v22, 16
	v_or_b32_e32 v42, 0x2000, v13
	v_mov_b32_e32 v11, v7
	s_mov_b32 s84, s33
	s_mov_b32 s86, s33
	v_or_b32_e32 v48, 0x2800, v18
	v_cmp_ne_u32_e64 s[8:9], 0, v1
	v_cmp_lt_u32_e64 s[10:11], 1, v1
	v_add_u32_e32 v51, 0x27f8, v18
	v_cmp_lt_u32_e64 s[12:13], 3, v1
	v_add_u32_e32 v52, 0x27f0, v18
	;; [unrolled: 2-line block ×3, first 2 shown]
	v_cndmask_b32_e64 v1, v20, v9, s[16:17]
	v_cndmask_b32_e64 v12, v12, v21, s[16:17]
	s_addc_u32 s89, s49, -1
	s_lshl_b64 s[48:49], s[46:47], 3
	s_lshl_b64 s[62:63], s[26:27], 3
	v_or_b32_e32 v56, 0x2000, v0
	s_lshl_b64 s[64:65], s[26:27], 5
	v_addc_co_u32_e32 v58, vcc, 0, v47, vcc
	s_mov_b64 s[66:67], 0
	v_mov_b32_e32 v23, 0
	v_pk_mov_b32 v[18:19], s[18:19], s[18:19] op_sel:[0,1]
	s_movk_i32 s90, 0x2ff
	v_mov_b32_e32 v60, 1
	v_mov_b32_e32 v20, v7
	;; [unrolled: 1-line block ×3, first 2 shown]
	s_branch .LBB121_13
.LBB121_12:                             ;   in Loop: Header=BB121_13 Depth=1
	s_or_b64 exec, exec, s[16:17]
	s_barrier
	ds_read_b64 v[26:27], v7 offset:10304
	v_ashrrev_i32_e32 v0, 31, v24
	v_add_co_u32_e32 v18, vcc, v18, v24
	v_addc_co_u32_e32 v19, vcc, v19, v0, vcc
	s_waitcnt lgkmcnt(0)
	v_add_co_u32_e32 v22, vcc, 16, v26
	v_addc_co_u32_e32 v23, vcc, 0, v27, vcc
	v_cmp_le_i64_e32 vcc, s[44:45], v[26:27]
	v_readfirstlane_b32 s66, v26
	v_readfirstlane_b32 s67, v27
	s_barrier
	s_cbranch_vccnz .LBB121_88
.LBB121_13:                             ; =>This Loop Header: Depth=1
                                        ;     Child Loop BB121_16 Depth 2
                                        ;     Child Loop BB121_22 Depth 2
                                        ;       Child Loop BB121_37 Depth 3
                                        ;         Child Loop BB121_49 Depth 4
                                        ;         Child Loop BB121_45 Depth 4
                                        ;     Child Loop BB121_59 Depth 2
                                        ;     Child Loop BB121_68 Depth 2
	;; [unrolled: 1-line block ×3, first 2 shown]
	s_and_saveexec_b64 s[16:17], s[0:1]
	s_cbranch_execz .LBB121_15
; %bb.14:                               ;   in Loop: Header=BB121_13 Depth=1
	ds_write_b32 v50, v7
.LBB121_15:                             ;   in Loop: Header=BB121_13 Depth=1
	s_or_b64 exec, exec, s[16:17]
	s_mov_b64 s[16:17], 0
	v_mov_b32_e32 v0, v13
	v_mov_b32_e32 v9, v54
.LBB121_16:                             ;   Parent Loop BB121_13 Depth=1
                                        ; =>  This Inner Loop Header: Depth=2
	v_add_u32_e32 v9, 0x100, v9
	v_cmp_lt_u32_e32 vcc, s90, v9
	ds_write_b64 v0, v[20:21]
	s_or_b64 s[16:17], vcc, s[16:17]
	v_add_u32_e32 v0, 0x800, v0
	s_andn2_b64 exec, exec, s[16:17]
	s_cbranch_execnz .LBB121_16
; %bb.17:                               ;   in Loop: Header=BB121_13 Depth=1
	s_or_b64 exec, exec, s[16:17]
	s_and_saveexec_b64 s[16:17], s[2:3]
	s_cbranch_execz .LBB121_19
; %bb.18:                               ;   in Loop: Header=BB121_13 Depth=1
	v_pk_mov_b32 v[24:25], s[44:45], s[44:45] op_sel:[0,1]
	ds_write_b64 v7, v[24:25] offset:10304
.LBB121_19:                             ;   in Loop: Header=BB121_13 Depth=1
	s_or_b64 exec, exec, s[16:17]
	s_andn2_b64 vcc, exec, s[24:25]
	v_pk_mov_b32 v[24:25], s[44:45], s[44:45] op_sel:[0,1]
	s_waitcnt lgkmcnt(0)
	s_barrier
	s_cbranch_vccnz .LBB121_54
; %bb.20:                               ;   in Loop: Header=BB121_13 Depth=1
	s_cmp_lg_u64 s[66:67], 0
	s_cselect_b64 s[68:69], -1, 0
	v_pk_mov_b32 v[24:25], s[44:45], s[44:45] op_sel:[0,1]
	s_mov_b64 s[70:71], s[52:53]
	s_branch .LBB121_22
.LBB121_21:                             ;   in Loop: Header=BB121_22 Depth=2
	s_or_b64 exec, exec, s[18:19]
	s_add_u32 s70, s70, 4
	s_addc_u32 s71, s71, 0
	v_pk_mov_b32 v[26:27], s[54:55], s[54:55] op_sel:[0,1]
	v_cmp_lt_i64_e32 vcc, s[70:71], v[26:27]
	s_cbranch_vccz .LBB121_54
.LBB121_22:                             ;   Parent Loop BB121_13 Depth=1
                                        ; =>  This Loop Header: Depth=2
                                        ;       Child Loop BB121_37 Depth 3
                                        ;         Child Loop BB121_49 Depth 4
                                        ;         Child Loop BB121_45 Depth 4
	v_mov_b32_e32 v0, s71
	v_add_co_u32_e32 v26, vcc, s70, v6
	v_addc_co_u32_e32 v27, vcc, 0, v0, vcc
	v_cmp_gt_i64_e64 s[16:17], s[54:55], v[26:27]
	s_barrier
	s_and_saveexec_b64 s[18:19], s[16:17]
	s_cbranch_execz .LBB121_26
; %bb.23:                               ;   in Loop: Header=BB121_22 Depth=2
	v_pk_mov_b32 v[28:29], 0, 0
	s_and_saveexec_b64 s[72:73], s[60:61]
	s_cbranch_execz .LBB121_25
; %bb.24:                               ;   in Loop: Header=BB121_22 Depth=2
	v_mul_lo_u32 v0, v27, s26
	v_mul_lo_u32 v9, v26, s27
	v_mad_u64_u32 v[28:29], s[74:75], v26, s26, 0
	v_add3_u32 v29, v29, v9, v0
	v_lshlrev_b64 v[28:29], 3, v[28:29]
	v_add_co_u32_e32 v28, vcc, v43, v28
	v_addc_co_u32_e32 v29, vcc, v44, v29, vcc
	global_load_dwordx2 v[28:29], v[28:29], off
.LBB121_25:                             ;   in Loop: Header=BB121_22 Depth=2
	s_or_b64 exec, exec, s[72:73]
	s_waitcnt vmcnt(0)
	ds_write_b64 v42, v[28:29]
.LBB121_26:                             ;   in Loop: Header=BB121_22 Depth=2
	s_or_b64 exec, exec, s[18:19]
	v_pk_mov_b32 v[28:29], 0, 0
	v_lshlrev_b64 v[26:27], 3, v[26:27]
	s_waitcnt lgkmcnt(0)
	s_barrier
	s_and_saveexec_b64 s[72:73], s[16:17]
	s_cbranch_execz .LBB121_52
; %bb.27:                               ;   in Loop: Header=BB121_22 Depth=2
	v_mov_b32_e32 v0, s37
	v_add_co_u32_e32 v28, vcc, s36, v26
	v_addc_co_u32_e32 v29, vcc, v0, v27, vcc
	global_load_dwordx2 v[30:31], v[28:29], off
	s_and_b64 vcc, exec, s[68:69]
	s_cbranch_vccz .LBB121_29
; %bb.28:                               ;   in Loop: Header=BB121_22 Depth=2
	v_mov_b32_e32 v0, s57
	v_add_co_u32_e32 v28, vcc, s56, v26
	v_addc_co_u32_e32 v29, vcc, v0, v27, vcc
	global_load_dwordx2 v[28:29], v[28:29], off
	s_mov_b64 s[18:19], 0
	s_branch .LBB121_30
.LBB121_29:                             ;   in Loop: Header=BB121_22 Depth=2
	s_mov_b64 s[18:19], -1
                                        ; implicit-def: $vgpr28_vgpr29
.LBB121_30:                             ;   in Loop: Header=BB121_22 Depth=2
	v_mov_b32_e32 v0, s84
	s_waitcnt vmcnt(0)
	v_subrev_co_u32_e32 v30, vcc, s28, v30
	v_subb_co_u32_e32 v31, vcc, v31, v0, vcc
	s_andn2_b64 vcc, exec, s[18:19]
	v_lshlrev_b64 v[30:31], 3, v[30:31]
	s_cbranch_vccnz .LBB121_32
; %bb.31:                               ;   in Loop: Header=BB121_22 Depth=2
	v_mov_b32_e32 v0, s41
	v_add_co_u32_e32 v28, vcc, s40, v30
	v_addc_co_u32_e32 v29, vcc, v0, v31, vcc
	global_load_dwordx2 v[28:29], v[28:29], off
	v_mov_b32_e32 v0, s33
	s_waitcnt vmcnt(0)
	v_subrev_co_u32_e32 v28, vcc, s29, v28
	v_subb_co_u32_e32 v29, vcc, v29, v0, vcc
.LBB121_32:                             ;   in Loop: Header=BB121_22 Depth=2
	v_mov_b32_e32 v0, s87
	v_add_co_u32_e32 v30, vcc, s31, v30
	v_addc_co_u32_e32 v31, vcc, v0, v31, vcc
	global_load_dwordx2 v[30:31], v[30:31], off
	v_mov_b32_e32 v0, s33
	s_waitcnt vmcnt(0)
	v_subrev_co_u32_e32 v30, vcc, s29, v30
	v_subb_co_u32_e32 v31, vcc, v31, v0, vcc
	v_cmp_lt_i64_e32 vcc, v[28:29], v[30:31]
	s_and_saveexec_b64 s[74:75], vcc
	s_cbranch_execz .LBB121_51
; %bb.33:                               ;   in Loop: Header=BB121_22 Depth=2
	v_mad_u64_u32 v[32:33], s[18:19], s48, v28, v[10:11]
	v_mul_lo_u32 v0, s48, v29
	v_mul_lo_u32 v9, s49, v28
	v_add3_u32 v0, v9, v33, v0
	v_pk_mov_b32 v[34:35], s[58:59], s[58:59] op_sel:[0,1]
	v_mul_lo_u32 v9, s47, v32
	v_mul_lo_u32 v0, s46, v0
	v_mad_u64_u32 v[32:33], s[18:19], s46, v32, v[34:35]
	v_add3_u32 v33, v9, v33, v0
	v_mad_u64_u32 v[34:35], s[18:19], s62, v28, v[16:17]
	v_mul_lo_u32 v0, s62, v29
	v_mul_lo_u32 v9, s63, v28
	v_add3_u32 v35, v9, v35, v0
	s_mov_b64 s[76:77], 0
	v_pk_mov_b32 v[36:37], v[28:29], v[28:29] op_sel:[0,1]
	s_branch .LBB121_37
.LBB121_34:                             ;   in Loop: Header=BB121_37 Depth=3
	v_lshlrev_b32_e32 v0, 6, v0
	v_or3_b32 v0, v0, v45, v8
	v_lshlrev_b32_e32 v0, 3, v0
	v_mul_f64 v[38:39], v[2:3], v[38:39]
	ds_add_f64 v0, v[38:39]
.LBB121_35:                             ;   in Loop: Header=BB121_37 Depth=3
	s_or_b64 exec, exec, s[80:81]
	s_or_b64 s[18:19], s[18:19], exec
.LBB121_36:                             ;   in Loop: Header=BB121_37 Depth=3
	s_or_b64 exec, exec, s[78:79]
	v_add_co_u32_e32 v28, vcc, 1, v28
	v_addc_co_u32_e32 v29, vcc, 0, v29, vcc
	v_cmp_ge_i64_e32 vcc, v[28:29], v[30:31]
	s_xor_b64 s[18:19], s[18:19], -1
	s_or_b64 s[18:19], s[18:19], vcc
	v_mov_b32_e32 v0, s63
	v_add_co_u32_e32 v32, vcc, s62, v32
	v_addc_co_u32_e32 v33, vcc, v33, v0, vcc
	s_and_b64 s[18:19], exec, s[18:19]
	v_add_co_u32_e32 v34, vcc, s62, v34
	s_or_b64 s[76:77], s[18:19], s[76:77]
	v_addc_co_u32_e32 v35, vcc, v35, v0, vcc
	s_andn2_b64 exec, exec, s[76:77]
	s_cbranch_execz .LBB121_50
.LBB121_37:                             ;   Parent Loop BB121_13 Depth=1
                                        ;     Parent Loop BB121_22 Depth=2
                                        ; =>    This Loop Header: Depth=3
                                        ;         Child Loop BB121_49 Depth 4
                                        ;         Child Loop BB121_45 Depth 4
	v_lshlrev_b64 v[38:39], 3, v[28:29]
	v_mov_b32_e32 v0, s43
	v_add_co_u32_e32 v38, vcc, s42, v38
	v_addc_co_u32_e32 v39, vcc, v0, v39, vcc
	global_load_dwordx2 v[38:39], v[38:39], off
	v_mov_b32_e32 v0, s33
	s_waitcnt vmcnt(0)
	v_subrev_co_u32_e32 v38, vcc, s29, v38
	v_subb_co_u32_e32 v39, vcc, v39, v0, vcc
	v_cmp_gt_i64_e64 s[18:19], s[66:67], v[38:39]
	v_cmp_ge_i64_e32 vcc, v[38:39], v[22:23]
	s_or_b64 s[78:79], s[18:19], vcc
                                        ; implicit-def: $sgpr18_sgpr19
	s_and_saveexec_b64 s[80:81], s[78:79]
	s_xor_b64 s[78:79], exec, s[80:81]
	s_cbranch_execz .LBB121_41
; %bb.38:                               ;   in Loop: Header=BB121_37 Depth=3
	s_mov_b64 s[18:19], -1
	s_and_saveexec_b64 s[80:81], vcc
; %bb.39:                               ;   in Loop: Header=BB121_37 Depth=3
	v_cmp_lt_i64_e32 vcc, v[38:39], v[24:25]
	v_cndmask_b32_e32 v25, v25, v39, vcc
	v_cndmask_b32_e32 v24, v24, v38, vcc
	s_xor_b64 s[18:19], exec, -1
	v_pk_mov_b32 v[36:37], v[28:29], v[28:29] op_sel:[0,1]
; %bb.40:                               ;   in Loop: Header=BB121_37 Depth=3
	s_or_b64 exec, exec, s[80:81]
	s_and_b64 s[18:19], s[18:19], exec
                                        ; implicit-def: $vgpr38_vgpr39
.LBB121_41:                             ;   in Loop: Header=BB121_37 Depth=3
	s_andn2_saveexec_b64 s[78:79], s[78:79]
	s_cbranch_execz .LBB121_36
; %bb.42:                               ;   in Loop: Header=BB121_37 Depth=3
	v_subrev_u32_e32 v0, s66, v38
	v_lshlrev_b32_e32 v9, 2, v0
	ds_write_b32 v9, v60 offset:10240
	s_and_saveexec_b64 s[80:81], s[38:39]
	s_cbranch_execz .LBB121_35
; %bb.43:                               ;   in Loop: Header=BB121_37 Depth=3
	s_andn2_b64 vcc, exec, s[50:51]
	s_cbranch_vccnz .LBB121_47
; %bb.44:                               ;   in Loop: Header=BB121_37 Depth=3
	v_pk_mov_b32 v[38:39], 0, 0
	v_mov_b32_e32 v9, v55
	s_mov_b64 s[82:83], s[46:47]
	v_pk_mov_b32 v[40:41], v[32:33], v[32:33] op_sel:[0,1]
.LBB121_45:                             ;   Parent Loop BB121_13 Depth=1
                                        ;     Parent Loop BB121_22 Depth=2
                                        ;       Parent Loop BB121_37 Depth=3
                                        ; =>      This Inner Loop Header: Depth=4
	global_load_dwordx2 v[62:63], v[40:41], off
	ds_read_b64 v[64:65], v9
	s_add_u32 s82, s82, -1
	v_add_co_u32_e32 v40, vcc, 8, v40
	s_addc_u32 s83, s83, -1
	v_addc_co_u32_e32 v41, vcc, 0, v41, vcc
	v_add_u32_e32 v9, 64, v9
	s_cmp_lg_u64 s[82:83], 0
	s_waitcnt vmcnt(0) lgkmcnt(0)
	v_fmac_f64_e32 v[38:39], v[64:65], v[62:63]
	s_cbranch_scc1 .LBB121_45
; %bb.46:                               ;   in Loop: Header=BB121_37 Depth=3
	s_branch .LBB121_34
.LBB121_47:                             ;   in Loop: Header=BB121_37 Depth=3
                                        ; implicit-def: $vgpr38_vgpr39
	s_cbranch_execz .LBB121_34
; %bb.48:                               ;   in Loop: Header=BB121_37 Depth=3
	v_pk_mov_b32 v[38:39], 0, 0
	v_mov_b32_e32 v9, v56
	v_pk_mov_b32 v[40:41], v[34:35], v[34:35] op_sel:[0,1]
	s_mov_b64 s[82:83], s[46:47]
.LBB121_49:                             ;   Parent Loop BB121_13 Depth=1
                                        ;     Parent Loop BB121_22 Depth=2
                                        ;       Parent Loop BB121_37 Depth=3
                                        ; =>      This Inner Loop Header: Depth=4
	global_load_dwordx2 v[62:63], v[40:41], off
	ds_read_b64 v[64:65], v9
	s_add_u32 s82, s82, -1
	v_mov_b32_e32 v61, s49
	v_add_co_u32_e32 v40, vcc, s48, v40
	s_addc_u32 s83, s83, -1
	v_add_u32_e32 v9, 8, v9
	v_addc_co_u32_e32 v41, vcc, v41, v61, vcc
	s_cmp_eq_u64 s[82:83], 0
	s_waitcnt vmcnt(0) lgkmcnt(0)
	v_fmac_f64_e32 v[38:39], v[64:65], v[62:63]
	s_cbranch_scc0 .LBB121_49
	s_branch .LBB121_34
.LBB121_50:                             ;   in Loop: Header=BB121_22 Depth=2
	s_or_b64 exec, exec, s[76:77]
	v_pk_mov_b32 v[28:29], v[36:37], v[36:37] op_sel:[0,1]
.LBB121_51:                             ;   in Loop: Header=BB121_22 Depth=2
	s_or_b64 exec, exec, s[74:75]
.LBB121_52:                             ;   in Loop: Header=BB121_22 Depth=2
	s_or_b64 exec, exec, s[72:73]
	s_waitcnt lgkmcnt(0)
	s_barrier
	s_and_saveexec_b64 s[18:19], s[16:17]
	s_cbranch_execz .LBB121_21
; %bb.53:                               ;   in Loop: Header=BB121_22 Depth=2
	v_mov_b32_e32 v0, s57
	v_add_co_u32_e32 v26, vcc, s56, v26
	v_addc_co_u32_e32 v27, vcc, v0, v27, vcc
	global_store_dwordx2 v[26:27], v[28:29], off
	s_branch .LBB121_21
.LBB121_54:                             ;   in Loop: Header=BB121_13 Depth=1
	s_andn2_b64 vcc, exec, s[34:35]
	s_cbranch_vccnz .LBB121_66
; %bb.55:                               ;   in Loop: Header=BB121_13 Depth=1
	s_load_dwordx4 s[16:19], s[20:21], 0x0
	s_waitcnt lgkmcnt(0)
	s_sub_u32 s18, s18, s85
	v_mov_b32_e32 v0, s17
	v_add_co_u32_e32 v30, vcc, s16, v46
	s_subb_u32 s19, s19, 0
	v_addc_co_u32_e32 v31, vcc, v0, v47, vcc
	v_cmp_gt_i64_e32 vcc, s[18:19], v[30:31]
	s_and_saveexec_b64 s[68:69], vcc
	s_cbranch_execz .LBB121_65
; %bb.56:                               ;   in Loop: Header=BB121_13 Depth=1
	v_lshlrev_b64 v[26:27], 3, v[30:31]
	v_mov_b32_e32 v0, s23
	v_add_co_u32_e32 v26, vcc, s22, v26
	v_addc_co_u32_e32 v27, vcc, v0, v27, vcc
	v_mad_u64_u32 v[28:29], s[70:71], s62, v30, v[14:15]
	v_mul_lo_u32 v0, s62, v31
	v_mul_lo_u32 v9, s63, v30
	v_add3_u32 v29, v9, v29, v0
	v_mov_b32_e32 v0, s17
	v_add_co_u32_e32 v30, vcc, s16, v57
	v_addc_co_u32_e32 v31, vcc, v58, v0, vcc
	s_mov_b64 s[70:71], 0
	s_branch .LBB121_59
.LBB121_57:                             ;   in Loop: Header=BB121_59 Depth=2
	s_or_b64 exec, exec, s[74:75]
	s_or_b64 s[16:17], s[16:17], exec
.LBB121_58:                             ;   in Loop: Header=BB121_59 Depth=2
	s_or_b64 exec, exec, s[72:73]
	v_cmp_le_i64_e32 vcc, s[18:19], v[30:31]
	s_xor_b64 s[16:17], s[16:17], -1
	s_or_b64 s[16:17], s[16:17], vcc
	v_add_co_u32_e32 v26, vcc, 32, v26
	v_addc_co_u32_e32 v27, vcc, 0, v27, vcc
	v_mov_b32_e32 v0, s65
	v_add_co_u32_e32 v28, vcc, s64, v28
	v_addc_co_u32_e32 v29, vcc, v29, v0, vcc
	s_and_b64 s[16:17], exec, s[16:17]
	v_add_co_u32_e32 v30, vcc, 4, v30
	s_or_b64 s[70:71], s[16:17], s[70:71]
	v_addc_co_u32_e32 v31, vcc, 0, v31, vcc
	s_andn2_b64 exec, exec, s[70:71]
	s_cbranch_execz .LBB121_64
.LBB121_59:                             ;   Parent Loop BB121_13 Depth=1
                                        ; =>  This Inner Loop Header: Depth=2
	global_load_dwordx2 v[32:33], v[26:27], off
	v_mov_b32_e32 v0, s86
	s_waitcnt vmcnt(0)
	v_subrev_co_u32_e32 v32, vcc, s85, v32
	v_subb_co_u32_e32 v33, vcc, v33, v0, vcc
	v_cmp_lt_i64_e32 vcc, v[32:33], v[22:23]
	v_cmp_gt_i64_e64 s[16:17], s[66:67], v[32:33]
	s_xor_b64 s[72:73], vcc, -1
	s_or_b64 s[72:73], s[16:17], s[72:73]
                                        ; implicit-def: $sgpr16_sgpr17
	s_and_saveexec_b64 s[74:75], s[72:73]
	s_xor_b64 s[72:73], exec, s[74:75]
; %bb.60:                               ;   in Loop: Header=BB121_59 Depth=2
	v_cmp_lt_i64_e64 s[16:17], v[32:33], v[24:25]
	v_cndmask_b32_e64 v0, v24, v32, s[16:17]
	v_cndmask_b32_e64 v9, v25, v33, s[16:17]
	v_cndmask_b32_e32 v25, v9, v25, vcc
	v_cndmask_b32_e32 v24, v0, v24, vcc
	s_and_b64 s[16:17], vcc, exec
                                        ; implicit-def: $vgpr32
; %bb.61:                               ;   in Loop: Header=BB121_59 Depth=2
	s_andn2_saveexec_b64 s[72:73], s[72:73]
	s_cbranch_execz .LBB121_58
; %bb.62:                               ;   in Loop: Header=BB121_59 Depth=2
	v_subrev_u32_e32 v0, s66, v32
	v_lshlrev_b32_e32 v9, 2, v0
	ds_write_b32 v9, v60 offset:10240
	s_and_saveexec_b64 s[74:75], s[60:61]
	s_cbranch_execz .LBB121_57
; %bb.63:                               ;   in Loop: Header=BB121_59 Depth=2
	global_load_dwordx2 v[32:33], v[28:29], off
	v_lshlrev_b32_e32 v0, 6, v0
	v_or3_b32 v0, v0, v45, v8
	v_lshlrev_b32_e32 v0, 3, v0
	s_waitcnt vmcnt(0)
	v_mul_f64 v[32:33], v[4:5], v[32:33]
	ds_add_f64 v0, v[32:33]
	s_branch .LBB121_57
.LBB121_64:                             ;   in Loop: Header=BB121_13 Depth=1
	s_or_b64 exec, exec, s[70:71]
.LBB121_65:                             ;   in Loop: Header=BB121_13 Depth=1
	s_or_b64 exec, exec, s[68:69]
.LBB121_66:                             ;   in Loop: Header=BB121_13 Depth=1
	s_and_saveexec_b64 s[16:17], s[4:5]
	s_cbranch_execz .LBB121_71
; %bb.67:                               ;   in Loop: Header=BB121_13 Depth=1
	s_mov_b64 s[68:69], exec
	s_mov_b64 s[18:19], -1
.LBB121_68:                             ;   Parent Loop BB121_13 Depth=1
                                        ; =>  This Inner Loop Header: Depth=2
	s_ff1_i32_b64 s72, s[68:69]
	v_readlane_b32 s73, v25, s72
	v_readlane_b32 s74, v24, s72
	v_mov_b32_e32 v22, s74
	v_mov_b32_e32 v23, s73
	v_cmp_lt_u64_e32 vcc, s[18:19], v[22:23]
	s_and_b64 s[70:71], vcc, exec
	s_cselect_b32 s19, s19, s73
	s_cselect_b32 s18, s18, s74
	s_lshl_b64 s[70:71], 1, s72
	s_andn2_b64 s[68:69], s[68:69], s[70:71]
	s_cmp_lg_u64 s[68:69], 0
	s_cbranch_scc1 .LBB121_68
; %bb.69:                               ;   in Loop: Header=BB121_13 Depth=1
	v_mbcnt_lo_u32_b32 v0, exec_lo, 0
	v_mbcnt_hi_u32_b32 v0, exec_hi, v0
	v_cmp_eq_u32_e32 vcc, 0, v0
	s_and_saveexec_b64 s[68:69], vcc
	s_xor_b64 s[68:69], exec, s[68:69]
	s_cbranch_execz .LBB121_71
; %bb.70:                               ;   in Loop: Header=BB121_13 Depth=1
	v_pk_mov_b32 v[22:23], s[18:19], s[18:19] op_sel:[0,1]
	ds_min_u64 v7, v[22:23] offset:10304
.LBB121_71:                             ;   in Loop: Header=BB121_13 Depth=1
	s_or_b64 exec, exec, s[16:17]
	s_waitcnt lgkmcnt(0)
	s_barrier
	ds_read_b32 v0, v48
	s_waitcnt lgkmcnt(0)
	s_barrier
	s_and_saveexec_b64 s[16:17], s[8:9]
	s_cbranch_execz .LBB121_73
; %bb.72:                               ;   in Loop: Header=BB121_13 Depth=1
	ds_read_b32 v9, v49
	s_waitcnt lgkmcnt(0)
	v_add_u32_e32 v0, v9, v0
.LBB121_73:                             ;   in Loop: Header=BB121_13 Depth=1
	s_or_b64 exec, exec, s[16:17]
	s_barrier
	ds_write_b32 v48, v0
	s_waitcnt lgkmcnt(0)
	s_barrier
	s_and_saveexec_b64 s[16:17], s[10:11]
	s_cbranch_execz .LBB121_75
; %bb.74:                               ;   in Loop: Header=BB121_13 Depth=1
	ds_read_b32 v9, v51
	s_waitcnt lgkmcnt(0)
	v_add_u32_e32 v0, v9, v0
.LBB121_75:                             ;   in Loop: Header=BB121_13 Depth=1
	s_or_b64 exec, exec, s[16:17]
	s_barrier
	ds_write_b32 v48, v0
	;; [unrolled: 12-line block ×4, first 2 shown]
	s_waitcnt lgkmcnt(0)
	s_barrier
	ds_read_b32 v24, v7 offset:10300
	v_mov_b32_e32 v9, 0
	s_and_saveexec_b64 s[16:17], s[6:7]
	s_cbranch_execz .LBB121_81
; %bb.80:                               ;   in Loop: Header=BB121_13 Depth=1
	ds_read_b32 v9, v49
.LBB121_81:                             ;   in Loop: Header=BB121_13 Depth=1
	s_or_b64 exec, exec, s[16:17]
	s_waitcnt lgkmcnt(0)
	v_cmp_eq_u32_e32 vcc, v0, v9
	s_and_b64 s[18:19], s[6:7], vcc
	s_barrier
	s_and_saveexec_b64 s[16:17], s[18:19]
	s_cbranch_execz .LBB121_83
; %bb.82:                               ;   in Loop: Header=BB121_13 Depth=1
	ds_write_b32 v48, v7
.LBB121_83:                             ;   in Loop: Header=BB121_13 Depth=1
	s_or_b64 exec, exec, s[16:17]
	v_add_co_u32_e32 v25, vcc, -1, v18
	s_add_u32 s66, s30, s66
	v_addc_co_u32_e32 v26, vcc, -1, v19, vcc
	s_addc_u32 s67, 0, s67
	s_mov_b64 s[16:17], 0
	v_mov_b32_e32 v27, v59
	v_mov_b32_e32 v28, v13
	v_pk_mov_b32 v[22:23], v[6:7], v[6:7] op_sel:[0,1]
	s_waitcnt lgkmcnt(0)
	s_barrier
	s_branch .LBB121_85
.LBB121_84:                             ;   in Loop: Header=BB121_85 Depth=2
	s_or_b64 exec, exec, s[18:19]
	v_add_co_u32_e32 v22, vcc, 4, v22
	v_addc_co_u32_e32 v23, vcc, 0, v23, vcc
	v_add_u32_e32 v0, -4, v22
	v_cmp_lt_u32_e32 vcc, 11, v0
	v_add_u32_e32 v28, 0x800, v28
	s_or_b64 s[16:17], vcc, s[16:17]
	v_add_u32_e32 v27, 16, v27
	s_andn2_b64 exec, exec, s[16:17]
	s_cbranch_execz .LBB121_12
.LBB121_85:                             ;   Parent Loop BB121_13 Depth=1
                                        ; =>  This Inner Loop Header: Depth=2
	ds_read_b32 v0, v27
	s_waitcnt lgkmcnt(0)
	v_cmp_ne_u32_e32 vcc, 0, v0
	s_and_saveexec_b64 s[18:19], vcc
	s_cbranch_execz .LBB121_84
; %bb.86:                               ;   in Loop: Header=BB121_85 Depth=2
	v_mov_b32_e32 v29, s67
	v_add_co_u32_e32 v30, vcc, s66, v22
	v_addc_co_u32_e32 v31, vcc, v29, v23, vcc
	v_ashrrev_i32_e32 v9, 31, v0
	v_add_co_u32_e32 v32, vcc, v18, v0
	v_addc_co_u32_e32 v33, vcc, v19, v9, vcc
	v_lshlrev_b64 v[32:33], 3, v[32:33]
	v_mov_b32_e32 v29, s89
	v_add_co_u32_e32 v32, vcc, s88, v32
	v_addc_co_u32_e32 v33, vcc, v29, v33, vcc
	global_store_dwordx2 v[32:33], v[30:31], off
	s_and_b64 exec, exec, s[60:61]
	s_cbranch_execz .LBB121_84
; %bb.87:                               ;   in Loop: Header=BB121_85 Depth=2
	v_add_co_u32_e32 v0, vcc, v25, v0
	v_addc_co_u32_e32 v9, vcc, v26, v9, vcc
	ds_read_b64 v[30:31], v28
	v_mul_lo_u32 v9, v9, s26
	v_mul_lo_u32 v29, v0, s27
	v_mad_u64_u32 v[32:33], s[68:69], v0, s26, 0
	v_add3_u32 v33, v33, v29, v9
	v_lshlrev_b64 v[32:33], 3, v[32:33]
	v_add_co_u32_e32 v32, vcc, v12, v32
	v_addc_co_u32_e32 v33, vcc, v1, v33, vcc
	s_waitcnt lgkmcnt(0)
	global_store_dwordx2 v[32:33], v[30:31], off
	s_branch .LBB121_84
.LBB121_88:
	s_endpgm
	.section	.rodata,"a",@progbits
	.p2align	6, 0x0
	.amdhsa_kernel _ZN9rocsparseL38bsrgemm_block_per_row_atomic_multipassILj256ELj16ELj8ElldEEv20rocsparse_direction_T3_S2_PKS2_S4_NS_24const_host_device_scalarIT4_EEPKT2_S4_PKS6_SA_S4_SC_S7_SA_S4_SC_SA_PS2_PS6_PS8_21rocsparse_index_base_SG_SG_SG_bbb
		.amdhsa_group_segment_fixed_size 10312
		.amdhsa_private_segment_fixed_size 0
		.amdhsa_kernarg_size 180
		.amdhsa_user_sgpr_count 6
		.amdhsa_user_sgpr_private_segment_buffer 1
		.amdhsa_user_sgpr_dispatch_ptr 0
		.amdhsa_user_sgpr_queue_ptr 0
		.amdhsa_user_sgpr_kernarg_segment_ptr 1
		.amdhsa_user_sgpr_dispatch_id 0
		.amdhsa_user_sgpr_flat_scratch_init 0
		.amdhsa_user_sgpr_kernarg_preload_length 0
		.amdhsa_user_sgpr_kernarg_preload_offset 0
		.amdhsa_user_sgpr_private_segment_size 0
		.amdhsa_uses_dynamic_stack 0
		.amdhsa_system_sgpr_private_segment_wavefront_offset 0
		.amdhsa_system_sgpr_workgroup_id_x 1
		.amdhsa_system_sgpr_workgroup_id_y 0
		.amdhsa_system_sgpr_workgroup_id_z 0
		.amdhsa_system_sgpr_workgroup_info 0
		.amdhsa_system_vgpr_workitem_id 0
		.amdhsa_next_free_vgpr 66
		.amdhsa_next_free_sgpr 91
		.amdhsa_accum_offset 68
		.amdhsa_reserve_vcc 1
		.amdhsa_reserve_flat_scratch 0
		.amdhsa_float_round_mode_32 0
		.amdhsa_float_round_mode_16_64 0
		.amdhsa_float_denorm_mode_32 3
		.amdhsa_float_denorm_mode_16_64 3
		.amdhsa_dx10_clamp 1
		.amdhsa_ieee_mode 1
		.amdhsa_fp16_overflow 0
		.amdhsa_tg_split 0
		.amdhsa_exception_fp_ieee_invalid_op 0
		.amdhsa_exception_fp_denorm_src 0
		.amdhsa_exception_fp_ieee_div_zero 0
		.amdhsa_exception_fp_ieee_overflow 0
		.amdhsa_exception_fp_ieee_underflow 0
		.amdhsa_exception_fp_ieee_inexact 0
		.amdhsa_exception_int_div_zero 0
	.end_amdhsa_kernel
	.section	.text._ZN9rocsparseL38bsrgemm_block_per_row_atomic_multipassILj256ELj16ELj8ElldEEv20rocsparse_direction_T3_S2_PKS2_S4_NS_24const_host_device_scalarIT4_EEPKT2_S4_PKS6_SA_S4_SC_S7_SA_S4_SC_SA_PS2_PS6_PS8_21rocsparse_index_base_SG_SG_SG_bbb,"axG",@progbits,_ZN9rocsparseL38bsrgemm_block_per_row_atomic_multipassILj256ELj16ELj8ElldEEv20rocsparse_direction_T3_S2_PKS2_S4_NS_24const_host_device_scalarIT4_EEPKT2_S4_PKS6_SA_S4_SC_S7_SA_S4_SC_SA_PS2_PS6_PS8_21rocsparse_index_base_SG_SG_SG_bbb,comdat
.Lfunc_end121:
	.size	_ZN9rocsparseL38bsrgemm_block_per_row_atomic_multipassILj256ELj16ELj8ElldEEv20rocsparse_direction_T3_S2_PKS2_S4_NS_24const_host_device_scalarIT4_EEPKT2_S4_PKS6_SA_S4_SC_S7_SA_S4_SC_SA_PS2_PS6_PS8_21rocsparse_index_base_SG_SG_SG_bbb, .Lfunc_end121-_ZN9rocsparseL38bsrgemm_block_per_row_atomic_multipassILj256ELj16ELj8ElldEEv20rocsparse_direction_T3_S2_PKS2_S4_NS_24const_host_device_scalarIT4_EEPKT2_S4_PKS6_SA_S4_SC_S7_SA_S4_SC_SA_PS2_PS6_PS8_21rocsparse_index_base_SG_SG_SG_bbb
                                        ; -- End function
	.section	.AMDGPU.csdata,"",@progbits
; Kernel info:
; codeLenInByte = 3456
; NumSgprs: 95
; NumVgprs: 66
; NumAgprs: 0
; TotalNumVgprs: 66
; ScratchSize: 0
; MemoryBound: 0
; FloatMode: 240
; IeeeMode: 1
; LDSByteSize: 10312 bytes/workgroup (compile time only)
; SGPRBlocks: 11
; VGPRBlocks: 8
; NumSGPRsForWavesPerEU: 95
; NumVGPRsForWavesPerEU: 66
; AccumOffset: 68
; Occupancy: 6
; WaveLimiterHint : 1
; COMPUTE_PGM_RSRC2:SCRATCH_EN: 0
; COMPUTE_PGM_RSRC2:USER_SGPR: 6
; COMPUTE_PGM_RSRC2:TRAP_HANDLER: 0
; COMPUTE_PGM_RSRC2:TGID_X_EN: 1
; COMPUTE_PGM_RSRC2:TGID_Y_EN: 0
; COMPUTE_PGM_RSRC2:TGID_Z_EN: 0
; COMPUTE_PGM_RSRC2:TIDIG_COMP_CNT: 0
; COMPUTE_PGM_RSRC3_GFX90A:ACCUM_OFFSET: 16
; COMPUTE_PGM_RSRC3_GFX90A:TG_SPLIT: 0
	.section	.text._ZN9rocsparseL38bsrgemm_block_per_row_atomic_multipassILj256ELj32ELj8ElldEEv20rocsparse_direction_T3_S2_PKS2_S4_NS_24const_host_device_scalarIT4_EEPKT2_S4_PKS6_SA_S4_SC_S7_SA_S4_SC_SA_PS2_PS6_PS8_21rocsparse_index_base_SG_SG_SG_bbb,"axG",@progbits,_ZN9rocsparseL38bsrgemm_block_per_row_atomic_multipassILj256ELj32ELj8ElldEEv20rocsparse_direction_T3_S2_PKS2_S4_NS_24const_host_device_scalarIT4_EEPKT2_S4_PKS6_SA_S4_SC_S7_SA_S4_SC_SA_PS2_PS6_PS8_21rocsparse_index_base_SG_SG_SG_bbb,comdat
	.globl	_ZN9rocsparseL38bsrgemm_block_per_row_atomic_multipassILj256ELj32ELj8ElldEEv20rocsparse_direction_T3_S2_PKS2_S4_NS_24const_host_device_scalarIT4_EEPKT2_S4_PKS6_SA_S4_SC_S7_SA_S4_SC_SA_PS2_PS6_PS8_21rocsparse_index_base_SG_SG_SG_bbb ; -- Begin function _ZN9rocsparseL38bsrgemm_block_per_row_atomic_multipassILj256ELj32ELj8ElldEEv20rocsparse_direction_T3_S2_PKS2_S4_NS_24const_host_device_scalarIT4_EEPKT2_S4_PKS6_SA_S4_SC_S7_SA_S4_SC_SA_PS2_PS6_PS8_21rocsparse_index_base_SG_SG_SG_bbb
	.p2align	8
	.type	_ZN9rocsparseL38bsrgemm_block_per_row_atomic_multipassILj256ELj32ELj8ElldEEv20rocsparse_direction_T3_S2_PKS2_S4_NS_24const_host_device_scalarIT4_EEPKT2_S4_PKS6_SA_S4_SC_S7_SA_S4_SC_SA_PS2_PS6_PS8_21rocsparse_index_base_SG_SG_SG_bbb,@function
_ZN9rocsparseL38bsrgemm_block_per_row_atomic_multipassILj256ELj32ELj8ElldEEv20rocsparse_direction_T3_S2_PKS2_S4_NS_24const_host_device_scalarIT4_EEPKT2_S4_PKS6_SA_S4_SC_S7_SA_S4_SC_SA_PS2_PS6_PS8_21rocsparse_index_base_SG_SG_SG_bbb: ; @_ZN9rocsparseL38bsrgemm_block_per_row_atomic_multipassILj256ELj32ELj8ElldEEv20rocsparse_direction_T3_S2_PKS2_S4_NS_24const_host_device_scalarIT4_EEPKT2_S4_PKS6_SA_S4_SC_S7_SA_S4_SC_SA_PS2_PS6_PS8_21rocsparse_index_base_SG_SG_SG_bbb
; %bb.0:
	s_load_dword s7, s[4:5], 0xb0
	s_load_dwordx4 s[28:31], s[4:5], 0xa0
	s_load_dwordx2 s[8:9], s[4:5], 0x28
	s_waitcnt lgkmcnt(0)
	s_and_b32 s0, 1, s7
	s_bitcmp1_b32 s7, 16
	s_cselect_b64 s[2:3], -1, 0
	s_cmp_eq_u32 s0, 1
	s_load_dwordx2 s[0:1], s[4:5], 0x60
	s_cselect_b64 s[12:13], -1, 0
	s_and_b64 s[10:11], s[12:13], exec
	s_cselect_b32 s11, s9, 0
	s_cselect_b32 s10, s8, 0
	s_xor_b64 s[14:15], s[12:13], -1
	s_or_b64 s[14:15], s[14:15], s[2:3]
	s_and_b64 vcc, exec, s[14:15]
	v_pk_mov_b32 v[2:3], s[10:11], s[10:11] op_sel:[0,1]
	s_cbranch_vccnz .LBB122_2
; %bb.1:
	v_pk_mov_b32 v[2:3], s[8:9], s[8:9] op_sel:[0,1]
	flat_load_dwordx2 v[2:3], v[2:3]
.LBB122_2:
	s_bitcmp1_b32 s7, 8
	s_load_dwordx2 s[8:9], s[4:5], 0x20
	s_cselect_b64 s[34:35], -1, 0
	s_and_b64 s[10:11], s[34:35], exec
	s_waitcnt lgkmcnt(0)
	s_cselect_b32 s11, s1, 0
	s_cselect_b32 s10, s0, 0
	s_xor_b64 s[14:15], s[34:35], -1
	s_or_b64 s[2:3], s[14:15], s[2:3]
	s_and_b64 vcc, exec, s[2:3]
	v_pk_mov_b32 v[4:5], s[10:11], s[10:11] op_sel:[0,1]
	s_cbranch_vccnz .LBB122_4
; %bb.3:
	v_pk_mov_b32 v[4:5], s[0:1], s[0:1] op_sel:[0,1]
	flat_load_dwordx2 v[4:5], v[4:5]
.LBB122_4:
	s_load_dwordx2 s[2:3], s[4:5], 0x30
	s_mov_b64 s[56:57], 0
	s_cmp_eq_u64 s[8:9], 0
	s_mov_b32 s7, 0
	s_cbranch_scc1 .LBB122_6
; %bb.5:
	s_load_dwordx2 s[0:1], s[4:5], 0x18
	s_waitcnt lgkmcnt(0)
	s_load_dwordx2 s[0:1], s[0:1], 0x0
	s_waitcnt lgkmcnt(0)
	s_lshl_b64 s[0:1], s[0:1], 3
	s_add_u32 s8, s8, s0
	s_addc_u32 s9, s9, s1
	s_lshl_b64 s[0:1], s[6:7], 3
	s_add_u32 s0, s8, s0
	s_addc_u32 s1, s9, s1
	s_load_dwordx2 s[6:7], s[0:1], 0x0
.LBB122_6:
	v_cndmask_b32_e64 v1, 0, 1, s[12:13]
	v_cmp_ne_u32_e64 s[0:1], 1, v1
	s_andn2_b64 vcc, exec, s[12:13]
	s_cbranch_vccz .LBB122_9
; %bb.7:
	s_and_b64 vcc, exec, s[0:1]
	s_mov_b64 s[58:59], 0
	s_cbranch_vccz .LBB122_10
.LBB122_8:
	s_load_dwordx4 s[52:55], s[4:5], 0x8
	s_waitcnt lgkmcnt(0)
	v_cmp_lt_i64_e64 s[0:1], s[52:53], 1
	s_and_b64 vcc, exec, s[0:1]
	s_cbranch_vccz .LBB122_11
	s_branch .LBB122_94
.LBB122_9:
	s_waitcnt lgkmcnt(0)
	s_lshl_b64 s[8:9], s[6:7], 3
	s_add_u32 s8, s2, s8
	s_addc_u32 s9, s3, s9
	s_load_dwordx2 s[8:9], s[8:9], 0x0
	s_waitcnt lgkmcnt(0)
	s_sub_u32 s56, s8, s28
	s_subb_u32 s57, s9, 0
	s_and_b64 vcc, exec, s[0:1]
	s_mov_b64 s[58:59], 0
	s_cbranch_vccnz .LBB122_8
.LBB122_10:
	s_waitcnt lgkmcnt(0)
	s_lshl_b64 s[0:1], s[6:7], 3
	s_add_u32 s0, s2, s0
	s_addc_u32 s1, s3, s1
	s_load_dwordx2 s[0:1], s[0:1], 0x8
	s_waitcnt lgkmcnt(0)
	s_sub_u32 s58, s0, s28
	s_subb_u32 s59, s1, 0
	s_load_dwordx4 s[52:55], s[4:5], 0x8
	s_waitcnt lgkmcnt(0)
	v_cmp_lt_i64_e64 s[0:1], s[52:53], 1
	s_and_b64 vcc, exec, s[0:1]
	s_cbranch_vccnz .LBB122_94
.LBB122_11:
	s_load_dwordx2 s[60:61], s[4:5], 0x98
	s_load_dwordx4 s[24:27], s[4:5], 0x88
	s_load_dwordx8 s[36:43], s[4:5], 0x68
	s_load_dwordx2 s[74:75], s[4:5], 0x58
	s_load_dwordx8 s[44:51], s[4:5], 0x38
	s_lshl_b64 s[6:7], s[6:7], 3
	s_load_dword s14, s[4:5], 0x0
	s_waitcnt lgkmcnt(0)
	s_add_u32 s0, s42, s6
	s_addc_u32 s1, s43, s7
	s_load_dwordx2 s[0:1], s[0:1], 0x0
	s_mul_i32 s4, s54, s55
	s_mul_hi_u32 s5, s54, s54
	v_bfe_u32 v16, v0, 3, 3
	v_lshlrev_b32_e32 v15, 3, v0
	s_waitcnt lgkmcnt(0)
	s_sub_u32 s76, s0, s30
	s_subb_u32 s77, s1, 0
	s_add_i32 s5, s5, s4
	s_add_i32 s43, s5, s4
	v_mad_u64_u32 v[12:13], s[4:5], v16, s54, 0
	v_mov_b32_e32 v14, v13
	v_mad_u64_u32 v[18:19], s[4:5], v16, s55, v[14:15]
	v_mov_b32_e32 v13, v18
	v_pk_mov_b32 v[10:11], s[58:59], s[58:59] op_sel:[0,1]
	v_lshlrev_b64 v[18:19], 3, v[12:13]
	v_and_b32_e32 v8, 7, v0
	v_cmp_lt_i64_e32 vcc, s[56:57], v[10:11]
	v_mov_b32_e32 v11, s47
	v_add_co_u32_e64 v14, s[4:5], s46, v18
	v_addc_co_u32_e64 v11, s[4:5], v11, v19, s[4:5]
	v_lshlrev_b32_e32 v12, 3, v8
	v_mov_b32_e32 v10, 0
	v_add_co_u32_e64 v47, s[4:5], v14, v12
	v_mov_b32_e32 v9, v10
	v_mov_b32_e32 v17, v10
	v_addc_co_u32_e64 v48, s[4:5], 0, v11, s[4:5]
	v_cmp_gt_i64_e64 s[10:11], s[54:55], v[8:9]
	v_cmp_gt_i64_e64 s[4:5], s[54:55], v[16:17]
	s_and_b64 s[46:47], s[10:11], s[4:5]
	v_mad_u64_u32 v[20:21], s[4:5], v8, s54, 0
	v_mov_b32_e32 v14, v21
	v_mad_u64_u32 v[22:23], s[4:5], v8, s55, v[14:15]
	v_mov_b32_e32 v21, v22
	v_lshlrev_b64 v[20:21], 3, v[20:21]
	v_mov_b32_e32 v9, s27
	v_add_co_u32_e64 v11, s[4:5], s26, v20
	v_cmp_gt_u64_e64 s[8:9], s[54:55], v[16:17]
	v_lshlrev_b64 v[16:17], 3, v[16:17]
	v_addc_co_u32_e64 v14, s[4:5], v9, v21, s[4:5]
	v_add_co_u32_e64 v11, s[4:5], v11, v16
	v_addc_co_u32_e64 v14, s[4:5], v14, v17, s[4:5]
	v_add_co_u32_e64 v22, s[4:5], s26, v18
	;; [unrolled: 2-line block ×3, first 2 shown]
	v_lshrrev_b32_e32 v6, 6, v0
	v_addc_co_u32_e64 v9, s[4:5], 0, v9, s[4:5]
	v_subrev_co_u32_e64 v50, s[4:5], s31, v6
	v_subb_co_u32_e64 v51, s[4:5], 0, 0, s[4:5]
	v_mov_b32_e32 v23, s41
	v_add_co_u32_e64 v20, s[4:5], s40, v20
	v_addc_co_u32_e64 v21, s[4:5], v23, v21, s[4:5]
	v_add_co_u32_e64 v16, s[4:5], v20, v16
	v_addc_co_u32_e64 v17, s[4:5], v21, v17, s[4:5]
	v_add_co_u32_e64 v18, s[4:5], s40, v18
	s_cmp_eq_u32 s14, 0
	v_addc_co_u32_e64 v19, s[4:5], v23, v19, s[4:5]
	s_cselect_b64 s[18:19], -1, 0
	s_cmp_lg_u32 s14, 0
	v_add_co_u32_e64 v18, s[4:5], v18, v12
	v_and_b32_e32 v1, 63, v0
	s_cselect_b64 s[62:63], -1, 0
	s_add_u32 s36, s36, s6
	v_addc_co_u32_e64 v19, s[4:5], 0, v19, s[4:5]
	s_addc_u32 s37, s37, s7
	v_cmp_eq_u32_e64 s[4:5], 63, v1
	v_and_b32_e32 v1, 31, v0
	v_mov_b32_e32 v23, 0x4800
	s_and_b64 s[40:41], s[12:13], vcc
	s_and_b64 s[64:65], s[10:11], s[8:9]
	s_movk_i32 s20, 0x200
	s_movk_i32 s22, 0x100
	v_cmp_gt_u32_e64 s[0:1], 32, v0
	v_cmp_eq_u32_e64 s[2:3], 0, v0
	s_movk_i32 s70, 0x4000
	v_and_b32_e32 v49, 56, v0
	s_mov_b32 s91, s31
	v_lshlrev_b32_e32 v20, 2, v1
	v_add_co_u32_e64 v21, s[6:7], -1, v1
	v_lshl_or_b32 v54, v0, 2, v23
	v_cmp_ne_u32_e64 s[8:9], 0, v1
	v_cmp_lt_u32_e64 s[10:11], 1, v1
	v_cmp_lt_u32_e64 s[12:13], 3, v1
	;; [unrolled: 1-line block ×4, first 2 shown]
	v_cndmask_b32_e64 v1, v14, v9, s[18:19]
	v_or_b32_e32 v9, 0x400, v0
	v_cmp_gt_u32_e64 s[20:21], s20, v0
	v_cmp_gt_u32_e64 s[22:23], s22, v0
	s_add_u32 s31, s48, 8
	v_lshlrev_b32_e32 v0, 9, v6
	v_cndmask_b32_e64 v16, v16, v18, s[18:19]
	s_addc_u32 s93, s49, 0
	v_or3_b32 v59, v0, v49, s70
	v_mov_b32_e32 v0, s75
	v_add_co_u32_e32 v18, vcc, s74, v12
	s_mov_b32 s33, 0
	v_cndmask_b32_e64 v17, v17, v19, s[18:19]
	s_add_u32 s94, s24, -8
	v_addc_co_u32_e32 v19, vcc, 0, v0, vcc
	s_mul_i32 s42, s54, s54
	v_cndmask_b32_e64 v14, v11, v22, s[18:19]
	s_movk_i32 s18, 0x700
	s_addc_u32 s95, s25, -1
	v_and_b32_e32 v0, 0x7c0, v15
	v_add_co_u32_e32 v61, vcc, 4, v50
	v_mov_b32_e32 v26, 32
	s_mov_b32 s24, s33
	s_mov_b32 s25, s33
	v_mov_b32_e32 v7, v10
	v_or_b32_e32 v46, 0x4000, v15
	v_mov_b32_e32 v13, v10
	s_mov_b32 s90, s33
	s_mov_b32 s92, s33
	v_or_b32_e32 v52, 0x4800, v20
	v_lshl_add_u32 v53, v21, 2, v23
	v_add_u32_e32 v55, 0x47f8, v20
	v_add_u32_e32 v56, 0x47f0, v20
	;; [unrolled: 1-line block ×4, first 2 shown]
	v_cmp_gt_u32_e64 s[18:19], s18, v9
	s_lshl_b64 s[66:67], s[54:55], 3
	s_lshl_b64 s[68:69], s[42:43], 3
	v_or_b32_e32 v60, 0x4000, v0
	s_lshl_b64 s[70:71], s[42:43], 5
	v_addc_co_u32_e32 v62, vcc, 0, v51, vcc
	v_lshl_or_b32 v63, v6, 2, v23
	s_mov_b64 s[72:73], 0
	v_mov_b32_e32 v27, 0
	v_pk_mov_b32 v[20:21], s[76:77], s[76:77] op_sel:[0,1]
	v_pk_mov_b32 v[22:23], s[24:25], s[24:25] op_sel:[0,1]
	v_mov_b32_e32 v64, 1
	v_pk_mov_b32 v[24:25], s[74:75], s[74:75] op_sel:[0,1]
	s_branch .LBB122_13
.LBB122_12:                             ;   in Loop: Header=BB122_13 Depth=1
	s_or_b64 exec, exec, s[24:25]
	s_barrier
	ds_read_b64 v[28:29], v10 offset:18560
	v_ashrrev_i32_e32 v0, 31, v11
	v_add_co_u32_e32 v20, vcc, v20, v11
	v_addc_co_u32_e32 v21, vcc, v21, v0, vcc
	s_waitcnt lgkmcnt(0)
	v_add_co_u32_e32 v26, vcc, 32, v28
	v_addc_co_u32_e32 v27, vcc, 0, v29, vcc
	v_cmp_le_i64_e32 vcc, s[52:53], v[28:29]
	v_readfirstlane_b32 s72, v28
	v_readfirstlane_b32 s73, v29
	s_barrier
	s_cbranch_vccnz .LBB122_94
.LBB122_13:                             ; =>This Loop Header: Depth=1
                                        ;     Child Loop BB122_26 Depth 2
                                        ;       Child Loop BB122_41 Depth 3
                                        ;         Child Loop BB122_53 Depth 4
                                        ;         Child Loop BB122_49 Depth 4
                                        ;     Child Loop BB122_63 Depth 2
                                        ;     Child Loop BB122_72 Depth 2
	;; [unrolled: 1-line block ×3, first 2 shown]
	s_and_saveexec_b64 s[24:25], s[0:1]
	s_cbranch_execz .LBB122_15
; %bb.14:                               ;   in Loop: Header=BB122_13 Depth=1
	ds_write_b32 v54, v10
.LBB122_15:                             ;   in Loop: Header=BB122_13 Depth=1
	s_or_b64 exec, exec, s[24:25]
	ds_write2st64_b64 v15, v[22:23], v[22:23] offset1:4
	ds_write2st64_b64 v15, v[22:23], v[22:23] offset0:8 offset1:12
	ds_write_b64 v15, v[22:23] offset:8192
	s_and_saveexec_b64 s[24:25], s[18:19]
	s_xor_b64 s[24:25], exec, s[24:25]
	s_cbranch_execz .LBB122_21
; %bb.16:                               ;   in Loop: Header=BB122_13 Depth=1
	v_mov_b32_e32 v11, v10
	ds_write_b64 v15, v[10:11] offset:10240
	s_and_saveexec_b64 s[26:27], s[20:21]
	s_xor_b64 s[26:27], exec, s[26:27]
	s_cbranch_execz .LBB122_20
; %bb.17:                               ;   in Loop: Header=BB122_13 Depth=1
	ds_write_b64 v15, v[10:11] offset:12288
	s_and_saveexec_b64 s[74:75], s[22:23]
	s_xor_b64 s[74:75], exec, s[74:75]
	s_cbranch_execz .LBB122_19
; %bb.18:                               ;   in Loop: Header=BB122_13 Depth=1
	v_mov_b32_e32 v11, v10
	ds_write_b64 v15, v[10:11] offset:14336
.LBB122_19:                             ;   in Loop: Header=BB122_13 Depth=1
	s_or_b64 exec, exec, s[74:75]
.LBB122_20:                             ;   in Loop: Header=BB122_13 Depth=1
	s_or_b64 exec, exec, s[26:27]
.LBB122_21:                             ;   in Loop: Header=BB122_13 Depth=1
	s_or_b64 exec, exec, s[24:25]
	s_and_saveexec_b64 s[24:25], s[2:3]
	s_cbranch_execz .LBB122_23
; %bb.22:                               ;   in Loop: Header=BB122_13 Depth=1
	v_pk_mov_b32 v[28:29], s[52:53], s[52:53] op_sel:[0,1]
	ds_write_b64 v10, v[28:29] offset:18560
.LBB122_23:                             ;   in Loop: Header=BB122_13 Depth=1
	s_or_b64 exec, exec, s[24:25]
	s_andn2_b64 vcc, exec, s[40:41]
	v_pk_mov_b32 v[28:29], s[52:53], s[52:53] op_sel:[0,1]
	s_waitcnt lgkmcnt(0)
	s_barrier
	s_cbranch_vccnz .LBB122_58
; %bb.24:                               ;   in Loop: Header=BB122_13 Depth=1
	s_cmp_lg_u64 s[72:73], 0
	s_cselect_b64 s[74:75], -1, 0
	v_pk_mov_b32 v[28:29], s[52:53], s[52:53] op_sel:[0,1]
	s_mov_b64 s[76:77], s[56:57]
	s_branch .LBB122_26
.LBB122_25:                             ;   in Loop: Header=BB122_26 Depth=2
	s_or_b64 exec, exec, s[26:27]
	s_add_u32 s76, s76, 4
	s_addc_u32 s77, s77, 0
	v_pk_mov_b32 v[30:31], s[58:59], s[58:59] op_sel:[0,1]
	v_cmp_lt_i64_e32 vcc, s[76:77], v[30:31]
	s_cbranch_vccz .LBB122_58
.LBB122_26:                             ;   Parent Loop BB122_13 Depth=1
                                        ; =>  This Loop Header: Depth=2
                                        ;       Child Loop BB122_41 Depth 3
                                        ;         Child Loop BB122_53 Depth 4
                                        ;         Child Loop BB122_49 Depth 4
	v_mov_b32_e32 v0, s77
	v_add_co_u32_e32 v30, vcc, s76, v6
	v_addc_co_u32_e32 v31, vcc, 0, v0, vcc
	v_cmp_gt_i64_e64 s[24:25], s[58:59], v[30:31]
	s_barrier
	s_and_saveexec_b64 s[26:27], s[24:25]
	s_cbranch_execz .LBB122_30
; %bb.27:                               ;   in Loop: Header=BB122_26 Depth=2
	v_pk_mov_b32 v[32:33], 0, 0
	s_and_saveexec_b64 s[78:79], s[64:65]
	s_cbranch_execz .LBB122_29
; %bb.28:                               ;   in Loop: Header=BB122_26 Depth=2
	v_mul_lo_u32 v0, v31, s42
	v_mul_lo_u32 v9, v30, s43
	v_mad_u64_u32 v[32:33], s[80:81], v30, s42, 0
	v_add3_u32 v33, v33, v9, v0
	v_lshlrev_b64 v[32:33], 3, v[32:33]
	v_add_co_u32_e32 v32, vcc, v47, v32
	v_addc_co_u32_e32 v33, vcc, v48, v33, vcc
	global_load_dwordx2 v[32:33], v[32:33], off
.LBB122_29:                             ;   in Loop: Header=BB122_26 Depth=2
	s_or_b64 exec, exec, s[78:79]
	s_waitcnt vmcnt(0)
	ds_write_b64 v46, v[32:33]
.LBB122_30:                             ;   in Loop: Header=BB122_26 Depth=2
	s_or_b64 exec, exec, s[26:27]
	v_pk_mov_b32 v[32:33], 0, 0
	v_lshlrev_b64 v[30:31], 3, v[30:31]
	s_waitcnt lgkmcnt(0)
	s_barrier
	s_and_saveexec_b64 s[78:79], s[24:25]
	s_cbranch_execz .LBB122_56
; %bb.31:                               ;   in Loop: Header=BB122_26 Depth=2
	v_mov_b32_e32 v0, s45
	v_add_co_u32_e32 v32, vcc, s44, v30
	v_addc_co_u32_e32 v33, vcc, v0, v31, vcc
	global_load_dwordx2 v[34:35], v[32:33], off
	s_and_b64 vcc, exec, s[74:75]
	s_cbranch_vccz .LBB122_33
; %bb.32:                               ;   in Loop: Header=BB122_26 Depth=2
	v_mov_b32_e32 v0, s61
	v_add_co_u32_e32 v32, vcc, s60, v30
	v_addc_co_u32_e32 v33, vcc, v0, v31, vcc
	global_load_dwordx2 v[32:33], v[32:33], off
	s_mov_b64 s[26:27], 0
	s_branch .LBB122_34
.LBB122_33:                             ;   in Loop: Header=BB122_26 Depth=2
	s_mov_b64 s[26:27], -1
                                        ; implicit-def: $vgpr32_vgpr33
.LBB122_34:                             ;   in Loop: Header=BB122_26 Depth=2
	v_mov_b32_e32 v0, s90
	s_waitcnt vmcnt(0)
	v_subrev_co_u32_e32 v34, vcc, s28, v34
	v_subb_co_u32_e32 v35, vcc, v35, v0, vcc
	s_andn2_b64 vcc, exec, s[26:27]
	v_lshlrev_b64 v[34:35], 3, v[34:35]
	s_cbranch_vccnz .LBB122_36
; %bb.35:                               ;   in Loop: Header=BB122_26 Depth=2
	v_mov_b32_e32 v0, s49
	v_add_co_u32_e32 v32, vcc, s48, v34
	v_addc_co_u32_e32 v33, vcc, v0, v35, vcc
	global_load_dwordx2 v[32:33], v[32:33], off
	v_mov_b32_e32 v0, s33
	s_waitcnt vmcnt(0)
	v_subrev_co_u32_e32 v32, vcc, s29, v32
	v_subb_co_u32_e32 v33, vcc, v33, v0, vcc
.LBB122_36:                             ;   in Loop: Header=BB122_26 Depth=2
	v_mov_b32_e32 v0, s93
	v_add_co_u32_e32 v34, vcc, s31, v34
	v_addc_co_u32_e32 v35, vcc, v0, v35, vcc
	global_load_dwordx2 v[34:35], v[34:35], off
	v_mov_b32_e32 v0, s33
	s_waitcnt vmcnt(0)
	v_subrev_co_u32_e32 v34, vcc, s29, v34
	v_subb_co_u32_e32 v35, vcc, v35, v0, vcc
	v_cmp_lt_i64_e32 vcc, v[32:33], v[34:35]
	s_and_saveexec_b64 s[80:81], vcc
	s_cbranch_execz .LBB122_55
; %bb.37:                               ;   in Loop: Header=BB122_26 Depth=2
	v_mad_u64_u32 v[36:37], s[26:27], s66, v32, v[12:13]
	v_mul_lo_u32 v0, s66, v33
	v_mul_lo_u32 v9, s67, v32
	v_add3_u32 v0, v9, v37, v0
	v_mul_lo_u32 v9, s55, v36
	v_mul_lo_u32 v0, s54, v0
	v_mad_u64_u32 v[36:37], s[26:27], s54, v36, v[24:25]
	v_add3_u32 v37, v9, v37, v0
	v_mad_u64_u32 v[38:39], s[26:27], s68, v32, v[18:19]
	v_mul_lo_u32 v0, s68, v33
	v_mul_lo_u32 v9, s69, v32
	v_add3_u32 v39, v9, v39, v0
	s_mov_b64 s[82:83], 0
	v_pk_mov_b32 v[40:41], v[32:33], v[32:33] op_sel:[0,1]
	s_branch .LBB122_41
.LBB122_38:                             ;   in Loop: Header=BB122_41 Depth=3
	v_lshlrev_b32_e32 v0, 6, v0
	v_or3_b32 v0, v0, v49, v8
	v_lshlrev_b32_e32 v0, 3, v0
	v_mul_f64 v[42:43], v[2:3], v[42:43]
	ds_add_f64 v0, v[42:43]
.LBB122_39:                             ;   in Loop: Header=BB122_41 Depth=3
	s_or_b64 exec, exec, s[86:87]
	s_or_b64 s[26:27], s[26:27], exec
.LBB122_40:                             ;   in Loop: Header=BB122_41 Depth=3
	s_or_b64 exec, exec, s[84:85]
	v_add_co_u32_e32 v32, vcc, 1, v32
	v_addc_co_u32_e32 v33, vcc, 0, v33, vcc
	v_cmp_ge_i64_e32 vcc, v[32:33], v[34:35]
	s_xor_b64 s[26:27], s[26:27], -1
	s_or_b64 s[26:27], s[26:27], vcc
	v_mov_b32_e32 v0, s69
	v_add_co_u32_e32 v36, vcc, s68, v36
	v_addc_co_u32_e32 v37, vcc, v37, v0, vcc
	s_and_b64 s[26:27], exec, s[26:27]
	v_add_co_u32_e32 v38, vcc, s68, v38
	s_or_b64 s[82:83], s[26:27], s[82:83]
	v_addc_co_u32_e32 v39, vcc, v39, v0, vcc
	s_andn2_b64 exec, exec, s[82:83]
	s_cbranch_execz .LBB122_54
.LBB122_41:                             ;   Parent Loop BB122_13 Depth=1
                                        ;     Parent Loop BB122_26 Depth=2
                                        ; =>    This Loop Header: Depth=3
                                        ;         Child Loop BB122_53 Depth 4
                                        ;         Child Loop BB122_49 Depth 4
	v_lshlrev_b64 v[42:43], 3, v[32:33]
	v_mov_b32_e32 v0, s51
	v_add_co_u32_e32 v42, vcc, s50, v42
	v_addc_co_u32_e32 v43, vcc, v0, v43, vcc
	global_load_dwordx2 v[42:43], v[42:43], off
	v_mov_b32_e32 v0, s33
	s_waitcnt vmcnt(0)
	v_subrev_co_u32_e32 v42, vcc, s29, v42
	v_subb_co_u32_e32 v43, vcc, v43, v0, vcc
	v_cmp_gt_i64_e64 s[26:27], s[72:73], v[42:43]
	v_cmp_ge_i64_e32 vcc, v[42:43], v[26:27]
	s_or_b64 s[84:85], s[26:27], vcc
                                        ; implicit-def: $sgpr26_sgpr27
	s_and_saveexec_b64 s[86:87], s[84:85]
	s_xor_b64 s[84:85], exec, s[86:87]
	s_cbranch_execz .LBB122_45
; %bb.42:                               ;   in Loop: Header=BB122_41 Depth=3
	s_mov_b64 s[26:27], -1
	s_and_saveexec_b64 s[86:87], vcc
; %bb.43:                               ;   in Loop: Header=BB122_41 Depth=3
	v_cmp_lt_i64_e32 vcc, v[42:43], v[28:29]
	v_cndmask_b32_e32 v29, v29, v43, vcc
	v_cndmask_b32_e32 v28, v28, v42, vcc
	s_xor_b64 s[26:27], exec, -1
	v_pk_mov_b32 v[40:41], v[32:33], v[32:33] op_sel:[0,1]
; %bb.44:                               ;   in Loop: Header=BB122_41 Depth=3
	s_or_b64 exec, exec, s[86:87]
	s_and_b64 s[26:27], s[26:27], exec
                                        ; implicit-def: $vgpr42_vgpr43
.LBB122_45:                             ;   in Loop: Header=BB122_41 Depth=3
	s_andn2_saveexec_b64 s[84:85], s[84:85]
	s_cbranch_execz .LBB122_40
; %bb.46:                               ;   in Loop: Header=BB122_41 Depth=3
	v_subrev_u32_e32 v0, s72, v42
	v_lshlrev_b32_e32 v9, 2, v0
	ds_write_b32 v9, v64 offset:18432
	s_and_saveexec_b64 s[86:87], s[46:47]
	s_cbranch_execz .LBB122_39
; %bb.47:                               ;   in Loop: Header=BB122_41 Depth=3
	s_andn2_b64 vcc, exec, s[62:63]
	s_cbranch_vccnz .LBB122_51
; %bb.48:                               ;   in Loop: Header=BB122_41 Depth=3
	v_pk_mov_b32 v[42:43], 0, 0
	v_mov_b32_e32 v9, v59
	s_mov_b64 s[88:89], s[54:55]
	v_pk_mov_b32 v[44:45], v[36:37], v[36:37] op_sel:[0,1]
.LBB122_49:                             ;   Parent Loop BB122_13 Depth=1
                                        ;     Parent Loop BB122_26 Depth=2
                                        ;       Parent Loop BB122_41 Depth=3
                                        ; =>      This Inner Loop Header: Depth=4
	global_load_dwordx2 v[66:67], v[44:45], off
	ds_read_b64 v[68:69], v9
	s_add_u32 s88, s88, -1
	v_add_co_u32_e32 v44, vcc, 8, v44
	s_addc_u32 s89, s89, -1
	v_addc_co_u32_e32 v45, vcc, 0, v45, vcc
	v_add_u32_e32 v9, 64, v9
	s_cmp_lg_u64 s[88:89], 0
	s_waitcnt vmcnt(0) lgkmcnt(0)
	v_fmac_f64_e32 v[42:43], v[68:69], v[66:67]
	s_cbranch_scc1 .LBB122_49
; %bb.50:                               ;   in Loop: Header=BB122_41 Depth=3
	s_branch .LBB122_38
.LBB122_51:                             ;   in Loop: Header=BB122_41 Depth=3
                                        ; implicit-def: $vgpr42_vgpr43
	s_cbranch_execz .LBB122_38
; %bb.52:                               ;   in Loop: Header=BB122_41 Depth=3
	v_pk_mov_b32 v[42:43], 0, 0
	v_mov_b32_e32 v9, v60
	v_pk_mov_b32 v[44:45], v[38:39], v[38:39] op_sel:[0,1]
	s_mov_b64 s[88:89], s[54:55]
.LBB122_53:                             ;   Parent Loop BB122_13 Depth=1
                                        ;     Parent Loop BB122_26 Depth=2
                                        ;       Parent Loop BB122_41 Depth=3
                                        ; =>      This Inner Loop Header: Depth=4
	global_load_dwordx2 v[66:67], v[44:45], off
	ds_read_b64 v[68:69], v9
	s_add_u32 s88, s88, -1
	v_mov_b32_e32 v11, s67
	v_add_co_u32_e32 v44, vcc, s66, v44
	s_addc_u32 s89, s89, -1
	v_add_u32_e32 v9, 8, v9
	v_addc_co_u32_e32 v45, vcc, v45, v11, vcc
	s_cmp_eq_u64 s[88:89], 0
	s_waitcnt vmcnt(0) lgkmcnt(0)
	v_fmac_f64_e32 v[42:43], v[68:69], v[66:67]
	s_cbranch_scc0 .LBB122_53
	s_branch .LBB122_38
.LBB122_54:                             ;   in Loop: Header=BB122_26 Depth=2
	s_or_b64 exec, exec, s[82:83]
	v_pk_mov_b32 v[32:33], v[40:41], v[40:41] op_sel:[0,1]
.LBB122_55:                             ;   in Loop: Header=BB122_26 Depth=2
	s_or_b64 exec, exec, s[80:81]
.LBB122_56:                             ;   in Loop: Header=BB122_26 Depth=2
	s_or_b64 exec, exec, s[78:79]
	s_waitcnt lgkmcnt(0)
	s_barrier
	s_and_saveexec_b64 s[26:27], s[24:25]
	s_cbranch_execz .LBB122_25
; %bb.57:                               ;   in Loop: Header=BB122_26 Depth=2
	v_mov_b32_e32 v0, s61
	v_add_co_u32_e32 v30, vcc, s60, v30
	v_addc_co_u32_e32 v31, vcc, v0, v31, vcc
	global_store_dwordx2 v[30:31], v[32:33], off
	s_branch .LBB122_25
.LBB122_58:                             ;   in Loop: Header=BB122_13 Depth=1
	s_andn2_b64 vcc, exec, s[34:35]
	s_cbranch_vccnz .LBB122_70
; %bb.59:                               ;   in Loop: Header=BB122_13 Depth=1
	s_load_dwordx4 s[24:27], s[36:37], 0x0
	s_waitcnt lgkmcnt(0)
	s_sub_u32 s26, s26, s91
	v_mov_b32_e32 v0, s25
	v_add_co_u32_e32 v34, vcc, s24, v50
	s_subb_u32 s27, s27, 0
	v_addc_co_u32_e32 v35, vcc, v0, v51, vcc
	v_cmp_gt_i64_e32 vcc, s[26:27], v[34:35]
	s_and_saveexec_b64 s[74:75], vcc
	s_cbranch_execz .LBB122_69
; %bb.60:                               ;   in Loop: Header=BB122_13 Depth=1
	v_lshlrev_b64 v[30:31], 3, v[34:35]
	v_mov_b32_e32 v0, s39
	v_add_co_u32_e32 v30, vcc, s38, v30
	v_addc_co_u32_e32 v31, vcc, v0, v31, vcc
	v_mad_u64_u32 v[32:33], s[76:77], s68, v34, v[16:17]
	v_mul_lo_u32 v0, s68, v35
	v_mul_lo_u32 v9, s69, v34
	v_add3_u32 v33, v9, v33, v0
	v_mov_b32_e32 v0, s25
	v_add_co_u32_e32 v34, vcc, s24, v61
	v_addc_co_u32_e32 v35, vcc, v62, v0, vcc
	s_mov_b64 s[76:77], 0
	s_branch .LBB122_63
.LBB122_61:                             ;   in Loop: Header=BB122_63 Depth=2
	s_or_b64 exec, exec, s[80:81]
	s_or_b64 s[24:25], s[24:25], exec
.LBB122_62:                             ;   in Loop: Header=BB122_63 Depth=2
	s_or_b64 exec, exec, s[78:79]
	v_cmp_le_i64_e32 vcc, s[26:27], v[34:35]
	s_xor_b64 s[24:25], s[24:25], -1
	s_or_b64 s[24:25], s[24:25], vcc
	v_add_co_u32_e32 v30, vcc, 32, v30
	v_addc_co_u32_e32 v31, vcc, 0, v31, vcc
	v_mov_b32_e32 v0, s71
	v_add_co_u32_e32 v32, vcc, s70, v32
	v_addc_co_u32_e32 v33, vcc, v33, v0, vcc
	s_and_b64 s[24:25], exec, s[24:25]
	v_add_co_u32_e32 v34, vcc, 4, v34
	s_or_b64 s[76:77], s[24:25], s[76:77]
	v_addc_co_u32_e32 v35, vcc, 0, v35, vcc
	s_andn2_b64 exec, exec, s[76:77]
	s_cbranch_execz .LBB122_68
.LBB122_63:                             ;   Parent Loop BB122_13 Depth=1
                                        ; =>  This Inner Loop Header: Depth=2
	global_load_dwordx2 v[36:37], v[30:31], off
	v_mov_b32_e32 v0, s92
	s_waitcnt vmcnt(0)
	v_subrev_co_u32_e32 v36, vcc, s91, v36
	v_subb_co_u32_e32 v37, vcc, v37, v0, vcc
	v_cmp_lt_i64_e32 vcc, v[36:37], v[26:27]
	v_cmp_gt_i64_e64 s[24:25], s[72:73], v[36:37]
	s_xor_b64 s[78:79], vcc, -1
	s_or_b64 s[78:79], s[24:25], s[78:79]
                                        ; implicit-def: $sgpr24_sgpr25
	s_and_saveexec_b64 s[80:81], s[78:79]
	s_xor_b64 s[78:79], exec, s[80:81]
; %bb.64:                               ;   in Loop: Header=BB122_63 Depth=2
	v_cmp_lt_i64_e64 s[24:25], v[36:37], v[28:29]
	v_cndmask_b32_e64 v0, v28, v36, s[24:25]
	v_cndmask_b32_e64 v9, v29, v37, s[24:25]
	v_cndmask_b32_e32 v29, v9, v29, vcc
	v_cndmask_b32_e32 v28, v0, v28, vcc
	s_and_b64 s[24:25], vcc, exec
                                        ; implicit-def: $vgpr36
; %bb.65:                               ;   in Loop: Header=BB122_63 Depth=2
	s_andn2_saveexec_b64 s[78:79], s[78:79]
	s_cbranch_execz .LBB122_62
; %bb.66:                               ;   in Loop: Header=BB122_63 Depth=2
	v_subrev_u32_e32 v0, s72, v36
	v_lshlrev_b32_e32 v9, 2, v0
	ds_write_b32 v9, v64 offset:18432
	s_and_saveexec_b64 s[80:81], s[64:65]
	s_cbranch_execz .LBB122_61
; %bb.67:                               ;   in Loop: Header=BB122_63 Depth=2
	global_load_dwordx2 v[36:37], v[32:33], off
	v_lshlrev_b32_e32 v0, 6, v0
	v_or3_b32 v0, v0, v49, v8
	v_lshlrev_b32_e32 v0, 3, v0
	s_waitcnt vmcnt(0)
	v_mul_f64 v[36:37], v[4:5], v[36:37]
	ds_add_f64 v0, v[36:37]
	s_branch .LBB122_61
.LBB122_68:                             ;   in Loop: Header=BB122_13 Depth=1
	s_or_b64 exec, exec, s[76:77]
.LBB122_69:                             ;   in Loop: Header=BB122_13 Depth=1
	s_or_b64 exec, exec, s[74:75]
.LBB122_70:                             ;   in Loop: Header=BB122_13 Depth=1
	s_and_saveexec_b64 s[24:25], s[4:5]
	s_cbranch_execz .LBB122_75
; %bb.71:                               ;   in Loop: Header=BB122_13 Depth=1
	s_mov_b64 s[74:75], exec
	s_mov_b64 s[26:27], -1
.LBB122_72:                             ;   Parent Loop BB122_13 Depth=1
                                        ; =>  This Inner Loop Header: Depth=2
	s_ff1_i32_b64 s78, s[74:75]
	v_readlane_b32 s79, v29, s78
	v_readlane_b32 s80, v28, s78
	v_mov_b32_e32 v26, s80
	v_mov_b32_e32 v27, s79
	v_cmp_lt_u64_e32 vcc, s[26:27], v[26:27]
	s_and_b64 s[76:77], vcc, exec
	s_cselect_b32 s27, s27, s79
	s_cselect_b32 s26, s26, s80
	s_lshl_b64 s[76:77], 1, s78
	s_andn2_b64 s[74:75], s[74:75], s[76:77]
	s_cmp_lg_u64 s[74:75], 0
	s_cbranch_scc1 .LBB122_72
; %bb.73:                               ;   in Loop: Header=BB122_13 Depth=1
	v_mbcnt_lo_u32_b32 v0, exec_lo, 0
	v_mbcnt_hi_u32_b32 v0, exec_hi, v0
	v_cmp_eq_u32_e32 vcc, 0, v0
	s_and_saveexec_b64 s[74:75], vcc
	s_xor_b64 s[74:75], exec, s[74:75]
	s_cbranch_execz .LBB122_75
; %bb.74:                               ;   in Loop: Header=BB122_13 Depth=1
	v_pk_mov_b32 v[26:27], s[26:27], s[26:27] op_sel:[0,1]
	ds_min_u64 v10, v[26:27] offset:18560
.LBB122_75:                             ;   in Loop: Header=BB122_13 Depth=1
	s_or_b64 exec, exec, s[24:25]
	s_waitcnt lgkmcnt(0)
	s_barrier
	ds_read_b32 v0, v52
	s_waitcnt lgkmcnt(0)
	s_barrier
	s_and_saveexec_b64 s[24:25], s[8:9]
	s_cbranch_execz .LBB122_77
; %bb.76:                               ;   in Loop: Header=BB122_13 Depth=1
	ds_read_b32 v9, v53
	s_waitcnt lgkmcnt(0)
	v_add_u32_e32 v0, v9, v0
.LBB122_77:                             ;   in Loop: Header=BB122_13 Depth=1
	s_or_b64 exec, exec, s[24:25]
	s_barrier
	ds_write_b32 v52, v0
	s_waitcnt lgkmcnt(0)
	s_barrier
	s_and_saveexec_b64 s[24:25], s[10:11]
	s_cbranch_execz .LBB122_79
; %bb.78:                               ;   in Loop: Header=BB122_13 Depth=1
	ds_read_b32 v9, v55
	s_waitcnt lgkmcnt(0)
	v_add_u32_e32 v0, v9, v0
.LBB122_79:                             ;   in Loop: Header=BB122_13 Depth=1
	s_or_b64 exec, exec, s[24:25]
	s_barrier
	ds_write_b32 v52, v0
	;; [unrolled: 12-line block ×5, first 2 shown]
	s_waitcnt lgkmcnt(0)
	s_barrier
	ds_read_b32 v11, v10 offset:18556
	v_mov_b32_e32 v9, 0
	s_and_saveexec_b64 s[24:25], s[6:7]
	s_cbranch_execz .LBB122_87
; %bb.86:                               ;   in Loop: Header=BB122_13 Depth=1
	ds_read_b32 v9, v53
.LBB122_87:                             ;   in Loop: Header=BB122_13 Depth=1
	s_or_b64 exec, exec, s[24:25]
	s_waitcnt lgkmcnt(0)
	v_cmp_eq_u32_e32 vcc, v0, v9
	s_and_b64 s[26:27], s[6:7], vcc
	s_barrier
	s_and_saveexec_b64 s[24:25], s[26:27]
	s_cbranch_execz .LBB122_89
; %bb.88:                               ;   in Loop: Header=BB122_13 Depth=1
	ds_write_b32 v52, v10
.LBB122_89:                             ;   in Loop: Header=BB122_13 Depth=1
	s_or_b64 exec, exec, s[24:25]
	v_add_co_u32_e32 v28, vcc, -1, v20
	s_add_u32 s72, s30, s72
	v_addc_co_u32_e32 v29, vcc, -1, v21, vcc
	s_addc_u32 s73, 0, s73
	s_mov_b64 s[24:25], 0
	v_mov_b32_e32 v30, v63
	v_mov_b32_e32 v31, v15
	v_pk_mov_b32 v[26:27], v[6:7], v[6:7] op_sel:[0,1]
	s_waitcnt lgkmcnt(0)
	s_barrier
	s_branch .LBB122_91
.LBB122_90:                             ;   in Loop: Header=BB122_91 Depth=2
	s_or_b64 exec, exec, s[26:27]
	v_add_co_u32_e32 v26, vcc, 4, v26
	v_addc_co_u32_e32 v27, vcc, 0, v27, vcc
	v_add_u32_e32 v0, -4, v26
	v_cmp_lt_u32_e32 vcc, 27, v0
	v_add_u32_e32 v31, 0x800, v31
	s_or_b64 s[24:25], vcc, s[24:25]
	v_add_u32_e32 v30, 16, v30
	s_andn2_b64 exec, exec, s[24:25]
	s_cbranch_execz .LBB122_12
.LBB122_91:                             ;   Parent Loop BB122_13 Depth=1
                                        ; =>  This Inner Loop Header: Depth=2
	ds_read_b32 v0, v30
	s_waitcnt lgkmcnt(0)
	v_cmp_ne_u32_e32 vcc, 0, v0
	s_and_saveexec_b64 s[26:27], vcc
	s_cbranch_execz .LBB122_90
; %bb.92:                               ;   in Loop: Header=BB122_91 Depth=2
	v_mov_b32_e32 v33, s73
	v_add_co_u32_e32 v32, vcc, s72, v26
	v_addc_co_u32_e32 v33, vcc, v33, v27, vcc
	v_ashrrev_i32_e32 v9, 31, v0
	v_add_co_u32_e32 v34, vcc, v20, v0
	v_addc_co_u32_e32 v35, vcc, v21, v9, vcc
	v_lshlrev_b64 v[34:35], 3, v[34:35]
	v_mov_b32_e32 v36, s95
	v_add_co_u32_e32 v34, vcc, s94, v34
	v_addc_co_u32_e32 v35, vcc, v36, v35, vcc
	global_store_dwordx2 v[34:35], v[32:33], off
	s_and_b64 exec, exec, s[64:65]
	s_cbranch_execz .LBB122_90
; %bb.93:                               ;   in Loop: Header=BB122_91 Depth=2
	v_add_co_u32_e32 v0, vcc, v28, v0
	v_addc_co_u32_e32 v9, vcc, v29, v9, vcc
	ds_read_b64 v[32:33], v31
	v_mul_lo_u32 v9, v9, s42
	v_mul_lo_u32 v36, v0, s43
	v_mad_u64_u32 v[34:35], s[74:75], v0, s42, 0
	v_add3_u32 v35, v35, v36, v9
	v_lshlrev_b64 v[34:35], 3, v[34:35]
	v_add_co_u32_e32 v34, vcc, v14, v34
	v_addc_co_u32_e32 v35, vcc, v1, v35, vcc
	s_waitcnt lgkmcnt(0)
	global_store_dwordx2 v[34:35], v[32:33], off
	s_branch .LBB122_90
.LBB122_94:
	s_endpgm
	.section	.rodata,"a",@progbits
	.p2align	6, 0x0
	.amdhsa_kernel _ZN9rocsparseL38bsrgemm_block_per_row_atomic_multipassILj256ELj32ELj8ElldEEv20rocsparse_direction_T3_S2_PKS2_S4_NS_24const_host_device_scalarIT4_EEPKT2_S4_PKS6_SA_S4_SC_S7_SA_S4_SC_SA_PS2_PS6_PS8_21rocsparse_index_base_SG_SG_SG_bbb
		.amdhsa_group_segment_fixed_size 18568
		.amdhsa_private_segment_fixed_size 0
		.amdhsa_kernarg_size 180
		.amdhsa_user_sgpr_count 6
		.amdhsa_user_sgpr_private_segment_buffer 1
		.amdhsa_user_sgpr_dispatch_ptr 0
		.amdhsa_user_sgpr_queue_ptr 0
		.amdhsa_user_sgpr_kernarg_segment_ptr 1
		.amdhsa_user_sgpr_dispatch_id 0
		.amdhsa_user_sgpr_flat_scratch_init 0
		.amdhsa_user_sgpr_kernarg_preload_length 0
		.amdhsa_user_sgpr_kernarg_preload_offset 0
		.amdhsa_user_sgpr_private_segment_size 0
		.amdhsa_uses_dynamic_stack 0
		.amdhsa_system_sgpr_private_segment_wavefront_offset 0
		.amdhsa_system_sgpr_workgroup_id_x 1
		.amdhsa_system_sgpr_workgroup_id_y 0
		.amdhsa_system_sgpr_workgroup_id_z 0
		.amdhsa_system_sgpr_workgroup_info 0
		.amdhsa_system_vgpr_workitem_id 0
		.amdhsa_next_free_vgpr 70
		.amdhsa_next_free_sgpr 96
		.amdhsa_accum_offset 72
		.amdhsa_reserve_vcc 1
		.amdhsa_reserve_flat_scratch 0
		.amdhsa_float_round_mode_32 0
		.amdhsa_float_round_mode_16_64 0
		.amdhsa_float_denorm_mode_32 3
		.amdhsa_float_denorm_mode_16_64 3
		.amdhsa_dx10_clamp 1
		.amdhsa_ieee_mode 1
		.amdhsa_fp16_overflow 0
		.amdhsa_tg_split 0
		.amdhsa_exception_fp_ieee_invalid_op 0
		.amdhsa_exception_fp_denorm_src 0
		.amdhsa_exception_fp_ieee_div_zero 0
		.amdhsa_exception_fp_ieee_overflow 0
		.amdhsa_exception_fp_ieee_underflow 0
		.amdhsa_exception_fp_ieee_inexact 0
		.amdhsa_exception_int_div_zero 0
	.end_amdhsa_kernel
	.section	.text._ZN9rocsparseL38bsrgemm_block_per_row_atomic_multipassILj256ELj32ELj8ElldEEv20rocsparse_direction_T3_S2_PKS2_S4_NS_24const_host_device_scalarIT4_EEPKT2_S4_PKS6_SA_S4_SC_S7_SA_S4_SC_SA_PS2_PS6_PS8_21rocsparse_index_base_SG_SG_SG_bbb,"axG",@progbits,_ZN9rocsparseL38bsrgemm_block_per_row_atomic_multipassILj256ELj32ELj8ElldEEv20rocsparse_direction_T3_S2_PKS2_S4_NS_24const_host_device_scalarIT4_EEPKT2_S4_PKS6_SA_S4_SC_S7_SA_S4_SC_SA_PS2_PS6_PS8_21rocsparse_index_base_SG_SG_SG_bbb,comdat
.Lfunc_end122:
	.size	_ZN9rocsparseL38bsrgemm_block_per_row_atomic_multipassILj256ELj32ELj8ElldEEv20rocsparse_direction_T3_S2_PKS2_S4_NS_24const_host_device_scalarIT4_EEPKT2_S4_PKS6_SA_S4_SC_S7_SA_S4_SC_SA_PS2_PS6_PS8_21rocsparse_index_base_SG_SG_SG_bbb, .Lfunc_end122-_ZN9rocsparseL38bsrgemm_block_per_row_atomic_multipassILj256ELj32ELj8ElldEEv20rocsparse_direction_T3_S2_PKS2_S4_NS_24const_host_device_scalarIT4_EEPKT2_S4_PKS6_SA_S4_SC_S7_SA_S4_SC_SA_PS2_PS6_PS8_21rocsparse_index_base_SG_SG_SG_bbb
                                        ; -- End function
	.section	.AMDGPU.csdata,"",@progbits
; Kernel info:
; codeLenInByte = 3612
; NumSgprs: 100
; NumVgprs: 70
; NumAgprs: 0
; TotalNumVgprs: 70
; ScratchSize: 0
; MemoryBound: 0
; FloatMode: 240
; IeeeMode: 1
; LDSByteSize: 18568 bytes/workgroup (compile time only)
; SGPRBlocks: 12
; VGPRBlocks: 8
; NumSGPRsForWavesPerEU: 100
; NumVGPRsForWavesPerEU: 70
; AccumOffset: 72
; Occupancy: 3
; WaveLimiterHint : 1
; COMPUTE_PGM_RSRC2:SCRATCH_EN: 0
; COMPUTE_PGM_RSRC2:USER_SGPR: 6
; COMPUTE_PGM_RSRC2:TRAP_HANDLER: 0
; COMPUTE_PGM_RSRC2:TGID_X_EN: 1
; COMPUTE_PGM_RSRC2:TGID_Y_EN: 0
; COMPUTE_PGM_RSRC2:TGID_Z_EN: 0
; COMPUTE_PGM_RSRC2:TIDIG_COMP_CNT: 0
; COMPUTE_PGM_RSRC3_GFX90A:ACCUM_OFFSET: 17
; COMPUTE_PGM_RSRC3_GFX90A:TG_SPLIT: 0
	.section	.text._ZN9rocsparseL31bsrgemm_block_per_row_multipassILj256ELj8ELj16ElldEEv20rocsparse_direction_T3_S2_PKS2_S4_NS_24const_host_device_scalarIT4_EEPKT2_S4_PKS6_SA_S4_SC_S7_SA_S4_SC_SA_PS2_PS6_PS8_21rocsparse_index_base_SG_SG_SG_bbb,"axG",@progbits,_ZN9rocsparseL31bsrgemm_block_per_row_multipassILj256ELj8ELj16ElldEEv20rocsparse_direction_T3_S2_PKS2_S4_NS_24const_host_device_scalarIT4_EEPKT2_S4_PKS6_SA_S4_SC_S7_SA_S4_SC_SA_PS2_PS6_PS8_21rocsparse_index_base_SG_SG_SG_bbb,comdat
	.globl	_ZN9rocsparseL31bsrgemm_block_per_row_multipassILj256ELj8ELj16ElldEEv20rocsparse_direction_T3_S2_PKS2_S4_NS_24const_host_device_scalarIT4_EEPKT2_S4_PKS6_SA_S4_SC_S7_SA_S4_SC_SA_PS2_PS6_PS8_21rocsparse_index_base_SG_SG_SG_bbb ; -- Begin function _ZN9rocsparseL31bsrgemm_block_per_row_multipassILj256ELj8ELj16ElldEEv20rocsparse_direction_T3_S2_PKS2_S4_NS_24const_host_device_scalarIT4_EEPKT2_S4_PKS6_SA_S4_SC_S7_SA_S4_SC_SA_PS2_PS6_PS8_21rocsparse_index_base_SG_SG_SG_bbb
	.p2align	8
	.type	_ZN9rocsparseL31bsrgemm_block_per_row_multipassILj256ELj8ELj16ElldEEv20rocsparse_direction_T3_S2_PKS2_S4_NS_24const_host_device_scalarIT4_EEPKT2_S4_PKS6_SA_S4_SC_S7_SA_S4_SC_SA_PS2_PS6_PS8_21rocsparse_index_base_SG_SG_SG_bbb,@function
_ZN9rocsparseL31bsrgemm_block_per_row_multipassILj256ELj8ELj16ElldEEv20rocsparse_direction_T3_S2_PKS2_S4_NS_24const_host_device_scalarIT4_EEPKT2_S4_PKS6_SA_S4_SC_S7_SA_S4_SC_SA_PS2_PS6_PS8_21rocsparse_index_base_SG_SG_SG_bbb: ; @_ZN9rocsparseL31bsrgemm_block_per_row_multipassILj256ELj8ELj16ElldEEv20rocsparse_direction_T3_S2_PKS2_S4_NS_24const_host_device_scalarIT4_EEPKT2_S4_PKS6_SA_S4_SC_S7_SA_S4_SC_SA_PS2_PS6_PS8_21rocsparse_index_base_SG_SG_SG_bbb
; %bb.0:
	s_load_dword s7, s[4:5], 0xb0
	s_load_dwordx4 s[28:31], s[4:5], 0xa0
	s_load_dwordx2 s[2:3], s[4:5], 0x28
	s_waitcnt lgkmcnt(0)
	s_and_b32 s0, 1, s7
	s_bitcmp1_b32 s7, 16
	s_cselect_b64 s[8:9], -1, 0
	s_cmp_eq_u32 s0, 1
	s_load_dwordx2 s[0:1], s[4:5], 0x60
	s_cselect_b64 s[10:11], -1, 0
	s_and_b64 s[12:13], s[10:11], exec
	s_cselect_b32 s13, s3, 0
	s_cselect_b32 s12, s2, 0
	s_xor_b64 s[14:15], s[10:11], -1
	s_or_b64 s[14:15], s[14:15], s[8:9]
	s_and_b64 vcc, exec, s[14:15]
	v_pk_mov_b32 v[2:3], s[12:13], s[12:13] op_sel:[0,1]
	s_cbranch_vccnz .LBB123_2
; %bb.1:
	v_pk_mov_b32 v[2:3], s[2:3], s[2:3] op_sel:[0,1]
	flat_load_dwordx2 v[2:3], v[2:3]
.LBB123_2:
	s_bitcmp1_b32 s7, 8
	s_load_dwordx2 s[2:3], s[4:5], 0x20
	s_cselect_b64 s[34:35], -1, 0
	s_and_b64 s[12:13], s[34:35], exec
	s_waitcnt lgkmcnt(0)
	s_cselect_b32 s13, s1, 0
	s_cselect_b32 s12, s0, 0
	s_xor_b64 s[14:15], s[34:35], -1
	s_or_b64 s[8:9], s[14:15], s[8:9]
	s_and_b64 vcc, exec, s[8:9]
	v_pk_mov_b32 v[4:5], s[12:13], s[12:13] op_sel:[0,1]
	s_cbranch_vccnz .LBB123_4
; %bb.3:
	v_pk_mov_b32 v[4:5], s[0:1], s[0:1] op_sel:[0,1]
	flat_load_dwordx2 v[4:5], v[4:5]
.LBB123_4:
	s_load_dwordx2 s[8:9], s[4:5], 0x30
	s_mov_b64 s[44:45], 0
	s_cmp_eq_u64 s[2:3], 0
	s_mov_b32 s7, 0
	s_cbranch_scc1 .LBB123_6
; %bb.5:
	s_load_dwordx2 s[0:1], s[4:5], 0x18
	s_waitcnt lgkmcnt(0)
	s_load_dwordx2 s[0:1], s[0:1], 0x0
	s_waitcnt lgkmcnt(0)
	s_lshl_b64 s[0:1], s[0:1], 3
	s_add_u32 s2, s2, s0
	s_addc_u32 s3, s3, s1
	s_lshl_b64 s[0:1], s[6:7], 3
	s_add_u32 s0, s2, s0
	s_addc_u32 s1, s3, s1
	s_load_dwordx2 s[6:7], s[0:1], 0x0
.LBB123_6:
	v_cndmask_b32_e64 v1, 0, 1, s[10:11]
	v_cmp_ne_u32_e64 s[0:1], 1, v1
	s_andn2_b64 vcc, exec, s[10:11]
	s_cbranch_vccz .LBB123_9
; %bb.7:
	s_and_b64 vcc, exec, s[0:1]
	s_mov_b64 s[2:3], 0
	s_cbranch_vccz .LBB123_10
.LBB123_8:
	s_load_dwordx4 s[36:39], s[4:5], 0x8
	s_waitcnt lgkmcnt(0)
	v_cmp_lt_i64_e64 s[0:1], s[36:37], 1
	s_and_b64 vcc, exec, s[0:1]
	s_cbranch_vccz .LBB123_11
	s_branch .LBB123_98
.LBB123_9:
	s_waitcnt lgkmcnt(0)
	s_lshl_b64 s[2:3], s[6:7], 3
	s_add_u32 s2, s8, s2
	s_addc_u32 s3, s9, s3
	s_load_dwordx2 s[2:3], s[2:3], 0x0
	s_waitcnt lgkmcnt(0)
	s_sub_u32 s44, s2, s28
	s_subb_u32 s45, s3, 0
	s_and_b64 vcc, exec, s[0:1]
	s_mov_b64 s[2:3], 0
	s_cbranch_vccnz .LBB123_8
.LBB123_10:
	s_waitcnt lgkmcnt(0)
	s_lshl_b64 s[0:1], s[6:7], 3
	s_add_u32 s0, s8, s0
	s_addc_u32 s1, s9, s1
	s_load_dwordx2 s[0:1], s[0:1], 0x8
	s_waitcnt lgkmcnt(0)
	s_sub_u32 s2, s0, s28
	s_subb_u32 s3, s1, 0
	s_load_dwordx4 s[36:39], s[4:5], 0x8
	s_waitcnt lgkmcnt(0)
	v_cmp_lt_i64_e64 s[0:1], s[36:37], 1
	s_and_b64 vcc, exec, s[0:1]
	s_cbranch_vccnz .LBB123_98
.LBB123_11:
	v_and_b32_e32 v6, 15, v0
	s_lshl_b64 s[8:9], s[6:7], 3
	v_mad_u64_u32 v[12:13], s[6:7], v6, s38, 0
	v_mov_b32_e32 v14, v13
	v_lshrrev_b32_e32 v18, 4, v0
	v_mad_u64_u32 v[14:15], s[6:7], v6, s39, v[14:15]
	v_mov_b32_e32 v13, v14
	v_mad_u64_u32 v[14:15], s[6:7], v18, s38, 0
	s_load_dwordx8 s[20:27], s[4:5], 0x68
	s_load_dwordx2 s[46:47], s[4:5], 0x98
	s_load_dwordx4 s[40:43], s[4:5], 0x88
	s_load_dwordx2 s[60:61], s[4:5], 0x58
	s_load_dwordx8 s[12:19], s[4:5], 0x38
	v_mov_b32_e32 v16, v15
	s_waitcnt lgkmcnt(0)
	s_add_u32 s0, s26, s8
	v_mov_b32_e32 v10, 0
	v_mad_u64_u32 v[16:17], s[6:7], v18, s39, v[16:17]
	s_addc_u32 s1, s27, s9
	v_mov_b32_e32 v7, v10
	v_mov_b32_e32 v15, v16
	v_lshlrev_b64 v[16:17], 3, v[12:13]
	s_load_dwordx2 s[0:1], s[0:1], 0x0
	v_pk_mov_b32 v[8:9], s[2:3], s[2:3] op_sel:[0,1]
	v_cmp_gt_i64_e64 s[2:3], s[38:39], v[6:7]
	v_mov_b32_e32 v19, v10
	v_mov_b32_e32 v1, s25
	v_add_co_u32_e64 v7, s[6:7], s24, v16
	v_addc_co_u32_e64 v11, s[6:7], v1, v17, s[6:7]
	v_lshlrev_b64 v[20:21], 3, v[18:19]
	s_load_dword s26, s[4:5], 0x0
	v_cmp_gt_u64_e64 s[4:5], s[38:39], v[18:19]
	v_add_co_u32_e64 v19, s[6:7], v7, v20
	v_addc_co_u32_e64 v11, s[6:7], v11, v21, s[6:7]
	v_lshlrev_b64 v[14:15], 3, v[14:15]
	v_add_co_u32_e64 v7, s[6:7], s24, v14
	s_waitcnt lgkmcnt(0)
	s_sub_u32 s62, s0, s30
	v_addc_co_u32_e64 v1, s[6:7], v1, v15, s[6:7]
	v_lshlrev_b32_e32 v12, 3, v6
	s_subb_u32 s63, s1, 0
	v_add_co_u32_e64 v22, s[6:7], v7, v12
	s_cmp_eq_u32 s26, 0
	v_addc_co_u32_e64 v1, s[6:7], 0, v1, s[6:7]
	s_cselect_b64 s[6:7], -1, 0
	s_cmp_lg_u32 s26, 0
	s_mul_i32 s26, s38, s39
	s_mul_hi_u32 s33, s38, s38
	s_cselect_b64 s[24:25], -1, 0
	s_add_i32 s33, s33, s26
	s_add_i32 s49, s33, s26
	s_add_u32 s20, s20, s8
	s_addc_u32 s21, s21, s9
	v_mov_b32_e32 v23, s43
	v_add_co_u32_e64 v16, s[8:9], s42, v16
	v_addc_co_u32_e64 v24, s[8:9], v23, v17, s[8:9]
	v_add_co_u32_e64 v17, s[8:9], v16, v20
	v_addc_co_u32_e64 v46, s[8:9], v24, v21, s[8:9]
	v_cmp_lt_i64_e32 vcc, s[44:45], v[8:9]
	v_add_co_u32_e64 v14, s[8:9], s42, v14
	v_addc_co_u32_e64 v15, s[8:9], v23, v15, s[8:9]
	s_and_b64 s[42:43], s[10:11], vcc
	s_and_b64 s[52:53], s[2:3], s[4:5]
	v_add_co_u32_e64 v47, s[8:9], v14, v12
	s_add_u32 s33, s16, 8
	s_mul_i32 s48, s38, s38
	v_addc_co_u32_e64 v48, s[8:9], 0, v15, s[8:9]
	s_addc_u32 s78, s17, 0
	s_add_u32 s79, s40, -8
	s_mul_i32 s8, s44, s49
	s_mul_hi_u32 s9, s44, s48
	s_addc_u32 s80, s41, -1
	s_add_i32 s8, s9, s8
	s_mul_i32 s9, s45, s48
	s_add_i32 s9, s8, s9
	s_mul_i32 s8, s44, s48
	s_lshl_b64 s[54:55], s[38:39], 3
	s_lshl_b64 s[56:57], s[48:49], 3
	;; [unrolled: 1-line block ×3, first 2 shown]
	v_and_b32_e32 v7, 0xf0, v0
	v_cndmask_b32_e64 v15, v11, v1, s[6:7]
	v_or_b32_e32 v11, 0x400, v0
	s_movk_i32 s2, 0x700
	s_add_u32 s8, s14, s8
	v_or_b32_e32 v14, v7, v6
	v_cmp_gt_u32_e64 s[2:3], s2, v11
	v_lshlrev_b32_e32 v11, 3, v18
	s_addc_u32 s9, s15, s9
	v_lshlrev_b32_e32 v50, 3, v14
	v_cndmask_b32_e64 v14, v19, v22, s[6:7]
	v_mov_b32_e32 v19, s9
	v_add_co_u32_e32 v18, vcc, s8, v11
	s_mul_i32 s8, s44, s39
	s_mul_hi_u32 s9, s44, s38
	s_add_i32 s8, s9, s8
	s_mul_i32 s9, s45, s38
	s_add_i32 s9, s8, s9
	s_mul_i32 s8, s44, s38
	v_addc_co_u32_e32 v19, vcc, 0, v19, vcc
	s_lshl_b64 s[8:9], s[8:9], 3
	v_mov_b32_e32 v20, s9
	v_add_co_u32_e32 v11, vcc, s8, v11
	v_addc_co_u32_e32 v20, vcc, 0, v20, vcc
	s_mov_b32 s27, 0
	v_mul_lo_u32 v22, s38, v20
	v_pk_mov_b32 v[20:21], s[14:15], s[14:15] op_sel:[0,1]
	s_mov_b32 s50, s31
	s_mov_b32 s51, s27
	v_mad_u64_u32 v[20:21], s[8:9], s38, v11, v[20:21]
	s_lshl_b64 s[8:9], s[50:51], 3
	s_sub_u32 s51, s22, s8
	v_mul_lo_u32 v23, s39, v11
	s_subb_u32 s81, s23, s9
	v_cndmask_b32_e64 v1, v46, v48, s[6:7]
	v_cndmask_b32_e64 v16, v17, v47, s[6:7]
	s_movk_i32 s4, 0x200
	s_movk_i32 s6, 0x100
	v_add3_u32 v21, v23, v21, v22
	v_mov_b32_e32 v11, s61
	v_add_co_u32_e32 v22, vcc, s60, v12
	s_sub_u32 s31, 1, s31
	s_mov_b32 s26, s27
	v_cmp_gt_u32_e64 s[0:1], 8, v0
	v_mov_b32_e32 v13, v10
	v_lshlrev_b32_e32 v49, 3, v0
	v_cmp_gt_u32_e64 s[4:5], s4, v0
	v_cmp_gt_u32_e64 s[6:7], s6, v0
	s_mov_b64 s[58:59], 8
	v_addc_co_u32_e32 v23, vcc, 0, v11, vcc
	s_subb_u32 s82, 0, 0
	s_mov_b64 s[22:23], 0
	v_pk_mov_b32 v[28:29], s[62:63], s[62:63] op_sel:[0,1]
	v_pk_mov_b32 v[24:25], s[26:27], s[26:27] op_sel:[0,1]
	v_mov_b32_e32 v51, s55
	v_mov_b32_e32 v52, s57
	v_pk_mov_b32 v[26:27], s[60:61], s[60:61] op_sel:[0,1]
	v_mov_b32_e32 v53, 1
	s_branch .LBB123_14
.LBB123_12:                             ;   in Loop: Header=BB123_14 Depth=1
	s_or_b64 exec, exec, s[8:9]
.LBB123_13:                             ;   in Loop: Header=BB123_14 Depth=1
	s_waitcnt lgkmcnt(0)
	v_pk_mov_b32 v[28:29], s[36:37], s[36:37] op_sel:[0,1]
	v_cmp_lt_i64_e32 vcc, s[14:15], v[28:29]
	s_and_b64 vcc, vcc, exec
	s_cselect_b32 s22, s14, s36
	s_cselect_b32 s23, s15, s37
	s_add_u32 s58, s22, 8
	s_addc_u32 s59, s23, 0
	v_pk_mov_b32 v[28:29], v[30:31], v[30:31] op_sel:[0,1]
	s_barrier
	s_barrier
	s_cbranch_vccz .LBB123_98
.LBB123_14:                             ; =>This Loop Header: Depth=1
                                        ;     Child Loop BB123_24 Depth 2
                                        ;       Child Loop BB123_29 Depth 3
                                        ;         Child Loop BB123_41 Depth 4
                                        ;         Child Loop BB123_37 Depth 4
                                        ;     Child Loop BB123_53 Depth 2
	s_and_saveexec_b64 s[8:9], s[0:1]
	s_cbranch_execz .LBB123_16
; %bb.15:                               ;   in Loop: Header=BB123_14 Depth=1
	ds_write_b8 v0, v10 offset:16384
.LBB123_16:                             ;   in Loop: Header=BB123_14 Depth=1
	s_or_b64 exec, exec, s[8:9]
	ds_write2st64_b64 v49, v[24:25], v[24:25] offset1:4
	ds_write2st64_b64 v49, v[24:25], v[24:25] offset0:8 offset1:12
	ds_write_b64 v49, v[24:25] offset:8192
	s_and_saveexec_b64 s[8:9], s[2:3]
	s_xor_b64 s[8:9], exec, s[8:9]
	s_cbranch_execz .LBB123_22
; %bb.17:                               ;   in Loop: Header=BB123_14 Depth=1
	v_mov_b32_e32 v11, v10
	ds_write_b64 v49, v[10:11] offset:10240
	s_and_saveexec_b64 s[10:11], s[4:5]
	s_xor_b64 s[10:11], exec, s[10:11]
	s_cbranch_execz .LBB123_21
; %bb.18:                               ;   in Loop: Header=BB123_14 Depth=1
	ds_write_b64 v49, v[10:11] offset:12288
	s_and_saveexec_b64 s[14:15], s[6:7]
	s_xor_b64 s[14:15], exec, s[14:15]
	s_cbranch_execz .LBB123_20
; %bb.19:                               ;   in Loop: Header=BB123_14 Depth=1
	v_mov_b32_e32 v11, v10
	ds_write_b64 v49, v[10:11] offset:14336
.LBB123_20:                             ;   in Loop: Header=BB123_14 Depth=1
	s_or_b64 exec, exec, s[14:15]
.LBB123_21:                             ;   in Loop: Header=BB123_14 Depth=1
	s_or_b64 exec, exec, s[10:11]
.LBB123_22:                             ;   in Loop: Header=BB123_14 Depth=1
	s_or_b64 exec, exec, s[8:9]
	s_andn2_b64 vcc, exec, s[42:43]
	s_mov_b64 s[14:15], s[36:37]
	s_waitcnt lgkmcnt(0)
	s_barrier
	s_cbranch_vccnz .LBB123_50
; %bb.23:                               ;   in Loop: Header=BB123_14 Depth=1
	s_cmp_lg_u64 s[22:23], 0
	s_cselect_b64 s[60:61], -1, 0
	v_pk_mov_b32 v[30:31], v[20:21], v[20:21] op_sel:[0,1]
	v_pk_mov_b32 v[32:33], v[18:19], v[18:19] op_sel:[0,1]
	s_mov_b64 s[66:67], s[36:37]
	s_mov_b64 s[62:63], s[44:45]
.LBB123_24:                             ;   Parent Loop BB123_14 Depth=1
                                        ; =>  This Loop Header: Depth=2
                                        ;       Child Loop BB123_29 Depth 3
                                        ;         Child Loop BB123_41 Depth 4
                                        ;         Child Loop BB123_37 Depth 4
	s_lshl_b64 s[64:65], s[62:63], 3
	s_add_u32 s8, s12, s64
	s_addc_u32 s9, s13, s65
	s_load_dwordx2 s[8:9], s[8:9], 0x0
	s_waitcnt lgkmcnt(0)
	s_sub_u32 s8, s8, s28
	s_subb_u32 s9, s9, 0
	s_and_b64 vcc, exec, s[60:61]
	s_cbranch_vccz .LBB123_49
; %bb.25:                               ;   in Loop: Header=BB123_24 Depth=2
	s_add_u32 s10, s46, s64
	s_addc_u32 s11, s47, s65
	global_load_dwordx2 v[34:35], v10, s[10:11]
	s_waitcnt vmcnt(0)
	v_readfirstlane_b32 s68, v34
	v_readfirstlane_b32 s69, v35
	s_cbranch_execnz .LBB123_27
.LBB123_26:                             ;   in Loop: Header=BB123_24 Depth=2
	s_lshl_b64 s[10:11], s[8:9], 3
	s_add_u32 s10, s16, s10
	s_addc_u32 s11, s17, s11
	s_load_dwordx2 s[10:11], s[10:11], 0x0
	s_waitcnt lgkmcnt(0)
	s_sub_u32 s68, s10, s29
	s_subb_u32 s69, s11, 0
.LBB123_27:                             ;   in Loop: Header=BB123_24 Depth=2
	s_lshl_b64 s[8:9], s[8:9], 3
	s_add_u32 s8, s33, s8
	s_addc_u32 s9, s78, s9
	s_load_dwordx2 s[8:9], s[8:9], 0x0
	s_waitcnt lgkmcnt(0)
	s_sub_u32 s8, s8, s29
	s_subb_u32 s9, s9, 0
	v_pk_mov_b32 v[34:35], s[8:9], s[8:9] op_sel:[0,1]
	v_cmp_ge_i64_e32 vcc, s[68:69], v[34:35]
	s_cbranch_vccnz .LBB123_46
; %bb.28:                               ;   in Loop: Header=BB123_24 Depth=2
	s_mul_i32 s10, s55, s68
	s_mul_i32 s11, s54, s69
	v_mov_b32_e32 v11, s68
	s_add_i32 s14, s11, s10
	v_mad_u64_u32 v[34:35], s[10:11], s54, v11, v[12:13]
	v_add_u32_e32 v35, s14, v35
	v_mul_lo_u32 v36, s38, v35
	v_mul_lo_u32 v37, s39, v34
	v_mad_u64_u32 v[34:35], s[10:11], s38, v34, v[26:27]
	s_mul_i32 s10, s57, s68
	s_mul_i32 s11, s56, s69
	v_add3_u32 v35, v37, v35, v36
	s_add_i32 s14, s11, s10
	v_mad_u64_u32 v[36:37], s[10:11], s56, v11, v[22:23]
	v_add_u32_e32 v37, s14, v37
	v_pk_mov_b32 v[38:39], s[8:9], s[8:9] op_sel:[0,1]
	s_mov_b64 s[70:71], s[68:69]
.LBB123_29:                             ;   Parent Loop BB123_14 Depth=1
                                        ;     Parent Loop BB123_24 Depth=2
                                        ; =>    This Loop Header: Depth=3
                                        ;         Child Loop BB123_41 Depth 4
                                        ;         Child Loop BB123_37 Depth 4
	s_lshl_b64 s[8:9], s[68:69], 3
	s_add_u32 s8, s18, s8
	s_addc_u32 s9, s19, s9
	s_load_dwordx2 s[8:9], s[8:9], 0x0
	v_pk_mov_b32 v[40:41], s[22:23], s[22:23] op_sel:[0,1]
	v_pk_mov_b32 v[42:43], s[58:59], s[58:59] op_sel:[0,1]
	s_mov_b64 s[76:77], -1
                                        ; implicit-def: $sgpr14_sgpr15
                                        ; implicit-def: $sgpr74_sgpr75
	s_waitcnt lgkmcnt(0)
	s_sub_u32 s72, s8, s29
	s_subb_u32 s73, s9, 0
	v_cmp_ge_i64_e32 vcc, s[72:73], v[40:41]
	v_cmp_lt_i64_e64 s[10:11], s[72:73], v[42:43]
	s_and_b64 s[10:11], vcc, s[10:11]
	v_cmp_ge_i64_e64 s[8:9], s[72:73], v[42:43]
	s_andn2_b64 vcc, exec, s[10:11]
                                        ; implicit-def: $sgpr10_sgpr11
	s_cbranch_vccz .LBB123_33
; %bb.30:                               ;   in Loop: Header=BB123_29 Depth=3
	s_mov_b64 s[74:75], -1
	s_andn2_b64 vcc, exec, s[8:9]
	s_mov_b64 s[10:11], s[70:71]
	s_mov_b64 s[14:15], s[66:67]
	s_cbranch_vccnz .LBB123_32
; %bb.31:                               ;   in Loop: Header=BB123_29 Depth=3
	v_pk_mov_b32 v[40:41], s[66:67], s[66:67] op_sel:[0,1]
	v_cmp_lt_i64_e32 vcc, s[72:73], v[40:41]
	s_and_b64 s[8:9], vcc, exec
	s_cselect_b32 s15, s73, s67
	s_cselect_b32 s14, s72, s66
	s_mov_b64 s[74:75], 0
	s_mov_b64 s[10:11], s[68:69]
.LBB123_32:                             ;   in Loop: Header=BB123_29 Depth=3
	s_mov_b64 s[76:77], 0
.LBB123_33:                             ;   in Loop: Header=BB123_29 Depth=3
	s_andn2_b64 vcc, exec, s[76:77]
	s_cbranch_vccnz .LBB123_44
; %bb.34:                               ;   in Loop: Header=BB123_29 Depth=3
	s_sub_i32 s14, s72, s22
	v_mov_b32_e32 v11, s14
	ds_write_b8 v11, v53 offset:16384
	s_and_saveexec_b64 s[8:9], s[52:53]
	s_cbranch_execz .LBB123_43
; %bb.35:                               ;   in Loop: Header=BB123_29 Depth=3
	s_andn2_b64 vcc, exec, s[24:25]
	s_cbranch_vccnz .LBB123_39
; %bb.36:                               ;   in Loop: Header=BB123_29 Depth=3
	v_pk_mov_b32 v[40:41], 0, 0
	v_pk_mov_b32 v[42:43], v[32:33], v[32:33] op_sel:[0,1]
	s_mov_b64 s[10:11], s[38:39]
	v_pk_mov_b32 v[44:45], v[34:35], v[34:35] op_sel:[0,1]
.LBB123_37:                             ;   Parent Loop BB123_14 Depth=1
                                        ;     Parent Loop BB123_24 Depth=2
                                        ;       Parent Loop BB123_29 Depth=3
                                        ; =>      This Inner Loop Header: Depth=4
	global_load_dwordx2 v[54:55], v[42:43], off
	global_load_dwordx2 v[56:57], v[44:45], off
	v_add_co_u32_e32 v44, vcc, 8, v44
	v_addc_co_u32_e32 v45, vcc, 0, v45, vcc
	s_add_u32 s10, s10, -1
	v_add_co_u32_e32 v42, vcc, s54, v42
	s_addc_u32 s11, s11, -1
	v_addc_co_u32_e32 v43, vcc, v43, v51, vcc
	s_cmp_lg_u64 s[10:11], 0
	s_waitcnt vmcnt(0)
	v_fmac_f64_e32 v[40:41], v[54:55], v[56:57]
	s_cbranch_scc1 .LBB123_37
; %bb.38:                               ;   in Loop: Header=BB123_29 Depth=3
	s_branch .LBB123_42
.LBB123_39:                             ;   in Loop: Header=BB123_29 Depth=3
                                        ; implicit-def: $vgpr40_vgpr41
	s_cbranch_execz .LBB123_42
; %bb.40:                               ;   in Loop: Header=BB123_29 Depth=3
	v_pk_mov_b32 v[40:41], 0, 0
	v_pk_mov_b32 v[42:43], v[36:37], v[36:37] op_sel:[0,1]
	s_mov_b64 s[10:11], s[38:39]
	v_pk_mov_b32 v[44:45], v[30:31], v[30:31] op_sel:[0,1]
.LBB123_41:                             ;   Parent Loop BB123_14 Depth=1
                                        ;     Parent Loop BB123_24 Depth=2
                                        ;       Parent Loop BB123_29 Depth=3
                                        ; =>      This Inner Loop Header: Depth=4
	global_load_dwordx2 v[54:55], v[44:45], off
	global_load_dwordx2 v[56:57], v[42:43], off
	v_add_co_u32_e32 v44, vcc, 8, v44
	v_addc_co_u32_e32 v45, vcc, 0, v45, vcc
	s_add_u32 s10, s10, -1
	v_add_co_u32_e32 v42, vcc, s54, v42
	s_addc_u32 s11, s11, -1
	v_addc_co_u32_e32 v43, vcc, v43, v51, vcc
	s_cmp_eq_u64 s[10:11], 0
	s_waitcnt vmcnt(0)
	v_fmac_f64_e32 v[40:41], v[54:55], v[56:57]
	s_cbranch_scc0 .LBB123_41
.LBB123_42:                             ;   in Loop: Header=BB123_29 Depth=3
	s_lshl_b32 s10, s14, 8
	v_or3_b32 v11, s10, v7, v6
	v_lshlrev_b32_e32 v11, 3, v11
	ds_read_b64 v[42:43], v11
	s_waitcnt vmcnt(0) lgkmcnt(0)
	v_fmac_f64_e32 v[42:43], v[2:3], v[40:41]
	ds_write_b64 v11, v[42:43]
.LBB123_43:                             ;   in Loop: Header=BB123_29 Depth=3
	s_or_b64 exec, exec, s[8:9]
	s_mov_b64 s[74:75], -1
	s_mov_b64 s[10:11], s[70:71]
	s_mov_b64 s[14:15], s[66:67]
	s_waitcnt lgkmcnt(0)
	s_barrier
.LBB123_44:                             ;   in Loop: Header=BB123_29 Depth=3
	s_add_u32 s68, s68, 1
	s_addc_u32 s69, s69, 0
	v_cmp_lt_i64_e32 vcc, s[68:69], v[38:39]
	s_and_b64 s[8:9], s[74:75], vcc
	v_add_co_u32_e32 v34, vcc, s56, v34
	v_addc_co_u32_e32 v35, vcc, v35, v52, vcc
	v_add_co_u32_e32 v36, vcc, s56, v36
	v_addc_co_u32_e32 v37, vcc, v37, v52, vcc
	s_and_b64 vcc, exec, s[8:9]
	s_cbranch_vccz .LBB123_47
; %bb.45:                               ;   in Loop: Header=BB123_29 Depth=3
	s_mov_b64 s[70:71], s[10:11]
	s_mov_b64 s[66:67], s[14:15]
	s_branch .LBB123_29
.LBB123_46:                             ;   in Loop: Header=BB123_24 Depth=2
	s_mov_b64 s[10:11], s[68:69]
	s_mov_b64 s[14:15], s[66:67]
.LBB123_47:                             ;   in Loop: Header=BB123_24 Depth=2
	s_add_u32 s8, s46, s64
	v_add_co_u32_e32 v32, vcc, s56, v32
	s_addc_u32 s9, s47, s65
	v_addc_co_u32_e32 v33, vcc, v33, v52, vcc
	s_add_u32 s62, s62, 1
	v_add_co_u32_e32 v30, vcc, s56, v30
	s_addc_u32 s63, s63, 0
	v_addc_co_u32_e32 v31, vcc, v31, v52, vcc
	v_cmp_lt_i64_e32 vcc, s[62:63], v[8:9]
	v_pk_mov_b32 v[34:35], s[10:11], s[10:11] op_sel:[0,1]
	global_store_dwordx2 v10, v[34:35], s[8:9]
	s_cbranch_vccz .LBB123_50
; %bb.48:                               ;   in Loop: Header=BB123_24 Depth=2
	s_mov_b64 s[66:67], s[14:15]
	s_branch .LBB123_24
.LBB123_49:                             ;   in Loop: Header=BB123_24 Depth=2
                                        ; implicit-def: $sgpr68_sgpr69
	s_branch .LBB123_26
.LBB123_50:                             ;   in Loop: Header=BB123_14 Depth=1
	s_andn2_b64 vcc, exec, s[34:35]
	s_cbranch_vccnz .LBB123_62
; %bb.51:                               ;   in Loop: Header=BB123_14 Depth=1
	s_load_dwordx4 s[8:11], s[20:21], 0x0
	s_waitcnt lgkmcnt(0)
	v_pk_mov_b32 v[30:31], s[10:11], s[10:11] op_sel:[0,1]
	v_cmp_ge_i64_e32 vcc, s[8:9], v[30:31]
	s_cbranch_vccnz .LBB123_62
; %bb.52:                               ;   in Loop: Header=BB123_14 Depth=1
	s_sub_u32 s60, s10, s50
	s_subb_u32 s61, s11, 0
	s_sub_u32 s26, s8, s50
	s_subb_u32 s62, s9, 0
	s_lshl_b64 s[10:11], s[8:9], 3
	s_add_u32 s10, s51, s10
	s_mul_i32 s63, s57, s26
	s_mul_i32 s62, s56, s62
	s_addc_u32 s11, s81, s11
	s_add_i32 s64, s62, s63
	v_mov_b32_e32 v11, s26
	v_mad_u64_u32 v[30:31], s[62:63], s56, v11, v[14:15]
	s_add_u32 s8, s31, s8
	v_add_u32_e32 v31, s64, v31
	s_addc_u32 s9, s82, s9
	v_pk_mov_b32 v[32:33], s[60:61], s[60:61] op_sel:[0,1]
	v_pk_mov_b32 v[34:35], s[22:23], s[22:23] op_sel:[0,1]
	;; [unrolled: 1-line block ×3, first 2 shown]
.LBB123_53:                             ;   Parent Loop BB123_14 Depth=1
                                        ; =>  This Inner Loop Header: Depth=2
	s_load_dwordx2 s[58:59], s[10:11], 0x0
	s_mov_b64 s[64:65], -1
	s_waitcnt lgkmcnt(0)
	s_sub_u32 s62, s58, s50
	s_subb_u32 s63, s59, 0
	v_cmp_ge_i64_e32 vcc, s[62:63], v[34:35]
	v_cmp_lt_i64_e64 s[60:61], s[62:63], v[36:37]
	s_and_b64 s[58:59], vcc, s[60:61]
	s_andn2_b64 vcc, exec, s[58:59]
                                        ; implicit-def: $sgpr58_sgpr59
	s_cbranch_vccz .LBB123_55
; %bb.54:                               ;   in Loop: Header=BB123_53 Depth=2
	v_pk_mov_b32 v[38:39], s[14:15], s[14:15] op_sel:[0,1]
	v_cmp_lt_i64_e32 vcc, s[62:63], v[38:39]
	s_and_b64 s[58:59], vcc, exec
	s_cselect_b32 s26, s62, s14
	s_cselect_b32 s63, s63, s15
	s_and_b64 s[58:59], s[60:61], exec
	s_cselect_b32 s59, s15, s63
	s_cselect_b32 s58, s14, s26
	s_mov_b64 s[64:65], 0
.LBB123_55:                             ;   in Loop: Header=BB123_53 Depth=2
	s_andn2_b64 vcc, exec, s[64:65]
	s_cbranch_vccnz .LBB123_59
; %bb.56:                               ;   in Loop: Header=BB123_53 Depth=2
	s_sub_i32 s26, s62, s22
	v_mov_b32_e32 v11, s26
	ds_write_b8 v11, v53 offset:16384
	s_and_saveexec_b64 s[58:59], s[52:53]
	s_cbranch_execz .LBB123_58
; %bb.57:                               ;   in Loop: Header=BB123_53 Depth=2
	global_load_dwordx2 v[38:39], v[30:31], off
	s_lshl_b32 s26, s26, 8
	v_or3_b32 v11, s26, v7, v6
	v_lshlrev_b32_e32 v11, 3, v11
	ds_read_b64 v[40:41], v11
	s_waitcnt vmcnt(0) lgkmcnt(0)
	v_fmac_f64_e32 v[40:41], v[4:5], v[38:39]
	ds_write_b64 v11, v[40:41]
.LBB123_58:                             ;   in Loop: Header=BB123_53 Depth=2
	s_or_b64 exec, exec, s[58:59]
	s_mov_b64 s[60:61], -1
	s_mov_b64 s[58:59], s[14:15]
	s_waitcnt lgkmcnt(0)
	s_barrier
.LBB123_59:                             ;   in Loop: Header=BB123_53 Depth=2
	v_cmp_lt_i64_e32 vcc, s[8:9], v[32:33]
	s_and_b64 s[14:15], s[60:61], vcc
	s_add_u32 s10, s10, 8
	s_addc_u32 s11, s11, 0
	v_add_co_u32_e32 v30, vcc, s56, v30
	v_addc_co_u32_e32 v31, vcc, v31, v52, vcc
	s_add_u32 s8, s8, 1
	s_addc_u32 s9, s9, 0
	s_and_b64 vcc, exec, s[14:15]
	s_cbranch_vccz .LBB123_61
; %bb.60:                               ;   in Loop: Header=BB123_53 Depth=2
	s_mov_b64 s[14:15], s[58:59]
	s_branch .LBB123_53
.LBB123_61:                             ;   in Loop: Header=BB123_14 Depth=1
	s_mov_b64 s[14:15], s[58:59]
.LBB123_62:                             ;   in Loop: Header=BB123_14 Depth=1
	s_barrier
	ds_read_u8 v11, v10 offset:16384
	s_add_u32 s10, s22, s30
	s_addc_u32 s11, s23, 0
	s_mov_b32 s22, 0
	s_waitcnt lgkmcnt(0)
	v_cmp_eq_u32_e32 vcc, 0, v11
	s_cbranch_vccnz .LBB123_66
; %bb.63:                               ;   in Loop: Header=BB123_14 Depth=1
	v_lshlrev_b64 v[30:31], 3, v[28:29]
	v_mov_b32_e32 v11, s41
	v_add_co_u32_e32 v30, vcc, s40, v30
	v_addc_co_u32_e32 v31, vcc, v11, v31, vcc
	v_pk_mov_b32 v[32:33], s[10:11], s[10:11] op_sel:[0,1]
	global_store_dwordx2 v[30:31], v[32:33], off
	s_and_saveexec_b64 s[8:9], s[52:53]
	s_cbranch_execz .LBB123_65
; %bb.64:                               ;   in Loop: Header=BB123_14 Depth=1
	v_mul_lo_u32 v11, v29, s48
	v_mul_lo_u32 v32, v28, s49
	v_mad_u64_u32 v[30:31], s[22:23], v28, s48, 0
	v_add3_u32 v31, v31, v32, v11
	ds_read_b64 v[32:33], v49
	v_lshlrev_b64 v[30:31], 3, v[30:31]
	v_add_co_u32_e32 v30, vcc, v16, v30
	v_addc_co_u32_e32 v31, vcc, v1, v31, vcc
	s_waitcnt lgkmcnt(0)
	global_store_dwordx2 v[30:31], v[32:33], off
.LBB123_65:                             ;   in Loop: Header=BB123_14 Depth=1
	s_or_b64 exec, exec, s[8:9]
	s_mov_b32 s22, 1
.LBB123_66:                             ;   in Loop: Header=BB123_14 Depth=1
	ds_read_u8 v11, v10 offset:16385
	v_add_co_u32_e64 v32, s[8:9], -1, v28
	s_waitcnt lgkmcnt(0)
	v_cmp_eq_u32_e32 vcc, 0, v11
	v_addc_co_u32_e64 v11, s[8:9], -1, v29, s[8:9]
	s_cbranch_vccz .LBB123_72
; %bb.67:                               ;   in Loop: Header=BB123_14 Depth=1
	ds_read_u8 v30, v10 offset:16386
	s_waitcnt lgkmcnt(0)
	v_cmp_eq_u32_e32 vcc, 0, v30
	s_cbranch_vccz .LBB123_75
.LBB123_68:                             ;   in Loop: Header=BB123_14 Depth=1
	ds_read_u8 v30, v10 offset:16387
	s_waitcnt lgkmcnt(0)
	v_cmp_eq_u32_e32 vcc, 0, v30
	s_cbranch_vccz .LBB123_78
.LBB123_69:                             ;   in Loop: Header=BB123_14 Depth=1
	ds_read_u8 v30, v10 offset:16388
	s_waitcnt lgkmcnt(0)
	v_cmp_eq_u32_e32 vcc, 0, v30
	s_cbranch_vccz .LBB123_81
.LBB123_70:                             ;   in Loop: Header=BB123_14 Depth=1
	ds_read_u8 v30, v10 offset:16389
	s_waitcnt lgkmcnt(0)
	v_cmp_eq_u32_e32 vcc, 0, v30
	s_cbranch_vccz .LBB123_84
.LBB123_71:                             ;   in Loop: Header=BB123_14 Depth=1
	ds_read_u8 v30, v10 offset:16390
	s_waitcnt lgkmcnt(0)
	v_cmp_eq_u32_e32 vcc, 0, v30
	s_cbranch_vccz .LBB123_87
	s_branch .LBB123_90
.LBB123_72:                             ;   in Loop: Header=BB123_14 Depth=1
	s_add_i32 s22, s22, 1
	v_add_co_u32_e32 v30, vcc, s22, v28
	v_addc_co_u32_e32 v31, vcc, 0, v29, vcc
	s_add_u32 s8, s10, 1
	v_lshlrev_b64 v[30:31], 3, v[30:31]
	s_addc_u32 s9, s11, 0
	v_mov_b32_e32 v33, s80
	v_add_co_u32_e32 v30, vcc, s79, v30
	v_addc_co_u32_e32 v31, vcc, v33, v31, vcc
	v_pk_mov_b32 v[34:35], s[8:9], s[8:9] op_sel:[0,1]
	global_store_dwordx2 v[30:31], v[34:35], off
	s_and_saveexec_b64 s[8:9], s[52:53]
	s_cbranch_execz .LBB123_74
; %bb.73:                               ;   in Loop: Header=BB123_14 Depth=1
	v_mov_b32_e32 v30, s27
	v_add_co_u32_e32 v31, vcc, s22, v32
	v_addc_co_u32_e32 v30, vcc, v11, v30, vcc
	v_mul_lo_u32 v33, v30, s48
	v_mul_lo_u32 v34, v31, s49
	v_mad_u64_u32 v[30:31], s[58:59], v31, s48, 0
	v_add3_u32 v31, v31, v34, v33
	ds_read_b64 v[34:35], v50 offset:2048
	v_lshlrev_b64 v[30:31], 3, v[30:31]
	v_add_co_u32_e32 v30, vcc, v16, v30
	v_addc_co_u32_e32 v31, vcc, v1, v31, vcc
	s_waitcnt lgkmcnt(0)
	global_store_dwordx2 v[30:31], v[34:35], off
.LBB123_74:                             ;   in Loop: Header=BB123_14 Depth=1
	s_or_b64 exec, exec, s[8:9]
	ds_read_u8 v30, v10 offset:16386
	s_waitcnt lgkmcnt(0)
	v_cmp_eq_u32_e32 vcc, 0, v30
	s_cbranch_vccnz .LBB123_68
.LBB123_75:                             ;   in Loop: Header=BB123_14 Depth=1
	s_add_i32 s22, s22, 1
	v_add_co_u32_e32 v30, vcc, s22, v28
	v_addc_co_u32_e32 v31, vcc, 0, v29, vcc
	s_add_u32 s8, s10, 2
	v_lshlrev_b64 v[30:31], 3, v[30:31]
	s_addc_u32 s9, s11, 0
	v_mov_b32_e32 v33, s80
	v_add_co_u32_e32 v30, vcc, s79, v30
	v_addc_co_u32_e32 v31, vcc, v33, v31, vcc
	v_pk_mov_b32 v[34:35], s[8:9], s[8:9] op_sel:[0,1]
	global_store_dwordx2 v[30:31], v[34:35], off
	s_and_saveexec_b64 s[8:9], s[52:53]
	s_cbranch_execz .LBB123_77
; %bb.76:                               ;   in Loop: Header=BB123_14 Depth=1
	v_mov_b32_e32 v30, s27
	v_add_co_u32_e32 v31, vcc, s22, v32
	v_addc_co_u32_e32 v30, vcc, v11, v30, vcc
	v_mul_lo_u32 v33, v30, s48
	v_mul_lo_u32 v34, v31, s49
	v_mad_u64_u32 v[30:31], s[58:59], v31, s48, 0
	v_add3_u32 v31, v31, v34, v33
	ds_read_b64 v[34:35], v50 offset:4096
	v_lshlrev_b64 v[30:31], 3, v[30:31]
	v_add_co_u32_e32 v30, vcc, v16, v30
	v_addc_co_u32_e32 v31, vcc, v1, v31, vcc
	s_waitcnt lgkmcnt(0)
	global_store_dwordx2 v[30:31], v[34:35], off
.LBB123_77:                             ;   in Loop: Header=BB123_14 Depth=1
	s_or_b64 exec, exec, s[8:9]
	ds_read_u8 v30, v10 offset:16387
	s_waitcnt lgkmcnt(0)
	v_cmp_eq_u32_e32 vcc, 0, v30
	s_cbranch_vccnz .LBB123_69
.LBB123_78:                             ;   in Loop: Header=BB123_14 Depth=1
	s_add_i32 s22, s22, 1
	v_add_co_u32_e32 v30, vcc, s22, v28
	v_addc_co_u32_e32 v31, vcc, 0, v29, vcc
	s_add_u32 s8, s10, 3
	v_lshlrev_b64 v[30:31], 3, v[30:31]
	s_addc_u32 s9, s11, 0
	v_mov_b32_e32 v33, s80
	v_add_co_u32_e32 v30, vcc, s79, v30
	v_addc_co_u32_e32 v31, vcc, v33, v31, vcc
	v_pk_mov_b32 v[34:35], s[8:9], s[8:9] op_sel:[0,1]
	global_store_dwordx2 v[30:31], v[34:35], off
	s_and_saveexec_b64 s[8:9], s[52:53]
	s_cbranch_execz .LBB123_80
; %bb.79:                               ;   in Loop: Header=BB123_14 Depth=1
	v_mov_b32_e32 v30, s27
	v_add_co_u32_e32 v31, vcc, s22, v32
	v_addc_co_u32_e32 v30, vcc, v11, v30, vcc
	v_mul_lo_u32 v33, v30, s48
	v_mul_lo_u32 v34, v31, s49
	v_mad_u64_u32 v[30:31], s[58:59], v31, s48, 0
	v_add3_u32 v31, v31, v34, v33
	ds_read_b64 v[34:35], v50 offset:6144
	v_lshlrev_b64 v[30:31], 3, v[30:31]
	v_add_co_u32_e32 v30, vcc, v16, v30
	v_addc_co_u32_e32 v31, vcc, v1, v31, vcc
	s_waitcnt lgkmcnt(0)
	global_store_dwordx2 v[30:31], v[34:35], off
.LBB123_80:                             ;   in Loop: Header=BB123_14 Depth=1
	s_or_b64 exec, exec, s[8:9]
	ds_read_u8 v30, v10 offset:16388
	s_waitcnt lgkmcnt(0)
	v_cmp_eq_u32_e32 vcc, 0, v30
	s_cbranch_vccnz .LBB123_70
.LBB123_81:                             ;   in Loop: Header=BB123_14 Depth=1
	s_add_i32 s22, s22, 1
	v_add_co_u32_e32 v30, vcc, s22, v28
	v_addc_co_u32_e32 v31, vcc, 0, v29, vcc
	s_add_u32 s8, s10, 4
	v_lshlrev_b64 v[30:31], 3, v[30:31]
	s_addc_u32 s9, s11, 0
	v_mov_b32_e32 v33, s80
	v_add_co_u32_e32 v30, vcc, s79, v30
	v_addc_co_u32_e32 v31, vcc, v33, v31, vcc
	v_pk_mov_b32 v[34:35], s[8:9], s[8:9] op_sel:[0,1]
	global_store_dwordx2 v[30:31], v[34:35], off
	s_and_saveexec_b64 s[8:9], s[52:53]
	s_cbranch_execz .LBB123_83
; %bb.82:                               ;   in Loop: Header=BB123_14 Depth=1
	v_mov_b32_e32 v30, s27
	v_add_co_u32_e32 v31, vcc, s22, v32
	v_addc_co_u32_e32 v30, vcc, v11, v30, vcc
	v_mul_lo_u32 v33, v30, s48
	v_mul_lo_u32 v34, v31, s49
	v_mad_u64_u32 v[30:31], s[58:59], v31, s48, 0
	v_add3_u32 v31, v31, v34, v33
	ds_read_b64 v[34:35], v49 offset:8192
	v_lshlrev_b64 v[30:31], 3, v[30:31]
	v_add_co_u32_e32 v30, vcc, v16, v30
	v_addc_co_u32_e32 v31, vcc, v1, v31, vcc
	s_waitcnt lgkmcnt(0)
	global_store_dwordx2 v[30:31], v[34:35], off
.LBB123_83:                             ;   in Loop: Header=BB123_14 Depth=1
	s_or_b64 exec, exec, s[8:9]
	ds_read_u8 v30, v10 offset:16389
	s_waitcnt lgkmcnt(0)
	v_cmp_eq_u32_e32 vcc, 0, v30
	s_cbranch_vccnz .LBB123_71
.LBB123_84:                             ;   in Loop: Header=BB123_14 Depth=1
	s_add_i32 s22, s22, 1
	v_add_co_u32_e32 v30, vcc, s22, v28
	v_addc_co_u32_e32 v31, vcc, 0, v29, vcc
	s_add_u32 s8, s10, 5
	v_lshlrev_b64 v[30:31], 3, v[30:31]
	s_addc_u32 s9, s11, 0
	v_mov_b32_e32 v33, s80
	v_add_co_u32_e32 v30, vcc, s79, v30
	v_addc_co_u32_e32 v31, vcc, v33, v31, vcc
	v_pk_mov_b32 v[34:35], s[8:9], s[8:9] op_sel:[0,1]
	global_store_dwordx2 v[30:31], v[34:35], off
	s_and_saveexec_b64 s[8:9], s[52:53]
	s_cbranch_execz .LBB123_86
; %bb.85:                               ;   in Loop: Header=BB123_14 Depth=1
	v_mov_b32_e32 v30, s27
	v_add_co_u32_e32 v31, vcc, s22, v32
	v_addc_co_u32_e32 v30, vcc, v11, v30, vcc
	v_mul_lo_u32 v33, v30, s48
	v_mul_lo_u32 v34, v31, s49
	v_mad_u64_u32 v[30:31], s[58:59], v31, s48, 0
	v_add3_u32 v31, v31, v34, v33
	ds_read_b64 v[34:35], v50 offset:10240
	v_lshlrev_b64 v[30:31], 3, v[30:31]
	v_add_co_u32_e32 v30, vcc, v16, v30
	v_addc_co_u32_e32 v31, vcc, v1, v31, vcc
	s_waitcnt lgkmcnt(0)
	global_store_dwordx2 v[30:31], v[34:35], off
.LBB123_86:                             ;   in Loop: Header=BB123_14 Depth=1
	s_or_b64 exec, exec, s[8:9]
	ds_read_u8 v30, v10 offset:16390
	s_waitcnt lgkmcnt(0)
	v_cmp_eq_u32_e32 vcc, 0, v30
	s_cbranch_vccnz .LBB123_90
.LBB123_87:                             ;   in Loop: Header=BB123_14 Depth=1
	s_add_i32 s22, s22, 1
	v_add_co_u32_e32 v30, vcc, s22, v28
	v_addc_co_u32_e32 v31, vcc, 0, v29, vcc
	s_add_u32 s8, s10, 6
	v_lshlrev_b64 v[30:31], 3, v[30:31]
	s_addc_u32 s9, s11, 0
	v_mov_b32_e32 v33, s80
	v_add_co_u32_e32 v30, vcc, s79, v30
	v_addc_co_u32_e32 v31, vcc, v33, v31, vcc
	v_pk_mov_b32 v[34:35], s[8:9], s[8:9] op_sel:[0,1]
	global_store_dwordx2 v[30:31], v[34:35], off
	s_and_saveexec_b64 s[8:9], s[52:53]
	s_cbranch_execz .LBB123_89
; %bb.88:                               ;   in Loop: Header=BB123_14 Depth=1
	v_mov_b32_e32 v30, s27
	v_add_co_u32_e32 v31, vcc, s22, v32
	v_addc_co_u32_e32 v30, vcc, v11, v30, vcc
	v_mul_lo_u32 v33, v30, s48
	v_mul_lo_u32 v34, v31, s49
	v_mad_u64_u32 v[30:31], s[58:59], v31, s48, 0
	v_add3_u32 v31, v31, v34, v33
	ds_read_b64 v[34:35], v50 offset:12288
	v_lshlrev_b64 v[30:31], 3, v[30:31]
	v_add_co_u32_e32 v30, vcc, v16, v30
	v_addc_co_u32_e32 v31, vcc, v1, v31, vcc
	s_waitcnt lgkmcnt(0)
	global_store_dwordx2 v[30:31], v[34:35], off
.LBB123_89:                             ;   in Loop: Header=BB123_14 Depth=1
	s_or_b64 exec, exec, s[8:9]
.LBB123_90:                             ;   in Loop: Header=BB123_14 Depth=1
	ds_read_u8 v30, v10 offset:16391
	s_waitcnt lgkmcnt(0)
	v_readfirstlane_b32 s8, v30
	s_bitcmp1_b32 s8, 0
	s_cselect_b64 s[8:9], -1, 0
	s_and_b64 vcc, exec, s[8:9]
	s_cbranch_vccnz .LBB123_92
; %bb.91:                               ;   in Loop: Header=BB123_14 Depth=1
	v_add_co_u32_e32 v30, vcc, s22, v28
	v_addc_co_u32_e32 v31, vcc, 0, v29, vcc
	s_cbranch_execnz .LBB123_13
	s_branch .LBB123_93
.LBB123_92:                             ;   in Loop: Header=BB123_14 Depth=1
                                        ; implicit-def: $vgpr30_vgpr31
.LBB123_93:                             ;   in Loop: Header=BB123_14 Depth=1
	s_add_i32 s22, s22, 1
	v_add_co_u32_e32 v30, vcc, s22, v28
	v_addc_co_u32_e32 v31, vcc, 0, v29, vcc
	s_add_u32 s8, s10, 7
	v_lshlrev_b64 v[28:29], 3, v[30:31]
	s_addc_u32 s9, s11, 0
	v_mov_b32_e32 v33, s80
	v_add_co_u32_e32 v28, vcc, s79, v28
	v_addc_co_u32_e32 v29, vcc, v33, v29, vcc
	v_pk_mov_b32 v[34:35], s[8:9], s[8:9] op_sel:[0,1]
	global_store_dwordx2 v[28:29], v[34:35], off
	s_and_saveexec_b64 s[8:9], s[52:53]
	s_cbranch_execz .LBB123_12
; %bb.94:                               ;   in Loop: Header=BB123_14 Depth=1
	v_mov_b32_e32 v28, s27
	v_add_co_u32_e32 v29, vcc, s22, v32
	v_addc_co_u32_e32 v11, vcc, v11, v28, vcc
	v_mul_lo_u32 v34, v29, s49
	v_mad_u64_u32 v[32:33], s[10:11], v29, s48, 0
	ds_read_b64 v[28:29], v50 offset:14336
	v_mul_lo_u32 v11, v11, s48
	v_add3_u32 v33, v33, v34, v11
	s_andn2_b64 vcc, exec, s[24:25]
	v_lshlrev_b64 v[32:33], 3, v[32:33]
	s_cbranch_vccnz .LBB123_96
; %bb.95:                               ;   in Loop: Header=BB123_14 Depth=1
	v_add_co_u32_e32 v34, vcc, v17, v32
	v_addc_co_u32_e32 v35, vcc, v46, v33, vcc
	s_waitcnt lgkmcnt(0)
	global_store_dwordx2 v[34:35], v[28:29], off
	s_cbranch_execnz .LBB123_12
	s_branch .LBB123_97
.LBB123_96:                             ;   in Loop: Header=BB123_14 Depth=1
.LBB123_97:                             ;   in Loop: Header=BB123_14 Depth=1
	v_add_co_u32_e32 v32, vcc, v47, v32
	v_addc_co_u32_e32 v33, vcc, v48, v33, vcc
	s_waitcnt lgkmcnt(0)
	global_store_dwordx2 v[32:33], v[28:29], off
	s_branch .LBB123_12
.LBB123_98:
	s_endpgm
	.section	.rodata,"a",@progbits
	.p2align	6, 0x0
	.amdhsa_kernel _ZN9rocsparseL31bsrgemm_block_per_row_multipassILj256ELj8ELj16ElldEEv20rocsparse_direction_T3_S2_PKS2_S4_NS_24const_host_device_scalarIT4_EEPKT2_S4_PKS6_SA_S4_SC_S7_SA_S4_SC_SA_PS2_PS6_PS8_21rocsparse_index_base_SG_SG_SG_bbb
		.amdhsa_group_segment_fixed_size 16392
		.amdhsa_private_segment_fixed_size 0
		.amdhsa_kernarg_size 180
		.amdhsa_user_sgpr_count 6
		.amdhsa_user_sgpr_private_segment_buffer 1
		.amdhsa_user_sgpr_dispatch_ptr 0
		.amdhsa_user_sgpr_queue_ptr 0
		.amdhsa_user_sgpr_kernarg_segment_ptr 1
		.amdhsa_user_sgpr_dispatch_id 0
		.amdhsa_user_sgpr_flat_scratch_init 0
		.amdhsa_user_sgpr_kernarg_preload_length 0
		.amdhsa_user_sgpr_kernarg_preload_offset 0
		.amdhsa_user_sgpr_private_segment_size 0
		.amdhsa_uses_dynamic_stack 0
		.amdhsa_system_sgpr_private_segment_wavefront_offset 0
		.amdhsa_system_sgpr_workgroup_id_x 1
		.amdhsa_system_sgpr_workgroup_id_y 0
		.amdhsa_system_sgpr_workgroup_id_z 0
		.amdhsa_system_sgpr_workgroup_info 0
		.amdhsa_system_vgpr_workitem_id 0
		.amdhsa_next_free_vgpr 58
		.amdhsa_next_free_sgpr 83
		.amdhsa_accum_offset 60
		.amdhsa_reserve_vcc 1
		.amdhsa_reserve_flat_scratch 0
		.amdhsa_float_round_mode_32 0
		.amdhsa_float_round_mode_16_64 0
		.amdhsa_float_denorm_mode_32 3
		.amdhsa_float_denorm_mode_16_64 3
		.amdhsa_dx10_clamp 1
		.amdhsa_ieee_mode 1
		.amdhsa_fp16_overflow 0
		.amdhsa_tg_split 0
		.amdhsa_exception_fp_ieee_invalid_op 0
		.amdhsa_exception_fp_denorm_src 0
		.amdhsa_exception_fp_ieee_div_zero 0
		.amdhsa_exception_fp_ieee_overflow 0
		.amdhsa_exception_fp_ieee_underflow 0
		.amdhsa_exception_fp_ieee_inexact 0
		.amdhsa_exception_int_div_zero 0
	.end_amdhsa_kernel
	.section	.text._ZN9rocsparseL31bsrgemm_block_per_row_multipassILj256ELj8ELj16ElldEEv20rocsparse_direction_T3_S2_PKS2_S4_NS_24const_host_device_scalarIT4_EEPKT2_S4_PKS6_SA_S4_SC_S7_SA_S4_SC_SA_PS2_PS6_PS8_21rocsparse_index_base_SG_SG_SG_bbb,"axG",@progbits,_ZN9rocsparseL31bsrgemm_block_per_row_multipassILj256ELj8ELj16ElldEEv20rocsparse_direction_T3_S2_PKS2_S4_NS_24const_host_device_scalarIT4_EEPKT2_S4_PKS6_SA_S4_SC_S7_SA_S4_SC_SA_PS2_PS6_PS8_21rocsparse_index_base_SG_SG_SG_bbb,comdat
.Lfunc_end123:
	.size	_ZN9rocsparseL31bsrgemm_block_per_row_multipassILj256ELj8ELj16ElldEEv20rocsparse_direction_T3_S2_PKS2_S4_NS_24const_host_device_scalarIT4_EEPKT2_S4_PKS6_SA_S4_SC_S7_SA_S4_SC_SA_PS2_PS6_PS8_21rocsparse_index_base_SG_SG_SG_bbb, .Lfunc_end123-_ZN9rocsparseL31bsrgemm_block_per_row_multipassILj256ELj8ELj16ElldEEv20rocsparse_direction_T3_S2_PKS2_S4_NS_24const_host_device_scalarIT4_EEPKT2_S4_PKS6_SA_S4_SC_S7_SA_S4_SC_SA_PS2_PS6_PS8_21rocsparse_index_base_SG_SG_SG_bbb
                                        ; -- End function
	.section	.AMDGPU.csdata,"",@progbits
; Kernel info:
; codeLenInByte = 4112
; NumSgprs: 87
; NumVgprs: 58
; NumAgprs: 0
; TotalNumVgprs: 58
; ScratchSize: 0
; MemoryBound: 1
; FloatMode: 240
; IeeeMode: 1
; LDSByteSize: 16392 bytes/workgroup (compile time only)
; SGPRBlocks: 10
; VGPRBlocks: 7
; NumSGPRsForWavesPerEU: 87
; NumVGPRsForWavesPerEU: 58
; AccumOffset: 60
; Occupancy: 3
; WaveLimiterHint : 1
; COMPUTE_PGM_RSRC2:SCRATCH_EN: 0
; COMPUTE_PGM_RSRC2:USER_SGPR: 6
; COMPUTE_PGM_RSRC2:TRAP_HANDLER: 0
; COMPUTE_PGM_RSRC2:TGID_X_EN: 1
; COMPUTE_PGM_RSRC2:TGID_Y_EN: 0
; COMPUTE_PGM_RSRC2:TGID_Z_EN: 0
; COMPUTE_PGM_RSRC2:TIDIG_COMP_CNT: 0
; COMPUTE_PGM_RSRC3_GFX90A:ACCUM_OFFSET: 14
; COMPUTE_PGM_RSRC3_GFX90A:TG_SPLIT: 0
	.section	.text._ZN9rocsparseL31bsrgemm_block_per_row_multipassILj256ELj2ELj32ElldEEv20rocsparse_direction_T3_S2_PKS2_S4_NS_24const_host_device_scalarIT4_EEPKT2_S4_PKS6_SA_S4_SC_S7_SA_S4_SC_SA_PS2_PS6_PS8_21rocsparse_index_base_SG_SG_SG_bbb,"axG",@progbits,_ZN9rocsparseL31bsrgemm_block_per_row_multipassILj256ELj2ELj32ElldEEv20rocsparse_direction_T3_S2_PKS2_S4_NS_24const_host_device_scalarIT4_EEPKT2_S4_PKS6_SA_S4_SC_S7_SA_S4_SC_SA_PS2_PS6_PS8_21rocsparse_index_base_SG_SG_SG_bbb,comdat
	.globl	_ZN9rocsparseL31bsrgemm_block_per_row_multipassILj256ELj2ELj32ElldEEv20rocsparse_direction_T3_S2_PKS2_S4_NS_24const_host_device_scalarIT4_EEPKT2_S4_PKS6_SA_S4_SC_S7_SA_S4_SC_SA_PS2_PS6_PS8_21rocsparse_index_base_SG_SG_SG_bbb ; -- Begin function _ZN9rocsparseL31bsrgemm_block_per_row_multipassILj256ELj2ELj32ElldEEv20rocsparse_direction_T3_S2_PKS2_S4_NS_24const_host_device_scalarIT4_EEPKT2_S4_PKS6_SA_S4_SC_S7_SA_S4_SC_SA_PS2_PS6_PS8_21rocsparse_index_base_SG_SG_SG_bbb
	.p2align	8
	.type	_ZN9rocsparseL31bsrgemm_block_per_row_multipassILj256ELj2ELj32ElldEEv20rocsparse_direction_T3_S2_PKS2_S4_NS_24const_host_device_scalarIT4_EEPKT2_S4_PKS6_SA_S4_SC_S7_SA_S4_SC_SA_PS2_PS6_PS8_21rocsparse_index_base_SG_SG_SG_bbb,@function
_ZN9rocsparseL31bsrgemm_block_per_row_multipassILj256ELj2ELj32ElldEEv20rocsparse_direction_T3_S2_PKS2_S4_NS_24const_host_device_scalarIT4_EEPKT2_S4_PKS6_SA_S4_SC_S7_SA_S4_SC_SA_PS2_PS6_PS8_21rocsparse_index_base_SG_SG_SG_bbb: ; @_ZN9rocsparseL31bsrgemm_block_per_row_multipassILj256ELj2ELj32ElldEEv20rocsparse_direction_T3_S2_PKS2_S4_NS_24const_host_device_scalarIT4_EEPKT2_S4_PKS6_SA_S4_SC_S7_SA_S4_SC_SA_PS2_PS6_PS8_21rocsparse_index_base_SG_SG_SG_bbb
; %bb.0:
	s_load_dword s7, s[4:5], 0xb0
	s_load_dwordx4 s[28:31], s[4:5], 0xa0
	s_load_dwordx2 s[10:11], s[4:5], 0x28
	s_waitcnt lgkmcnt(0)
	s_and_b32 s0, 1, s7
	s_bitcmp1_b32 s7, 16
	s_cselect_b64 s[2:3], -1, 0
	s_cmp_eq_u32 s0, 1
	s_load_dwordx2 s[0:1], s[4:5], 0x60
	s_cselect_b64 s[8:9], -1, 0
	s_and_b64 s[12:13], s[8:9], exec
	s_cselect_b32 s13, s11, 0
	s_cselect_b32 s12, s10, 0
	s_xor_b64 s[14:15], s[8:9], -1
	s_or_b64 s[14:15], s[14:15], s[2:3]
	s_and_b64 vcc, exec, s[14:15]
	v_pk_mov_b32 v[2:3], s[12:13], s[12:13] op_sel:[0,1]
	s_cbranch_vccnz .LBB124_2
; %bb.1:
	v_pk_mov_b32 v[2:3], s[10:11], s[10:11] op_sel:[0,1]
	flat_load_dwordx2 v[2:3], v[2:3]
.LBB124_2:
	s_bitcmp1_b32 s7, 8
	s_load_dwordx2 s[10:11], s[4:5], 0x20
	s_cselect_b64 s[34:35], -1, 0
	s_and_b64 s[12:13], s[34:35], exec
	s_waitcnt lgkmcnt(0)
	s_cselect_b32 s13, s1, 0
	s_cselect_b32 s12, s0, 0
	s_xor_b64 s[14:15], s[34:35], -1
	s_or_b64 s[2:3], s[14:15], s[2:3]
	s_and_b64 vcc, exec, s[2:3]
	v_pk_mov_b32 v[4:5], s[12:13], s[12:13] op_sel:[0,1]
	s_cbranch_vccnz .LBB124_4
; %bb.3:
	v_pk_mov_b32 v[4:5], s[0:1], s[0:1] op_sel:[0,1]
	flat_load_dwordx2 v[4:5], v[4:5]
.LBB124_4:
	s_load_dwordx2 s[2:3], s[4:5], 0x30
	s_mov_b64 s[44:45], 0
	s_cmp_eq_u64 s[10:11], 0
	s_mov_b32 s7, 0
	s_cbranch_scc1 .LBB124_6
; %bb.5:
	s_load_dwordx2 s[0:1], s[4:5], 0x18
	s_waitcnt lgkmcnt(0)
	s_load_dwordx2 s[0:1], s[0:1], 0x0
	s_waitcnt lgkmcnt(0)
	s_lshl_b64 s[0:1], s[0:1], 3
	s_add_u32 s10, s10, s0
	s_addc_u32 s11, s11, s1
	s_lshl_b64 s[0:1], s[6:7], 3
	s_add_u32 s0, s10, s0
	s_addc_u32 s1, s11, s1
	s_load_dwordx2 s[6:7], s[0:1], 0x0
.LBB124_6:
	v_cndmask_b32_e64 v1, 0, 1, s[8:9]
	v_cmp_ne_u32_e64 s[0:1], 1, v1
	s_andn2_b64 vcc, exec, s[8:9]
	s_cbranch_vccz .LBB124_9
; %bb.7:
	s_and_b64 vcc, exec, s[0:1]
	s_mov_b64 s[46:47], 0
	s_cbranch_vccz .LBB124_10
.LBB124_8:
	s_load_dwordx4 s[36:39], s[4:5], 0x8
	s_waitcnt lgkmcnt(0)
	v_cmp_lt_i64_e64 s[0:1], s[36:37], 1
	s_and_b64 vcc, exec, s[0:1]
	s_cbranch_vccz .LBB124_11
	s_branch .LBB124_117
.LBB124_9:
	s_waitcnt lgkmcnt(0)
	s_lshl_b64 s[10:11], s[6:7], 3
	s_add_u32 s10, s2, s10
	s_addc_u32 s11, s3, s11
	s_load_dwordx2 s[10:11], s[10:11], 0x0
	s_waitcnt lgkmcnt(0)
	s_sub_u32 s44, s10, s28
	s_subb_u32 s45, s11, 0
	s_and_b64 vcc, exec, s[0:1]
	s_mov_b64 s[46:47], 0
	s_cbranch_vccnz .LBB124_8
.LBB124_10:
	s_waitcnt lgkmcnt(0)
	s_lshl_b64 s[0:1], s[6:7], 3
	s_add_u32 s0, s2, s0
	s_addc_u32 s1, s3, s1
	s_load_dwordx2 s[0:1], s[0:1], 0x8
	s_waitcnt lgkmcnt(0)
	s_sub_u32 s46, s0, s28
	s_subb_u32 s47, s1, 0
	s_load_dwordx4 s[36:39], s[4:5], 0x8
	s_waitcnt lgkmcnt(0)
	v_cmp_lt_i64_e64 s[0:1], s[36:37], 1
	s_and_b64 vcc, exec, s[0:1]
	s_cbranch_vccnz .LBB124_117
.LBB124_11:
	s_load_dwordx8 s[12:19], s[4:5], 0x68
	s_load_dwordx2 s[48:49], s[4:5], 0x98
	s_load_dwordx4 s[40:43], s[4:5], 0x88
	s_load_dwordx2 s[10:11], s[4:5], 0x58
	s_load_dwordx8 s[20:27], s[4:5], 0x38
	s_lshl_b64 s[6:7], s[6:7], 3
	s_waitcnt lgkmcnt(0)
	s_add_u32 s0, s18, s6
	s_addc_u32 s1, s19, s7
	s_load_dwordx2 s[0:1], s[0:1], 0x0
	v_lshrrev_b32_e32 v10, 3, v0
	s_load_dword s18, s[4:5], 0x0
	v_pk_mov_b32 v[8:9], s[46:47], s[46:47] op_sel:[0,1]
	s_mul_hi_u32 s33, s38, s38
	s_waitcnt lgkmcnt(0)
	s_sub_u32 s70, s0, s30
	s_subb_u32 s71, s1, 0
	s_cmp_eq_u32 s18, 0
	s_cselect_b64 s[2:3], -1, 0
	s_cmp_lg_u32 s18, 0
	s_mul_i32 s18, s38, s39
	v_mad_u64_u32 v[12:13], s[54:55], v10, s38, 0
	v_cmp_lt_i64_e32 vcc, s[44:45], v[8:9]
	v_mov_b32_e32 v8, 0
	s_cselect_b64 s[50:51], -1, 0
	s_add_i32 s33, s33, s18
	v_mov_b32_e32 v14, v13
	v_mov_b32_e32 v11, v8
	s_add_i32 s53, s33, s18
	v_mad_u64_u32 v[14:15], s[54:55], v10, s39, v[14:15]
	v_cmp_gt_u64_e64 s[4:5], s[38:39], v[10:11]
	v_lshlrev_b32_e32 v1, 5, v10
	s_add_u32 s54, s12, s6
	v_lshlrev_b64 v[10:11], 3, v[10:11]
	v_mov_b32_e32 v13, v14
	s_addc_u32 s55, s13, s7
	v_mov_b32_e32 v7, s43
	v_add_co_u32_e64 v72, s[6:7], s42, v10
	v_addc_co_u32_e64 v73, s[6:7], v7, v11, s[6:7]
	v_lshlrev_b64 v[10:11], 3, v[12:13]
	v_add_co_u32_e64 v74, s[6:7], s42, v10
	v_and_b32_e32 v6, 7, v0
	v_addc_co_u32_e64 v75, s[6:7], v7, v11, s[6:7]
	v_mov_b32_e32 v7, v8
	s_and_b64 s[42:43], s[8:9], vcc
	v_cmp_gt_i64_e32 vcc, s[38:39], v[6:7]
	v_mad_u64_u32 v[10:11], s[6:7], v6, s38, 0
	v_or_b32_e32 v18, 8, v6
	v_mov_b32_e32 v19, v8
	s_and_b64 s[56:57], vcc, s[4:5]
	v_mov_b32_e32 v12, v11
	v_cmp_gt_i64_e32 vcc, s[38:39], v[18:19]
	v_or_b32_e32 v20, 16, v6
	v_mov_b32_e32 v21, v8
	v_mad_u64_u32 v[12:13], s[6:7], v6, s39, v[12:13]
	s_and_b64 s[58:59], vcc, s[4:5]
	v_cmp_gt_i64_e32 vcc, s[38:39], v[20:21]
	v_or_b32_e32 v22, 24, v6
	v_mov_b32_e32 v23, v8
	v_mov_b32_e32 v11, v12
	v_mad_u64_u32 v[12:13], s[6:7], v18, s38, 0
	s_and_b64 s[60:61], vcc, s[4:5]
	v_cmp_gt_i64_e32 vcc, s[38:39], v[22:23]
	v_mov_b32_e32 v14, v13
	s_and_b64 s[62:63], vcc, s[4:5]
	v_mad_u64_u32 v[14:15], s[6:7], v18, s39, v[14:15]
	s_add_u32 s33, s24, 8
	s_mul_i32 s52, s38, s38
	v_mov_b32_e32 v13, v14
	v_mad_u64_u32 v[14:15], s[6:7], v20, s38, 0
	s_addc_u32 s90, s25, 0
	v_mov_b32_e32 v16, v15
	s_add_u32 s91, s40, -8
	s_mul_i32 s12, s44, s53
	s_mul_hi_u32 s13, s44, s52
	v_mad_u64_u32 v[16:17], s[6:7], v20, s39, v[16:17]
	s_addc_u32 s92, s41, -1
	s_add_i32 s12, s13, s12
	s_mul_i32 s13, s45, s52
	v_mov_b32_e32 v15, v16
	v_mad_u64_u32 v[16:17], s[4:5], v22, s38, 0
	v_or_b32_e32 v9, v1, v18
	s_add_i32 s13, s12, s13
	s_mul_i32 s12, s44, s52
	v_mov_b32_e32 v24, v17
	v_lshlrev_b32_e32 v76, 3, v9
	v_or_b32_e32 v9, v1, v20
	s_lshl_b64 s[64:65], s[38:39], 3
	s_lshl_b64 s[66:67], s[52:53], 3
	s_lshl_b64 s[12:13], s[12:13], 3
	v_mad_u64_u32 v[24:25], s[4:5], v22, s39, v[24:25]
	v_lshlrev_b32_e32 v77, 3, v9
	v_or_b32_e32 v9, v1, v22
	s_add_u32 s12, s22, s12
	v_lshlrev_b32_e32 v78, 3, v9
	v_or_b32_e32 v9, 0x400, v0
	s_movk_i32 s4, 0x700
	v_and_b32_e32 v20, 0xf8, v0
	s_addc_u32 s13, s23, s13
	v_cmp_gt_u32_e64 s[4:5], s4, v9
	v_mov_b32_e32 v9, s13
	v_add_co_u32_e32 v22, vcc, s12, v20
	s_mul_i32 s12, s44, s39
	s_mul_hi_u32 s13, s44, s38
	s_add_i32 s12, s13, s12
	s_mul_i32 s13, s45, s38
	s_add_i32 s13, s12, s13
	s_mul_i32 s12, s44, s38
	v_addc_co_u32_e32 v23, vcc, 0, v9, vcc
	s_lshl_b64 s[12:13], s[12:13], 3
	v_mov_b32_e32 v9, s13
	v_add_co_u32_e32 v26, vcc, s12, v20
	v_mov_b32_e32 v17, v24
	v_addc_co_u32_e32 v9, vcc, 0, v9, vcc
	v_pk_mov_b32 v[24:25], s[22:23], s[22:23] op_sel:[0,1]
	v_lshlrev_b32_e32 v18, 3, v6
	v_mul_lo_u32 v9, s38, v9
	v_mul_lo_u32 v27, s39, v26
	v_mad_u64_u32 v[24:25], s[12:13], s38, v26, v[24:25]
	v_add3_u32 v25, v27, v25, v9
	v_mov_b32_e32 v9, s11
	v_add_co_u32_e32 v26, vcc, s10, v18
	v_addc_co_u32_e32 v27, vcc, 0, v9, vcc
	v_or_b32_e32 v28, 64, v18
	s_mov_b32 s19, 0
	s_mov_b32 s18, s31
	v_add_co_u32_e32 v30, vcc, s10, v28
	v_addc_co_u32_e32 v31, vcc, 0, v9, vcc
	v_or_b32_e32 v32, 0x80, v18
	s_lshl_b64 s[12:13], s[18:19], 3
	v_add_co_u32_e32 v34, vcc, s10, v32
	s_sub_u32 s93, s14, s12
	v_addc_co_u32_e32 v35, vcc, 0, v9, vcc
	v_or_b32_e32 v36, 0xc0, v18
	s_subb_u32 s94, s15, s13
	v_or_b32_e32 v7, v1, v6
	s_movk_i32 s6, 0x200
	s_movk_i32 s8, 0x100
	v_add_co_u32_e32 v38, vcc, s10, v36
	s_sub_u32 s31, 1, s31
	s_mov_b32 s12, s19
	s_mov_b32 s13, s19
	v_cmp_gt_u32_e64 s[0:1], 2, v0
	v_lshlrev_b32_e32 v7, 3, v7
	v_lshlrev_b32_e32 v79, 3, v0
	v_cmp_gt_u32_e64 s[6:7], s6, v0
	v_cmp_gt_u32_e64 s[8:9], s8, v0
	v_mov_b32_e32 v29, v8
	v_mov_b32_e32 v33, v8
	;; [unrolled: 1-line block ×3, first 2 shown]
	v_addc_co_u32_e32 v39, vcc, 0, v9, vcc
	s_subb_u32 s95, 0, 0
	s_mov_b64 s[68:69], 2
	s_mov_b64 s[22:23], 0
	v_pk_mov_b32 v[44:45], s[70:71], s[70:71] op_sel:[0,1]
	v_pk_mov_b32 v[40:41], s[12:13], s[12:13] op_sel:[0,1]
	;; [unrolled: 1-line block ×3, first 2 shown]
	v_mov_b32_e32 v80, 1
	s_branch .LBB124_14
.LBB124_12:                             ;   in Loop: Header=BB124_14 Depth=1
	s_or_b64 exec, exec, s[10:11]
.LBB124_13:                             ;   in Loop: Header=BB124_14 Depth=1
	s_waitcnt lgkmcnt(0)
	v_pk_mov_b32 v[44:45], s[36:37], s[36:37] op_sel:[0,1]
	v_cmp_lt_i64_e32 vcc, s[78:79], v[44:45]
	s_and_b64 vcc, vcc, exec
	s_cselect_b32 s22, s78, s36
	s_cselect_b32 s23, s79, s37
	s_add_u32 s68, s22, 2
	s_addc_u32 s69, s23, 0
	v_pk_mov_b32 v[44:45], v[46:47], v[46:47] op_sel:[0,1]
	s_barrier
	s_barrier
	s_cbranch_vccz .LBB124_117
.LBB124_14:                             ; =>This Loop Header: Depth=1
                                        ;     Child Loop BB124_24 Depth 2
                                        ;       Child Loop BB124_29 Depth 3
                                        ;         Child Loop BB124_44 Depth 4
                                        ;         Child Loop BB124_40 Depth 4
	;; [unrolled: 1-line block ×8, first 2 shown]
                                        ;     Child Loop BB124_82 Depth 2
	s_and_saveexec_b64 s[10:11], s[0:1]
	s_cbranch_execz .LBB124_16
; %bb.15:                               ;   in Loop: Header=BB124_14 Depth=1
	ds_write_b8 v0, v8 offset:16384
.LBB124_16:                             ;   in Loop: Header=BB124_14 Depth=1
	s_or_b64 exec, exec, s[10:11]
	ds_write2st64_b64 v79, v[40:41], v[40:41] offset1:4
	ds_write2st64_b64 v79, v[40:41], v[40:41] offset0:8 offset1:12
	ds_write_b64 v79, v[40:41] offset:8192
	s_and_saveexec_b64 s[10:11], s[4:5]
	s_xor_b64 s[10:11], exec, s[10:11]
	s_cbranch_execz .LBB124_22
; %bb.17:                               ;   in Loop: Header=BB124_14 Depth=1
	v_mov_b32_e32 v9, v8
	ds_write_b64 v79, v[8:9] offset:10240
	s_and_saveexec_b64 s[12:13], s[6:7]
	s_xor_b64 s[12:13], exec, s[12:13]
	s_cbranch_execz .LBB124_21
; %bb.18:                               ;   in Loop: Header=BB124_14 Depth=1
	ds_write_b64 v79, v[8:9] offset:12288
	s_and_saveexec_b64 s[14:15], s[8:9]
	s_xor_b64 s[14:15], exec, s[14:15]
	s_cbranch_execz .LBB124_20
; %bb.19:                               ;   in Loop: Header=BB124_14 Depth=1
	v_mov_b32_e32 v9, v8
	ds_write_b64 v79, v[8:9] offset:14336
.LBB124_20:                             ;   in Loop: Header=BB124_14 Depth=1
	s_or_b64 exec, exec, s[14:15]
.LBB124_21:                             ;   in Loop: Header=BB124_14 Depth=1
	s_or_b64 exec, exec, s[12:13]
.LBB124_22:                             ;   in Loop: Header=BB124_14 Depth=1
	s_or_b64 exec, exec, s[10:11]
	s_andn2_b64 vcc, exec, s[42:43]
	s_mov_b64 s[78:79], s[36:37]
	s_waitcnt lgkmcnt(0)
	s_barrier
	s_cbranch_vccnz .LBB124_77
; %bb.23:                               ;   in Loop: Header=BB124_14 Depth=1
	s_cmp_lg_u64 s[22:23], 0
	s_cselect_b64 s[14:15], -1, 0
	v_pk_mov_b32 v[46:47], v[24:25], v[24:25] op_sel:[0,1]
	v_pk_mov_b32 v[48:49], v[22:23], v[22:23] op_sel:[0,1]
	s_mov_b64 s[76:77], s[36:37]
	s_mov_b64 s[70:71], s[44:45]
.LBB124_24:                             ;   Parent Loop BB124_14 Depth=1
                                        ; =>  This Loop Header: Depth=2
                                        ;       Child Loop BB124_29 Depth 3
                                        ;         Child Loop BB124_44 Depth 4
                                        ;         Child Loop BB124_40 Depth 4
	;; [unrolled: 1-line block ×8, first 2 shown]
	s_lshl_b64 s[72:73], s[70:71], 3
	s_add_u32 s10, s20, s72
	s_addc_u32 s11, s21, s73
	s_load_dwordx2 s[10:11], s[10:11], 0x0
	s_waitcnt lgkmcnt(0)
	s_sub_u32 s10, s10, s28
	s_subb_u32 s11, s11, 0
	s_and_b64 vcc, exec, s[14:15]
	s_cbranch_vccz .LBB124_76
; %bb.25:                               ;   in Loop: Header=BB124_24 Depth=2
	s_add_u32 s12, s48, s72
	s_addc_u32 s13, s49, s73
	global_load_dwordx2 v[50:51], v8, s[12:13]
	s_waitcnt vmcnt(0)
	v_readfirstlane_b32 s74, v50
	v_readfirstlane_b32 s75, v51
	s_cbranch_execnz .LBB124_27
.LBB124_26:                             ;   in Loop: Header=BB124_24 Depth=2
	s_lshl_b64 s[12:13], s[10:11], 3
	s_add_u32 s12, s24, s12
	s_addc_u32 s13, s25, s13
	s_load_dwordx2 s[12:13], s[12:13], 0x0
	s_waitcnt lgkmcnt(0)
	s_sub_u32 s74, s12, s29
	s_subb_u32 s75, s13, 0
.LBB124_27:                             ;   in Loop: Header=BB124_24 Depth=2
	s_lshl_b64 s[10:11], s[10:11], 3
	s_add_u32 s10, s33, s10
	s_addc_u32 s11, s90, s11
	s_load_dwordx2 s[10:11], s[10:11], 0x0
	s_waitcnt lgkmcnt(0)
	s_sub_u32 s80, s10, s29
	s_subb_u32 s81, s11, 0
	v_pk_mov_b32 v[50:51], s[80:81], s[80:81] op_sel:[0,1]
	v_cmp_ge_i64_e32 vcc, s[74:75], v[50:51]
	s_cbranch_vccnz .LBB124_73
; %bb.28:                               ;   in Loop: Header=BB124_24 Depth=2
	v_mov_b32_e32 v9, s74
	v_mad_u64_u32 v[50:51], s[10:11], s64, v9, v[18:19]
	s_mul_i32 s10, s65, s74
	s_mul_i32 s11, s64, s75
	s_add_i32 s12, s11, s10
	v_add_u32_e32 v51, s12, v51
	v_mul_lo_u32 v52, s38, v51
	v_mul_lo_u32 v53, s39, v50
	v_mad_u64_u32 v[50:51], s[10:11], s38, v50, v[42:43]
	v_add3_u32 v51, v53, v51, v52
	v_mad_u64_u32 v[52:53], s[10:11], s66, v9, v[26:27]
	s_mul_i32 s10, s67, s74
	s_mul_i32 s11, s66, s75
	s_add_i32 s13, s11, s10
	v_mad_u64_u32 v[54:55], s[10:11], s64, v9, v[28:29]
	v_mad_u64_u32 v[58:59], s[10:11], s64, v9, v[32:33]
	;; [unrolled: 1-line block ×3, first 2 shown]
	v_add_u32_e32 v55, s12, v55
	v_add_u32_e32 v59, s12, v59
	;; [unrolled: 1-line block ×3, first 2 shown]
	v_mul_lo_u32 v56, s38, v55
	v_mul_lo_u32 v57, s39, v54
	v_mad_u64_u32 v[54:55], s[10:11], s38, v54, v[42:43]
	v_mul_lo_u32 v60, s38, v59
	v_mul_lo_u32 v61, s39, v58
	v_mad_u64_u32 v[58:59], s[10:11], s38, v58, v[42:43]
	;; [unrolled: 3-line block ×3, first 2 shown]
	v_add3_u32 v55, v57, v55, v56
	v_mad_u64_u32 v[56:57], s[10:11], s66, v9, v[30:31]
	v_add3_u32 v59, v61, v59, v60
	v_mad_u64_u32 v[60:61], s[10:11], s66, v9, v[34:35]
	v_add3_u32 v63, v65, v63, v64
	v_mad_u64_u32 v[64:65], s[10:11], s66, v9, v[38:39]
	v_add_u32_e32 v53, s13, v53
	v_add_u32_e32 v57, s13, v57
	;; [unrolled: 1-line block ×4, first 2 shown]
	s_mov_b64 s[82:83], s[74:75]
.LBB124_29:                             ;   Parent Loop BB124_14 Depth=1
                                        ;     Parent Loop BB124_24 Depth=2
                                        ; =>    This Loop Header: Depth=3
                                        ;         Child Loop BB124_44 Depth 4
                                        ;         Child Loop BB124_40 Depth 4
	;; [unrolled: 1-line block ×8, first 2 shown]
	s_lshl_b64 s[10:11], s[74:75], 3
	s_add_u32 s10, s26, s10
	s_addc_u32 s11, s27, s11
	s_load_dwordx2 s[10:11], s[10:11], 0x0
	v_pk_mov_b32 v[66:67], s[22:23], s[22:23] op_sel:[0,1]
	v_pk_mov_b32 v[68:69], s[68:69], s[68:69] op_sel:[0,1]
	s_mov_b64 s[88:89], -1
                                        ; implicit-def: $sgpr78_sgpr79
                                        ; implicit-def: $sgpr86_sgpr87
	s_waitcnt lgkmcnt(0)
	s_sub_u32 s84, s10, s29
	s_subb_u32 s85, s11, 0
	v_cmp_ge_i64_e32 vcc, s[84:85], v[66:67]
	v_cmp_lt_i64_e64 s[12:13], s[84:85], v[68:69]
	s_and_b64 s[12:13], vcc, s[12:13]
	v_cmp_ge_i64_e64 s[10:11], s[84:85], v[68:69]
	s_andn2_b64 vcc, exec, s[12:13]
                                        ; implicit-def: $sgpr12_sgpr13
	s_cbranch_vccz .LBB124_33
; %bb.30:                               ;   in Loop: Header=BB124_29 Depth=3
	s_mov_b64 s[86:87], -1
	s_andn2_b64 vcc, exec, s[10:11]
	s_mov_b64 s[12:13], s[82:83]
	s_mov_b64 s[78:79], s[76:77]
	s_cbranch_vccnz .LBB124_32
; %bb.31:                               ;   in Loop: Header=BB124_29 Depth=3
	v_pk_mov_b32 v[66:67], s[76:77], s[76:77] op_sel:[0,1]
	v_cmp_lt_i64_e32 vcc, s[84:85], v[66:67]
	s_and_b64 s[10:11], vcc, exec
	s_cselect_b32 s79, s85, s77
	s_cselect_b32 s78, s84, s76
	s_mov_b64 s[86:87], 0
	s_mov_b64 s[12:13], s[74:75]
.LBB124_32:                             ;   in Loop: Header=BB124_29 Depth=3
	s_mov_b64 s[88:89], 0
.LBB124_33:                             ;   in Loop: Header=BB124_29 Depth=3
	s_andn2_b64 vcc, exec, s[88:89]
	s_cbranch_vccnz .LBB124_71
; %bb.34:                               ;   in Loop: Header=BB124_29 Depth=3
	s_sub_i32 s10, s84, s22
	v_mov_b32_e32 v9, s10
	ds_write_b8 v9, v80 offset:16384
	v_lshl_add_u32 v9, s10, 10, v1
	s_and_saveexec_b64 s[10:11], s[56:57]
	s_cbranch_execnz .LBB124_38
; %bb.35:                               ;   in Loop: Header=BB124_29 Depth=3
	s_or_b64 exec, exec, s[10:11]
	s_and_saveexec_b64 s[10:11], s[58:59]
	s_cbranch_execnz .LBB124_46
.LBB124_36:                             ;   in Loop: Header=BB124_29 Depth=3
	s_or_b64 exec, exec, s[10:11]
	s_and_saveexec_b64 s[10:11], s[60:61]
	s_cbranch_execnz .LBB124_54
.LBB124_37:                             ;   in Loop: Header=BB124_29 Depth=3
	s_or_b64 exec, exec, s[10:11]
	s_and_saveexec_b64 s[10:11], s[62:63]
	s_cbranch_execnz .LBB124_62
	s_branch .LBB124_70
.LBB124_38:                             ;   in Loop: Header=BB124_29 Depth=3
	s_andn2_b64 vcc, exec, s[50:51]
	s_cbranch_vccnz .LBB124_42
; %bb.39:                               ;   in Loop: Header=BB124_29 Depth=3
	v_pk_mov_b32 v[66:67], 0, 0
	v_pk_mov_b32 v[68:69], v[48:49], v[48:49] op_sel:[0,1]
	s_mov_b64 s[12:13], s[38:39]
	v_pk_mov_b32 v[70:71], v[50:51], v[50:51] op_sel:[0,1]
.LBB124_40:                             ;   Parent Loop BB124_14 Depth=1
                                        ;     Parent Loop BB124_24 Depth=2
                                        ;       Parent Loop BB124_29 Depth=3
                                        ; =>      This Inner Loop Header: Depth=4
	global_load_dwordx2 v[82:83], v[68:69], off
	global_load_dwordx2 v[84:85], v[70:71], off
	v_add_co_u32_e32 v70, vcc, 8, v70
	v_addc_co_u32_e32 v71, vcc, 0, v71, vcc
	s_add_u32 s12, s12, -1
	v_mov_b32_e32 v81, s65
	v_add_co_u32_e32 v68, vcc, s64, v68
	s_addc_u32 s13, s13, -1
	v_addc_co_u32_e32 v69, vcc, v69, v81, vcc
	s_cmp_lg_u64 s[12:13], 0
	s_waitcnt vmcnt(0)
	v_fmac_f64_e32 v[66:67], v[82:83], v[84:85]
	s_cbranch_scc1 .LBB124_40
; %bb.41:                               ;   in Loop: Header=BB124_29 Depth=3
	s_branch .LBB124_45
.LBB124_42:                             ;   in Loop: Header=BB124_29 Depth=3
                                        ; implicit-def: $vgpr66_vgpr67
	s_cbranch_execz .LBB124_45
; %bb.43:                               ;   in Loop: Header=BB124_29 Depth=3
	v_pk_mov_b32 v[66:67], 0, 0
	v_pk_mov_b32 v[68:69], v[52:53], v[52:53] op_sel:[0,1]
	s_mov_b64 s[12:13], s[38:39]
	v_pk_mov_b32 v[70:71], v[46:47], v[46:47] op_sel:[0,1]
.LBB124_44:                             ;   Parent Loop BB124_14 Depth=1
                                        ;     Parent Loop BB124_24 Depth=2
                                        ;       Parent Loop BB124_29 Depth=3
                                        ; =>      This Inner Loop Header: Depth=4
	global_load_dwordx2 v[82:83], v[70:71], off
	global_load_dwordx2 v[84:85], v[68:69], off
	v_add_co_u32_e32 v70, vcc, 8, v70
	v_addc_co_u32_e32 v71, vcc, 0, v71, vcc
	s_add_u32 s12, s12, -1
	v_mov_b32_e32 v81, s65
	v_add_co_u32_e32 v68, vcc, s64, v68
	s_addc_u32 s13, s13, -1
	v_addc_co_u32_e32 v69, vcc, v69, v81, vcc
	s_cmp_eq_u64 s[12:13], 0
	s_waitcnt vmcnt(0)
	v_fmac_f64_e32 v[66:67], v[82:83], v[84:85]
	s_cbranch_scc0 .LBB124_44
.LBB124_45:                             ;   in Loop: Header=BB124_29 Depth=3
	v_or_b32_e32 v68, v9, v6
	v_lshlrev_b32_e32 v70, 3, v68
	ds_read_b64 v[68:69], v70
	s_waitcnt vmcnt(0) lgkmcnt(0)
	v_fmac_f64_e32 v[68:69], v[2:3], v[66:67]
	ds_write_b64 v70, v[68:69]
	s_or_b64 exec, exec, s[10:11]
	s_and_saveexec_b64 s[10:11], s[58:59]
	s_cbranch_execz .LBB124_36
.LBB124_46:                             ;   in Loop: Header=BB124_29 Depth=3
	s_andn2_b64 vcc, exec, s[50:51]
	s_cbranch_vccnz .LBB124_50
; %bb.47:                               ;   in Loop: Header=BB124_29 Depth=3
	v_pk_mov_b32 v[66:67], 0, 0
	v_pk_mov_b32 v[68:69], v[48:49], v[48:49] op_sel:[0,1]
	s_mov_b64 s[12:13], s[38:39]
	v_pk_mov_b32 v[70:71], v[54:55], v[54:55] op_sel:[0,1]
.LBB124_48:                             ;   Parent Loop BB124_14 Depth=1
                                        ;     Parent Loop BB124_24 Depth=2
                                        ;       Parent Loop BB124_29 Depth=3
                                        ; =>      This Inner Loop Header: Depth=4
	global_load_dwordx2 v[82:83], v[68:69], off
	global_load_dwordx2 v[84:85], v[70:71], off
	v_add_co_u32_e32 v70, vcc, 8, v70
	v_addc_co_u32_e32 v71, vcc, 0, v71, vcc
	s_add_u32 s12, s12, -1
	v_mov_b32_e32 v81, s65
	v_add_co_u32_e32 v68, vcc, s64, v68
	s_addc_u32 s13, s13, -1
	v_addc_co_u32_e32 v69, vcc, v69, v81, vcc
	s_cmp_eq_u64 s[12:13], 0
	s_waitcnt vmcnt(0)
	v_fmac_f64_e32 v[66:67], v[82:83], v[84:85]
	s_cbranch_scc0 .LBB124_48
; %bb.49:                               ;   in Loop: Header=BB124_29 Depth=3
	s_branch .LBB124_53
.LBB124_50:                             ;   in Loop: Header=BB124_29 Depth=3
                                        ; implicit-def: $vgpr66_vgpr67
	s_cbranch_execz .LBB124_53
; %bb.51:                               ;   in Loop: Header=BB124_29 Depth=3
	v_pk_mov_b32 v[66:67], 0, 0
	v_pk_mov_b32 v[68:69], v[56:57], v[56:57] op_sel:[0,1]
	s_mov_b64 s[12:13], s[38:39]
	v_pk_mov_b32 v[70:71], v[46:47], v[46:47] op_sel:[0,1]
.LBB124_52:                             ;   Parent Loop BB124_14 Depth=1
                                        ;     Parent Loop BB124_24 Depth=2
                                        ;       Parent Loop BB124_29 Depth=3
                                        ; =>      This Inner Loop Header: Depth=4
	global_load_dwordx2 v[82:83], v[70:71], off
	global_load_dwordx2 v[84:85], v[68:69], off
	v_add_co_u32_e32 v70, vcc, 8, v70
	v_addc_co_u32_e32 v71, vcc, 0, v71, vcc
	s_add_u32 s12, s12, -1
	v_mov_b32_e32 v81, s65
	v_add_co_u32_e32 v68, vcc, s64, v68
	s_addc_u32 s13, s13, -1
	v_addc_co_u32_e32 v69, vcc, v69, v81, vcc
	s_cmp_eq_u64 s[12:13], 0
	s_waitcnt vmcnt(0)
	v_fmac_f64_e32 v[66:67], v[82:83], v[84:85]
	s_cbranch_scc0 .LBB124_52
.LBB124_53:                             ;   in Loop: Header=BB124_29 Depth=3
	v_add_lshl_u32 v70, v9, v6, 3
	ds_read_b64 v[68:69], v70 offset:64
	s_waitcnt vmcnt(0) lgkmcnt(0)
	v_fmac_f64_e32 v[68:69], v[2:3], v[66:67]
	ds_write_b64 v70, v[68:69] offset:64
	s_or_b64 exec, exec, s[10:11]
	s_and_saveexec_b64 s[10:11], s[60:61]
	s_cbranch_execz .LBB124_37
.LBB124_54:                             ;   in Loop: Header=BB124_29 Depth=3
	s_andn2_b64 vcc, exec, s[50:51]
	s_cbranch_vccnz .LBB124_58
; %bb.55:                               ;   in Loop: Header=BB124_29 Depth=3
	v_pk_mov_b32 v[66:67], 0, 0
	v_pk_mov_b32 v[68:69], v[48:49], v[48:49] op_sel:[0,1]
	s_mov_b64 s[12:13], s[38:39]
	v_pk_mov_b32 v[70:71], v[58:59], v[58:59] op_sel:[0,1]
.LBB124_56:                             ;   Parent Loop BB124_14 Depth=1
                                        ;     Parent Loop BB124_24 Depth=2
                                        ;       Parent Loop BB124_29 Depth=3
                                        ; =>      This Inner Loop Header: Depth=4
	global_load_dwordx2 v[82:83], v[68:69], off
	global_load_dwordx2 v[84:85], v[70:71], off
	v_add_co_u32_e32 v70, vcc, 8, v70
	v_addc_co_u32_e32 v71, vcc, 0, v71, vcc
	s_add_u32 s12, s12, -1
	v_mov_b32_e32 v81, s65
	v_add_co_u32_e32 v68, vcc, s64, v68
	s_addc_u32 s13, s13, -1
	v_addc_co_u32_e32 v69, vcc, v69, v81, vcc
	s_cmp_eq_u64 s[12:13], 0
	s_waitcnt vmcnt(0)
	v_fmac_f64_e32 v[66:67], v[82:83], v[84:85]
	s_cbranch_scc0 .LBB124_56
; %bb.57:                               ;   in Loop: Header=BB124_29 Depth=3
	s_branch .LBB124_61
.LBB124_58:                             ;   in Loop: Header=BB124_29 Depth=3
                                        ; implicit-def: $vgpr66_vgpr67
	s_cbranch_execz .LBB124_61
; %bb.59:                               ;   in Loop: Header=BB124_29 Depth=3
	v_pk_mov_b32 v[66:67], 0, 0
	v_pk_mov_b32 v[68:69], v[60:61], v[60:61] op_sel:[0,1]
	s_mov_b64 s[12:13], s[38:39]
	v_pk_mov_b32 v[70:71], v[46:47], v[46:47] op_sel:[0,1]
.LBB124_60:                             ;   Parent Loop BB124_14 Depth=1
                                        ;     Parent Loop BB124_24 Depth=2
                                        ;       Parent Loop BB124_29 Depth=3
                                        ; =>      This Inner Loop Header: Depth=4
	global_load_dwordx2 v[82:83], v[70:71], off
	global_load_dwordx2 v[84:85], v[68:69], off
	v_add_co_u32_e32 v70, vcc, 8, v70
	v_addc_co_u32_e32 v71, vcc, 0, v71, vcc
	s_add_u32 s12, s12, -1
	v_mov_b32_e32 v81, s65
	v_add_co_u32_e32 v68, vcc, s64, v68
	s_addc_u32 s13, s13, -1
	v_addc_co_u32_e32 v69, vcc, v69, v81, vcc
	s_cmp_eq_u64 s[12:13], 0
	s_waitcnt vmcnt(0)
	v_fmac_f64_e32 v[66:67], v[82:83], v[84:85]
	s_cbranch_scc0 .LBB124_60
.LBB124_61:                             ;   in Loop: Header=BB124_29 Depth=3
	v_add_lshl_u32 v70, v9, v6, 3
	ds_read_b64 v[68:69], v70 offset:128
	s_waitcnt vmcnt(0) lgkmcnt(0)
	v_fmac_f64_e32 v[68:69], v[2:3], v[66:67]
	ds_write_b64 v70, v[68:69] offset:128
	s_or_b64 exec, exec, s[10:11]
	s_and_saveexec_b64 s[10:11], s[62:63]
	s_cbranch_execz .LBB124_70
.LBB124_62:                             ;   in Loop: Header=BB124_29 Depth=3
	s_andn2_b64 vcc, exec, s[50:51]
	s_cbranch_vccnz .LBB124_66
; %bb.63:                               ;   in Loop: Header=BB124_29 Depth=3
	v_pk_mov_b32 v[66:67], 0, 0
	v_pk_mov_b32 v[68:69], v[48:49], v[48:49] op_sel:[0,1]
	s_mov_b64 s[12:13], s[38:39]
	v_pk_mov_b32 v[70:71], v[62:63], v[62:63] op_sel:[0,1]
.LBB124_64:                             ;   Parent Loop BB124_14 Depth=1
                                        ;     Parent Loop BB124_24 Depth=2
                                        ;       Parent Loop BB124_29 Depth=3
                                        ; =>      This Inner Loop Header: Depth=4
	global_load_dwordx2 v[82:83], v[68:69], off
	global_load_dwordx2 v[84:85], v[70:71], off
	v_add_co_u32_e32 v70, vcc, 8, v70
	v_addc_co_u32_e32 v71, vcc, 0, v71, vcc
	s_add_u32 s12, s12, -1
	v_mov_b32_e32 v81, s65
	v_add_co_u32_e32 v68, vcc, s64, v68
	s_addc_u32 s13, s13, -1
	v_addc_co_u32_e32 v69, vcc, v69, v81, vcc
	s_cmp_eq_u64 s[12:13], 0
	s_waitcnt vmcnt(0)
	v_fmac_f64_e32 v[66:67], v[82:83], v[84:85]
	s_cbranch_scc0 .LBB124_64
; %bb.65:                               ;   in Loop: Header=BB124_29 Depth=3
	s_branch .LBB124_69
.LBB124_66:                             ;   in Loop: Header=BB124_29 Depth=3
                                        ; implicit-def: $vgpr66_vgpr67
	s_cbranch_execz .LBB124_69
; %bb.67:                               ;   in Loop: Header=BB124_29 Depth=3
	v_pk_mov_b32 v[66:67], 0, 0
	v_pk_mov_b32 v[68:69], v[64:65], v[64:65] op_sel:[0,1]
	s_mov_b64 s[12:13], s[38:39]
	v_pk_mov_b32 v[70:71], v[46:47], v[46:47] op_sel:[0,1]
.LBB124_68:                             ;   Parent Loop BB124_14 Depth=1
                                        ;     Parent Loop BB124_24 Depth=2
                                        ;       Parent Loop BB124_29 Depth=3
                                        ; =>      This Inner Loop Header: Depth=4
	global_load_dwordx2 v[82:83], v[70:71], off
	global_load_dwordx2 v[84:85], v[68:69], off
	v_add_co_u32_e32 v70, vcc, 8, v70
	v_addc_co_u32_e32 v71, vcc, 0, v71, vcc
	s_add_u32 s12, s12, -1
	v_mov_b32_e32 v81, s65
	v_add_co_u32_e32 v68, vcc, s64, v68
	s_addc_u32 s13, s13, -1
	v_addc_co_u32_e32 v69, vcc, v69, v81, vcc
	s_cmp_eq_u64 s[12:13], 0
	s_waitcnt vmcnt(0)
	v_fmac_f64_e32 v[66:67], v[82:83], v[84:85]
	s_cbranch_scc0 .LBB124_68
.LBB124_69:                             ;   in Loop: Header=BB124_29 Depth=3
	v_add_lshl_u32 v9, v9, v6, 3
	ds_read_b64 v[68:69], v9 offset:192
	s_waitcnt vmcnt(0) lgkmcnt(0)
	v_fmac_f64_e32 v[68:69], v[2:3], v[66:67]
	ds_write_b64 v9, v[68:69] offset:192
.LBB124_70:                             ;   in Loop: Header=BB124_29 Depth=3
	s_or_b64 exec, exec, s[10:11]
	s_mov_b64 s[86:87], -1
	s_mov_b64 s[12:13], s[82:83]
	s_mov_b64 s[78:79], s[76:77]
	s_waitcnt lgkmcnt(0)
	s_barrier
.LBB124_71:                             ;   in Loop: Header=BB124_29 Depth=3
	s_add_u32 s74, s74, 1
	s_addc_u32 s75, s75, 0
	v_pk_mov_b32 v[66:67], s[80:81], s[80:81] op_sel:[0,1]
	v_cmp_lt_i64_e32 vcc, s[74:75], v[66:67]
	s_and_b64 s[10:11], s[86:87], vcc
	v_mov_b32_e32 v9, s67
	v_add_co_u32_e32 v50, vcc, s66, v50
	v_addc_co_u32_e32 v51, vcc, v51, v9, vcc
	v_add_co_u32_e32 v52, vcc, s66, v52
	v_addc_co_u32_e32 v53, vcc, v53, v9, vcc
	;; [unrolled: 2-line block ×8, first 2 shown]
	s_and_b64 vcc, exec, s[10:11]
	s_cbranch_vccz .LBB124_74
; %bb.72:                               ;   in Loop: Header=BB124_29 Depth=3
	s_mov_b64 s[82:83], s[12:13]
	s_mov_b64 s[76:77], s[78:79]
	s_branch .LBB124_29
.LBB124_73:                             ;   in Loop: Header=BB124_24 Depth=2
	s_mov_b64 s[12:13], s[74:75]
	s_mov_b64 s[78:79], s[76:77]
.LBB124_74:                             ;   in Loop: Header=BB124_24 Depth=2
	s_add_u32 s10, s48, s72
	v_mov_b32_e32 v9, s67
	v_add_co_u32_e32 v48, vcc, s66, v48
	s_addc_u32 s11, s49, s73
	v_addc_co_u32_e32 v49, vcc, v49, v9, vcc
	v_pk_mov_b32 v[50:51], s[12:13], s[12:13] op_sel:[0,1]
	s_add_u32 s70, s70, 1
	v_add_co_u32_e32 v46, vcc, s66, v46
	global_store_dwordx2 v8, v[50:51], s[10:11]
	s_addc_u32 s71, s71, 0
	v_addc_co_u32_e32 v47, vcc, v47, v9, vcc
	v_pk_mov_b32 v[50:51], s[46:47], s[46:47] op_sel:[0,1]
	v_cmp_lt_i64_e32 vcc, s[70:71], v[50:51]
	s_cbranch_vccz .LBB124_77
; %bb.75:                               ;   in Loop: Header=BB124_24 Depth=2
	s_mov_b64 s[76:77], s[78:79]
	s_branch .LBB124_24
.LBB124_76:                             ;   in Loop: Header=BB124_24 Depth=2
                                        ; implicit-def: $sgpr74_sgpr75
	s_branch .LBB124_26
.LBB124_77:                             ;   in Loop: Header=BB124_14 Depth=1
	s_andn2_b64 vcc, exec, s[34:35]
	s_cbranch_vccnz .LBB124_93
; %bb.78:                               ;   in Loop: Header=BB124_14 Depth=1
	s_load_dwordx4 s[12:15], s[54:55], 0x0
	s_waitcnt lgkmcnt(0)
	v_pk_mov_b32 v[46:47], s[14:15], s[14:15] op_sel:[0,1]
	v_cmp_ge_i64_e32 vcc, s[12:13], v[46:47]
	s_cbranch_vccnz .LBB124_93
; %bb.79:                               ;   in Loop: Header=BB124_14 Depth=1
	s_sub_u32 s10, s14, s18
	s_subb_u32 s11, s15, 0
	s_sub_u32 s19, s12, s18
	v_mov_b32_e32 v9, s19
	s_subb_u32 s72, s13, 0
	s_lshl_b64 s[14:15], s[12:13], 3
	v_mad_u64_u32 v[46:47], s[70:71], s64, v9, v[20:21]
	s_add_u32 s14, s93, s14
	s_mul_i32 s19, s65, s19
	s_mul_i32 s70, s64, s72
	s_addc_u32 s15, s94, s15
	s_add_i32 s19, s70, s19
	v_add_u32_e32 v47, s19, v47
	v_mul_lo_u32 v48, s38, v47
	v_mul_lo_u32 v49, s39, v46
	v_mad_u64_u32 v[46:47], s[70:71], s38, v46, v[18:19]
	v_add3_u32 v47, v49, v47, v48
	v_mad_u64_u32 v[48:49], s[70:71], s64, v9, v[18:19]
	v_add_u32_e32 v49, s19, v49
	v_mul_lo_u32 v50, s38, v49
	v_mul_lo_u32 v51, s39, v48
	v_mad_u64_u32 v[48:49], s[70:71], s38, v48, v[20:21]
	v_add3_u32 v49, v51, v49, v50
	v_mad_u64_u32 v[50:51], s[70:71], s64, v9, v[28:29]
	;; [unrolled: 6-line block ×4, first 2 shown]
	v_add_u32_e32 v9, s19, v55
	v_mul_lo_u32 v9, s38, v9
	v_mul_lo_u32 v56, s39, v54
	v_mad_u64_u32 v[54:55], s[70:71], s38, v54, v[20:21]
	s_add_u32 s12, s31, s12
	v_add3_u32 v55, v56, v55, v9
	s_addc_u32 s13, s95, s13
	s_mov_b64 s[70:71], s[16:17]
	s_branch .LBB124_82
.LBB124_80:                             ;   in Loop: Header=BB124_82 Depth=2
	s_or_b64 exec, exec, s[72:73]
	s_mov_b64 s[74:75], -1
	s_mov_b64 s[72:73], s[78:79]
	s_waitcnt lgkmcnt(0)
	s_barrier
.LBB124_81:                             ;   in Loop: Header=BB124_82 Depth=2
	v_pk_mov_b32 v[56:57], s[10:11], s[10:11] op_sel:[0,1]
	v_cmp_lt_i64_e32 vcc, s[12:13], v[56:57]
	s_and_b64 s[74:75], s[74:75], vcc
	s_add_u32 s14, s14, 8
	s_addc_u32 s15, s15, 0
	s_add_u32 s70, s70, s66
	s_addc_u32 s71, s71, s67
	;; [unrolled: 2-line block ×3, first 2 shown]
	s_mov_b64 s[78:79], s[72:73]
	s_and_b64 vcc, exec, s[74:75]
	s_cbranch_vccz .LBB124_93
.LBB124_82:                             ;   Parent Loop BB124_14 Depth=1
                                        ; =>  This Inner Loop Header: Depth=2
	s_load_dwordx2 s[72:73], s[14:15], 0x0
	v_pk_mov_b32 v[56:57], s[22:23], s[22:23] op_sel:[0,1]
	v_pk_mov_b32 v[58:59], s[68:69], s[68:69] op_sel:[0,1]
	s_mov_b64 s[80:81], -1
	s_waitcnt lgkmcnt(0)
	s_sub_u32 s76, s72, s18
	s_subb_u32 s77, s73, 0
	v_cmp_ge_i64_e32 vcc, s[76:77], v[56:57]
	v_cmp_lt_i64_e64 s[74:75], s[76:77], v[58:59]
	s_and_b64 s[72:73], vcc, s[74:75]
	s_andn2_b64 vcc, exec, s[72:73]
                                        ; implicit-def: $sgpr72_sgpr73
	s_cbranch_vccz .LBB124_84
; %bb.83:                               ;   in Loop: Header=BB124_82 Depth=2
	v_pk_mov_b32 v[56:57], s[78:79], s[78:79] op_sel:[0,1]
	v_cmp_lt_i64_e32 vcc, s[76:77], v[56:57]
	s_and_b64 s[72:73], vcc, exec
	s_cselect_b32 s19, s76, s78
	s_cselect_b32 s77, s77, s79
	s_and_b64 s[72:73], s[74:75], exec
	s_cselect_b32 s73, s79, s77
	s_cselect_b32 s72, s78, s19
	s_mov_b64 s[80:81], 0
.LBB124_84:                             ;   in Loop: Header=BB124_82 Depth=2
	s_andn2_b64 vcc, exec, s[80:81]
	s_cbranch_vccnz .LBB124_81
; %bb.85:                               ;   in Loop: Header=BB124_82 Depth=2
	s_sub_i32 s19, s76, s22
	v_mov_b32_e32 v9, s19
	ds_write_b8 v9, v80 offset:16384
	v_lshl_add_u32 v9, s19, 10, v1
	s_and_saveexec_b64 s[72:73], s[56:57]
	s_cbranch_execnz .LBB124_89
; %bb.86:                               ;   in Loop: Header=BB124_82 Depth=2
	s_or_b64 exec, exec, s[72:73]
	v_add_lshl_u32 v9, v9, v6, 3
	s_and_saveexec_b64 s[72:73], s[58:59]
	s_cbranch_execnz .LBB124_90
.LBB124_87:                             ;   in Loop: Header=BB124_82 Depth=2
	s_or_b64 exec, exec, s[72:73]
	s_and_saveexec_b64 s[72:73], s[60:61]
	s_cbranch_execnz .LBB124_91
.LBB124_88:                             ;   in Loop: Header=BB124_82 Depth=2
	s_or_b64 exec, exec, s[72:73]
	s_and_saveexec_b64 s[72:73], s[62:63]
	s_cbranch_execz .LBB124_80
	s_branch .LBB124_92
.LBB124_89:                             ;   in Loop: Header=BB124_82 Depth=2
	v_cndmask_b32_e64 v56, v48, v46, s[2:3]
	v_cndmask_b32_e64 v57, v49, v47, s[2:3]
	v_mov_b32_e32 v58, s71
	v_add_co_u32_e32 v56, vcc, s70, v56
	v_addc_co_u32_e32 v57, vcc, v58, v57, vcc
	global_load_dwordx2 v[56:57], v[56:57], off
	v_or_b32_e32 v58, v9, v6
	v_lshlrev_b32_e32 v60, 3, v58
	ds_read_b64 v[58:59], v60
	s_waitcnt vmcnt(0) lgkmcnt(0)
	v_fmac_f64_e32 v[58:59], v[4:5], v[56:57]
	ds_write_b64 v60, v[58:59]
	s_or_b64 exec, exec, s[72:73]
	v_add_lshl_u32 v9, v9, v6, 3
	s_and_saveexec_b64 s[72:73], s[58:59]
	s_cbranch_execz .LBB124_87
.LBB124_90:                             ;   in Loop: Header=BB124_82 Depth=2
	v_mov_b32_e32 v56, s71
	v_add_co_u32_e32 v57, vcc, s70, v46
	v_addc_co_u32_e32 v58, vcc, v56, v47, vcc
	v_add_co_u32_e32 v59, vcc, 64, v57
	v_addc_co_u32_e32 v57, vcc, 0, v58, vcc
	;; [unrolled: 2-line block ×3, first 2 shown]
	v_cndmask_b32_e64 v57, v56, v57, s[2:3]
	v_cndmask_b32_e64 v56, v58, v59, s[2:3]
	global_load_dwordx2 v[56:57], v[56:57], off
	ds_read_b64 v[58:59], v9 offset:64
	s_waitcnt vmcnt(0) lgkmcnt(0)
	v_fmac_f64_e32 v[58:59], v[4:5], v[56:57]
	ds_write_b64 v9, v[58:59] offset:64
	s_or_b64 exec, exec, s[72:73]
	s_and_saveexec_b64 s[72:73], s[60:61]
	s_cbranch_execz .LBB124_88
.LBB124_91:                             ;   in Loop: Header=BB124_82 Depth=2
	v_mov_b32_e32 v56, s71
	v_add_co_u32_e32 v57, vcc, s70, v46
	v_addc_co_u32_e32 v58, vcc, v56, v47, vcc
	v_add_co_u32_e32 v59, vcc, 0x80, v57
	v_addc_co_u32_e32 v57, vcc, 0, v58, vcc
	v_add_co_u32_e32 v58, vcc, s70, v52
	v_addc_co_u32_e32 v56, vcc, v56, v53, vcc
	v_cndmask_b32_e64 v57, v56, v57, s[2:3]
	v_cndmask_b32_e64 v56, v58, v59, s[2:3]
	global_load_dwordx2 v[56:57], v[56:57], off
	ds_read_b64 v[58:59], v9 offset:128
	s_waitcnt vmcnt(0) lgkmcnt(0)
	v_fmac_f64_e32 v[58:59], v[4:5], v[56:57]
	ds_write_b64 v9, v[58:59] offset:128
	s_or_b64 exec, exec, s[72:73]
	s_and_saveexec_b64 s[72:73], s[62:63]
	s_cbranch_execz .LBB124_80
.LBB124_92:                             ;   in Loop: Header=BB124_82 Depth=2
	v_mov_b32_e32 v56, s71
	v_add_co_u32_e32 v57, vcc, s70, v46
	v_addc_co_u32_e32 v58, vcc, v56, v47, vcc
	v_add_co_u32_e32 v59, vcc, 0xc0, v57
	v_addc_co_u32_e32 v57, vcc, 0, v58, vcc
	;; [unrolled: 2-line block ×3, first 2 shown]
	v_cndmask_b32_e64 v57, v56, v57, s[2:3]
	v_cndmask_b32_e64 v56, v58, v59, s[2:3]
	global_load_dwordx2 v[56:57], v[56:57], off
	ds_read_b64 v[58:59], v9 offset:192
	s_waitcnt vmcnt(0) lgkmcnt(0)
	v_fmac_f64_e32 v[58:59], v[4:5], v[56:57]
	ds_write_b64 v9, v[58:59] offset:192
	s_branch .LBB124_80
.LBB124_93:                             ;   in Loop: Header=BB124_14 Depth=1
	s_barrier
	ds_read_u8 v9, v8 offset:16384
	s_add_u32 s10, s22, s30
	s_addc_u32 s11, s23, 0
	s_mov_b32 s14, 0
	s_waitcnt lgkmcnt(0)
	v_cmp_eq_u32_e32 vcc, 0, v9
	s_cbranch_vccnz .LBB124_100
; %bb.94:                               ;   in Loop: Header=BB124_14 Depth=1
	v_lshlrev_b64 v[46:47], 3, v[44:45]
	v_mov_b32_e32 v9, s41
	v_add_co_u32_e32 v46, vcc, s40, v46
	v_addc_co_u32_e32 v47, vcc, v9, v47, vcc
	v_pk_mov_b32 v[48:49], s[10:11], s[10:11] op_sel:[0,1]
	global_store_dwordx2 v[46:47], v[48:49], off
	v_mul_lo_u32 v9, v45, s52
	v_mul_lo_u32 v48, v44, s53
	v_mad_u64_u32 v[46:47], s[12:13], v44, s52, 0
	v_add3_u32 v47, v47, v48, v9
	v_lshlrev_b64 v[48:49], 3, v[46:47]
	v_add_co_u32_e32 v9, vcc, v72, v48
	v_addc_co_u32_e32 v46, vcc, v73, v49, vcc
	v_add_co_u32_e32 v47, vcc, v74, v48
	v_addc_co_u32_e32 v48, vcc, v75, v49, vcc
	s_and_saveexec_b64 s[12:13], s[56:57]
	s_cbranch_execnz .LBB124_107
; %bb.95:                               ;   in Loop: Header=BB124_14 Depth=1
	s_or_b64 exec, exec, s[12:13]
	s_and_saveexec_b64 s[12:13], s[58:59]
	s_cbranch_execnz .LBB124_108
.LBB124_96:                             ;   in Loop: Header=BB124_14 Depth=1
	s_or_b64 exec, exec, s[12:13]
	s_and_saveexec_b64 s[12:13], s[60:61]
	s_cbranch_execnz .LBB124_109
.LBB124_97:                             ;   in Loop: Header=BB124_14 Depth=1
	s_or_b64 exec, exec, s[12:13]
	s_and_saveexec_b64 s[12:13], s[62:63]
	s_cbranch_execz .LBB124_99
.LBB124_98:                             ;   in Loop: Header=BB124_14 Depth=1
	v_lshlrev_b32_e32 v49, 3, v6
	v_add_co_u32_e32 v47, vcc, v47, v49
	v_addc_co_u32_e32 v48, vcc, 0, v48, vcc
	ds_read_b64 v[50:51], v7 offset:192
	v_add_co_u32_e32 v52, vcc, 0xc0, v47
	v_addc_co_u32_e32 v47, vcc, 0, v48, vcc
	v_lshlrev_b64 v[48:49], 3, v[16:17]
	v_add_co_u32_e32 v9, vcc, v9, v48
	v_addc_co_u32_e32 v46, vcc, v46, v49, vcc
	v_cndmask_b32_e64 v47, v46, v47, s[2:3]
	v_cndmask_b32_e64 v46, v9, v52, s[2:3]
	s_waitcnt lgkmcnt(0)
	global_store_dwordx2 v[46:47], v[50:51], off
.LBB124_99:                             ;   in Loop: Header=BB124_14 Depth=1
	s_or_b64 exec, exec, s[12:13]
	s_mov_b32 s14, 1
.LBB124_100:                            ;   in Loop: Header=BB124_14 Depth=1
	ds_read_u8 v9, v8 offset:16385
	s_waitcnt lgkmcnt(0)
	v_readfirstlane_b32 s12, v9
	s_bitcmp1_b32 s12, 0
	s_cselect_b64 s[12:13], -1, 0
	s_and_b64 vcc, exec, s[12:13]
	s_cbranch_vccnz .LBB124_102
; %bb.101:                              ;   in Loop: Header=BB124_14 Depth=1
	v_add_co_u32_e32 v46, vcc, s14, v44
	v_addc_co_u32_e32 v47, vcc, 0, v45, vcc
	s_cbranch_execnz .LBB124_13
	s_branch .LBB124_103
.LBB124_102:                            ;   in Loop: Header=BB124_14 Depth=1
                                        ; implicit-def: $vgpr46_vgpr47
.LBB124_103:                            ;   in Loop: Header=BB124_14 Depth=1
	s_add_i32 s12, s14, 1
	v_add_co_u32_e32 v46, vcc, s12, v44
	v_addc_co_u32_e32 v47, vcc, 0, v45, vcc
	v_add_co_u32_e32 v9, vcc, -1, v46
	v_addc_co_u32_e32 v50, vcc, -1, v47, vcc
	s_add_u32 s10, s10, 1
	v_lshlrev_b64 v[44:45], 3, v[46:47]
	s_addc_u32 s11, s11, 0
	v_mov_b32_e32 v48, s92
	v_add_co_u32_e32 v44, vcc, s91, v44
	v_addc_co_u32_e32 v45, vcc, v48, v45, vcc
	v_pk_mov_b32 v[48:49], s[10:11], s[10:11] op_sel:[0,1]
	global_store_dwordx2 v[44:45], v[48:49], off
	v_mul_lo_u32 v48, v50, s52
	v_mul_lo_u32 v49, v9, s53
	v_mad_u64_u32 v[44:45], s[10:11], v9, s52, 0
	v_add3_u32 v45, v45, v49, v48
	v_lshlrev_b64 v[44:45], 3, v[44:45]
	v_add_co_u32_e32 v49, vcc, v72, v44
	v_addc_co_u32_e32 v50, vcc, v73, v45, vcc
	v_add_co_u32_e32 v9, vcc, v74, v44
	v_addc_co_u32_e32 v48, vcc, v75, v45, vcc
	s_and_saveexec_b64 s[10:11], s[56:57]
	s_cbranch_execnz .LBB124_110
; %bb.104:                              ;   in Loop: Header=BB124_14 Depth=1
	s_or_b64 exec, exec, s[10:11]
	s_and_saveexec_b64 s[10:11], s[58:59]
	s_cbranch_execnz .LBB124_111
.LBB124_105:                            ;   in Loop: Header=BB124_14 Depth=1
	s_or_b64 exec, exec, s[10:11]
	s_and_saveexec_b64 s[10:11], s[60:61]
	s_cbranch_execnz .LBB124_112
.LBB124_106:                            ;   in Loop: Header=BB124_14 Depth=1
	s_or_b64 exec, exec, s[10:11]
	s_and_saveexec_b64 s[10:11], s[62:63]
	s_cbranch_execz .LBB124_12
	s_branch .LBB124_113
.LBB124_107:                            ;   in Loop: Header=BB124_14 Depth=1
	v_lshlrev_b64 v[52:53], 3, v[10:11]
	ds_read_b64 v[50:51], v7
	v_add_co_u32_e32 v49, vcc, v9, v52
	v_addc_co_u32_e32 v52, vcc, v46, v53, vcc
	v_lshlrev_b32_e32 v53, 3, v6
	v_add_co_u32_e32 v54, vcc, v47, v53
	v_addc_co_u32_e32 v53, vcc, 0, v48, vcc
	v_cndmask_b32_e64 v53, v52, v53, s[2:3]
	v_cndmask_b32_e64 v52, v49, v54, s[2:3]
	s_waitcnt lgkmcnt(0)
	global_store_dwordx2 v[52:53], v[50:51], off
	s_or_b64 exec, exec, s[12:13]
	s_and_saveexec_b64 s[12:13], s[58:59]
	s_cbranch_execz .LBB124_96
.LBB124_108:                            ;   in Loop: Header=BB124_14 Depth=1
	v_lshlrev_b32_e32 v49, 3, v6
	v_add_co_u32_e32 v49, vcc, v47, v49
	v_addc_co_u32_e32 v52, vcc, 0, v48, vcc
	ds_read_b64 v[50:51], v7 offset:64
	v_add_co_u32_e32 v49, vcc, 64, v49
	v_addc_co_u32_e32 v54, vcc, 0, v52, vcc
	v_lshlrev_b64 v[52:53], 3, v[12:13]
	v_add_co_u32_e32 v52, vcc, v9, v52
	v_addc_co_u32_e32 v53, vcc, v46, v53, vcc
	v_cndmask_b32_e64 v53, v53, v54, s[2:3]
	v_cndmask_b32_e64 v52, v52, v49, s[2:3]
	s_waitcnt lgkmcnt(0)
	global_store_dwordx2 v[52:53], v[50:51], off
	s_or_b64 exec, exec, s[12:13]
	s_and_saveexec_b64 s[12:13], s[60:61]
	s_cbranch_execz .LBB124_97
.LBB124_109:                            ;   in Loop: Header=BB124_14 Depth=1
	v_lshlrev_b32_e32 v49, 3, v6
	v_add_co_u32_e32 v49, vcc, v47, v49
	v_addc_co_u32_e32 v52, vcc, 0, v48, vcc
	ds_read_b64 v[50:51], v7 offset:128
	v_add_co_u32_e32 v49, vcc, 0x80, v49
	v_addc_co_u32_e32 v54, vcc, 0, v52, vcc
	v_lshlrev_b64 v[52:53], 3, v[14:15]
	v_add_co_u32_e32 v52, vcc, v9, v52
	v_addc_co_u32_e32 v53, vcc, v46, v53, vcc
	v_cndmask_b32_e64 v53, v53, v54, s[2:3]
	v_cndmask_b32_e64 v52, v52, v49, s[2:3]
	s_waitcnt lgkmcnt(0)
	global_store_dwordx2 v[52:53], v[50:51], off
	s_or_b64 exec, exec, s[12:13]
	s_and_saveexec_b64 s[12:13], s[62:63]
	s_cbranch_execnz .LBB124_98
	s_branch .LBB124_99
.LBB124_110:                            ;   in Loop: Header=BB124_14 Depth=1
	v_lshlrev_b32_e32 v51, 3, v6
	ds_read_b64 v[44:45], v7 offset:8192
	v_add_co_u32_e32 v51, vcc, v9, v51
	v_addc_co_u32_e32 v54, vcc, 0, v48, vcc
	v_lshlrev_b64 v[52:53], 3, v[10:11]
	v_add_co_u32_e32 v52, vcc, v49, v52
	v_addc_co_u32_e32 v53, vcc, v50, v53, vcc
	v_cndmask_b32_e64 v53, v53, v54, s[2:3]
	v_cndmask_b32_e64 v52, v52, v51, s[2:3]
	s_waitcnt lgkmcnt(0)
	global_store_dwordx2 v[52:53], v[44:45], off
	s_or_b64 exec, exec, s[10:11]
	s_and_saveexec_b64 s[10:11], s[58:59]
	s_cbranch_execz .LBB124_105
.LBB124_111:                            ;   in Loop: Header=BB124_14 Depth=1
	v_lshlrev_b32_e32 v51, 3, v6
	v_add_co_u32_e32 v51, vcc, v9, v51
	v_addc_co_u32_e32 v52, vcc, 0, v48, vcc
	ds_read_b64 v[44:45], v76 offset:8192
	v_add_co_u32_e32 v51, vcc, 64, v51
	v_addc_co_u32_e32 v54, vcc, 0, v52, vcc
	v_lshlrev_b64 v[52:53], 3, v[12:13]
	v_add_co_u32_e32 v52, vcc, v49, v52
	v_addc_co_u32_e32 v53, vcc, v50, v53, vcc
	v_cndmask_b32_e64 v53, v53, v54, s[2:3]
	v_cndmask_b32_e64 v52, v52, v51, s[2:3]
	s_waitcnt lgkmcnt(0)
	global_store_dwordx2 v[52:53], v[44:45], off
	s_or_b64 exec, exec, s[10:11]
	s_and_saveexec_b64 s[10:11], s[60:61]
	s_cbranch_execz .LBB124_106
.LBB124_112:                            ;   in Loop: Header=BB124_14 Depth=1
	v_lshlrev_b32_e32 v51, 3, v6
	v_add_co_u32_e32 v51, vcc, v9, v51
	v_addc_co_u32_e32 v52, vcc, 0, v48, vcc
	ds_read_b64 v[44:45], v77 offset:8192
	v_add_co_u32_e32 v51, vcc, 0x80, v51
	v_addc_co_u32_e32 v54, vcc, 0, v52, vcc
	v_lshlrev_b64 v[52:53], 3, v[14:15]
	v_add_co_u32_e32 v52, vcc, v49, v52
	v_addc_co_u32_e32 v53, vcc, v50, v53, vcc
	v_cndmask_b32_e64 v53, v53, v54, s[2:3]
	v_cndmask_b32_e64 v52, v52, v51, s[2:3]
	s_waitcnt lgkmcnt(0)
	global_store_dwordx2 v[52:53], v[44:45], off
	s_or_b64 exec, exec, s[10:11]
	s_and_saveexec_b64 s[10:11], s[62:63]
	s_cbranch_execz .LBB124_12
.LBB124_113:                            ;   in Loop: Header=BB124_14 Depth=1
	ds_read_b64 v[44:45], v78 offset:8192
	s_andn2_b64 vcc, exec, s[50:51]
	s_cbranch_vccnz .LBB124_115
; %bb.114:                              ;   in Loop: Header=BB124_14 Depth=1
	v_lshlrev_b64 v[52:53], 3, v[16:17]
	v_add_co_u32_e32 v52, vcc, v49, v52
	v_addc_co_u32_e32 v53, vcc, v50, v53, vcc
	s_waitcnt lgkmcnt(0)
	global_store_dwordx2 v[52:53], v[44:45], off
	s_cbranch_execnz .LBB124_12
	s_branch .LBB124_116
.LBB124_115:                            ;   in Loop: Header=BB124_14 Depth=1
.LBB124_116:                            ;   in Loop: Header=BB124_14 Depth=1
	v_lshlrev_b32_e32 v49, 3, v6
	v_add_co_u32_e32 v50, vcc, v9, v49
	v_addc_co_u32_e32 v51, vcc, 0, v48, vcc
	s_waitcnt lgkmcnt(0)
	global_store_dwordx2 v[50:51], v[44:45], off offset:192
	s_branch .LBB124_12
.LBB124_117:
	s_endpgm
	.section	.rodata,"a",@progbits
	.p2align	6, 0x0
	.amdhsa_kernel _ZN9rocsparseL31bsrgemm_block_per_row_multipassILj256ELj2ELj32ElldEEv20rocsparse_direction_T3_S2_PKS2_S4_NS_24const_host_device_scalarIT4_EEPKT2_S4_PKS6_SA_S4_SC_S7_SA_S4_SC_SA_PS2_PS6_PS8_21rocsparse_index_base_SG_SG_SG_bbb
		.amdhsa_group_segment_fixed_size 16392
		.amdhsa_private_segment_fixed_size 0
		.amdhsa_kernarg_size 180
		.amdhsa_user_sgpr_count 6
		.amdhsa_user_sgpr_private_segment_buffer 1
		.amdhsa_user_sgpr_dispatch_ptr 0
		.amdhsa_user_sgpr_queue_ptr 0
		.amdhsa_user_sgpr_kernarg_segment_ptr 1
		.amdhsa_user_sgpr_dispatch_id 0
		.amdhsa_user_sgpr_flat_scratch_init 0
		.amdhsa_user_sgpr_kernarg_preload_length 0
		.amdhsa_user_sgpr_kernarg_preload_offset 0
		.amdhsa_user_sgpr_private_segment_size 0
		.amdhsa_uses_dynamic_stack 0
		.amdhsa_system_sgpr_private_segment_wavefront_offset 0
		.amdhsa_system_sgpr_workgroup_id_x 1
		.amdhsa_system_sgpr_workgroup_id_y 0
		.amdhsa_system_sgpr_workgroup_id_z 0
		.amdhsa_system_sgpr_workgroup_info 0
		.amdhsa_system_vgpr_workitem_id 0
		.amdhsa_next_free_vgpr 86
		.amdhsa_next_free_sgpr 96
		.amdhsa_accum_offset 88
		.amdhsa_reserve_vcc 1
		.amdhsa_reserve_flat_scratch 0
		.amdhsa_float_round_mode_32 0
		.amdhsa_float_round_mode_16_64 0
		.amdhsa_float_denorm_mode_32 3
		.amdhsa_float_denorm_mode_16_64 3
		.amdhsa_dx10_clamp 1
		.amdhsa_ieee_mode 1
		.amdhsa_fp16_overflow 0
		.amdhsa_tg_split 0
		.amdhsa_exception_fp_ieee_invalid_op 0
		.amdhsa_exception_fp_denorm_src 0
		.amdhsa_exception_fp_ieee_div_zero 0
		.amdhsa_exception_fp_ieee_overflow 0
		.amdhsa_exception_fp_ieee_underflow 0
		.amdhsa_exception_fp_ieee_inexact 0
		.amdhsa_exception_int_div_zero 0
	.end_amdhsa_kernel
	.section	.text._ZN9rocsparseL31bsrgemm_block_per_row_multipassILj256ELj2ELj32ElldEEv20rocsparse_direction_T3_S2_PKS2_S4_NS_24const_host_device_scalarIT4_EEPKT2_S4_PKS6_SA_S4_SC_S7_SA_S4_SC_SA_PS2_PS6_PS8_21rocsparse_index_base_SG_SG_SG_bbb,"axG",@progbits,_ZN9rocsparseL31bsrgemm_block_per_row_multipassILj256ELj2ELj32ElldEEv20rocsparse_direction_T3_S2_PKS2_S4_NS_24const_host_device_scalarIT4_EEPKT2_S4_PKS6_SA_S4_SC_S7_SA_S4_SC_SA_PS2_PS6_PS8_21rocsparse_index_base_SG_SG_SG_bbb,comdat
.Lfunc_end124:
	.size	_ZN9rocsparseL31bsrgemm_block_per_row_multipassILj256ELj2ELj32ElldEEv20rocsparse_direction_T3_S2_PKS2_S4_NS_24const_host_device_scalarIT4_EEPKT2_S4_PKS6_SA_S4_SC_S7_SA_S4_SC_SA_PS2_PS6_PS8_21rocsparse_index_base_SG_SG_SG_bbb, .Lfunc_end124-_ZN9rocsparseL31bsrgemm_block_per_row_multipassILj256ELj2ELj32ElldEEv20rocsparse_direction_T3_S2_PKS2_S4_NS_24const_host_device_scalarIT4_EEPKT2_S4_PKS6_SA_S4_SC_S7_SA_S4_SC_SA_PS2_PS6_PS8_21rocsparse_index_base_SG_SG_SG_bbb
                                        ; -- End function
	.section	.AMDGPU.csdata,"",@progbits
; Kernel info:
; codeLenInByte = 5248
; NumSgprs: 100
; NumVgprs: 86
; NumAgprs: 0
; TotalNumVgprs: 86
; ScratchSize: 0
; MemoryBound: 1
; FloatMode: 240
; IeeeMode: 1
; LDSByteSize: 16392 bytes/workgroup (compile time only)
; SGPRBlocks: 12
; VGPRBlocks: 10
; NumSGPRsForWavesPerEU: 100
; NumVGPRsForWavesPerEU: 86
; AccumOffset: 88
; Occupancy: 3
; WaveLimiterHint : 1
; COMPUTE_PGM_RSRC2:SCRATCH_EN: 0
; COMPUTE_PGM_RSRC2:USER_SGPR: 6
; COMPUTE_PGM_RSRC2:TRAP_HANDLER: 0
; COMPUTE_PGM_RSRC2:TGID_X_EN: 1
; COMPUTE_PGM_RSRC2:TGID_Y_EN: 0
; COMPUTE_PGM_RSRC2:TGID_Z_EN: 0
; COMPUTE_PGM_RSRC2:TIDIG_COMP_CNT: 0
; COMPUTE_PGM_RSRC3_GFX90A:ACCUM_OFFSET: 21
; COMPUTE_PGM_RSRC3_GFX90A:TG_SPLIT: 0
	.section	.text._ZN9rocsparseL26bsrgemm_group_reduce_part2ILj256ELj8ELj2E21rocsparse_complex_numIfEllEEvT4_PKT3_PS3_Pi,"axG",@progbits,_ZN9rocsparseL26bsrgemm_group_reduce_part2ILj256ELj8ELj2E21rocsparse_complex_numIfEllEEvT4_PKT3_PS3_Pi,comdat
	.globl	_ZN9rocsparseL26bsrgemm_group_reduce_part2ILj256ELj8ELj2E21rocsparse_complex_numIfEllEEvT4_PKT3_PS3_Pi ; -- Begin function _ZN9rocsparseL26bsrgemm_group_reduce_part2ILj256ELj8ELj2E21rocsparse_complex_numIfEllEEvT4_PKT3_PS3_Pi
	.p2align	8
	.type	_ZN9rocsparseL26bsrgemm_group_reduce_part2ILj256ELj8ELj2E21rocsparse_complex_numIfEllEEvT4_PKT3_PS3_Pi,@function
_ZN9rocsparseL26bsrgemm_group_reduce_part2ILj256ELj8ELj2E21rocsparse_complex_numIfEllEEvT4_PKT3_PS3_Pi: ; @_ZN9rocsparseL26bsrgemm_group_reduce_part2ILj256ELj8ELj2E21rocsparse_complex_numIfEllEEvT4_PKT3_PS3_Pi
; %bb.0:
	s_load_dwordx2 s[10:11], s[4:5], 0x0
	s_load_dwordx2 s[8:9], s[4:5], 0x10
	s_mov_b32 s1, 0
	s_mov_b32 s2, s1
	s_mov_b32 s3, s1
	v_lshl_or_b32 v2, s6, 8, v0
	s_mov_b32 s0, s1
	v_pk_mov_b32 v[6:7], s[2:3], s[2:3] op_sel:[0,1]
	v_mov_b32_e32 v3, 0
	v_lshlrev_b32_e32 v1, 6, v0
	v_pk_mov_b32 v[4:5], s[0:1], s[0:1] op_sel:[0,1]
	s_waitcnt lgkmcnt(0)
	v_cmp_gt_i64_e32 vcc, s[10:11], v[2:3]
	ds_write_b128 v1, v[4:7]
	ds_write_b128 v1, v[4:7] offset:16
	ds_write_b128 v1, v[4:7] offset:32
	;; [unrolled: 1-line block ×3, first 2 shown]
	s_waitcnt lgkmcnt(0)
	s_and_saveexec_b64 s[2:3], vcc
	s_cbranch_execz .LBB125_31
; %bb.1:
	s_load_dword s0, s[4:5], 0x20
	s_load_dwordx2 s[12:13], s[4:5], 0x18
	s_load_dwordx2 s[14:15], s[4:5], 0x8
	v_lshlrev_b64 v[4:5], 2, v[2:3]
	s_mov_b64 s[16:17], 0x80
	s_waitcnt lgkmcnt(0)
	s_lshl_b32 s0, s0, 8
	v_mov_b32_e32 v6, s13
	v_add_co_u32_e32 v4, vcc, s12, v4
	v_addc_co_u32_e32 v5, vcc, v6, v5, vcc
	v_lshlrev_b64 v[6:7], 3, v[2:3]
	s_lshl_b64 s[4:5], s[0:1], 2
	v_mov_b32_e32 v8, s15
	v_add_co_u32_e32 v6, vcc, s14, v6
	s_lshl_b64 s[12:13], s[0:1], 3
	v_addc_co_u32_e32 v7, vcc, v8, v7, vcc
	s_mov_b64 s[14:15], 0
	s_mov_b64 s[18:19], 0x100
	;; [unrolled: 1-line block ×3, first 2 shown]
	v_mov_b32_e32 v12, 7
	v_mov_b32_e32 v13, 6
	v_mov_b32_e32 v14, 5
	v_mov_b32_e32 v15, 4
	v_mov_b32_e32 v16, 3
	v_mov_b32_e32 v17, 2
	v_mov_b32_e32 v18, 1
	v_mov_b32_e32 v19, s1
	v_mov_b32_e32 v20, s5
	v_mov_b32_e32 v21, s13
	v_pk_mov_b32 v[8:9], v[2:3], v[2:3] op_sel:[0,1]
	s_branch .LBB125_3
.LBB125_2:                              ;   in Loop: Header=BB125_3 Depth=1
	s_or_b64 exec, exec, s[22:23]
	v_add_co_u32_e32 v8, vcc, s0, v8
	v_addc_co_u32_e32 v9, vcc, v9, v19, vcc
	v_add_co_u32_e32 v4, vcc, s4, v4
	v_addc_co_u32_e32 v5, vcc, v5, v20, vcc
	v_cmp_le_i64_e32 vcc, s[10:11], v[8:9]
	s_or_b64 s[14:15], vcc, s[14:15]
	v_add_co_u32_e32 v6, vcc, s12, v6
	v_addc_co_u32_e32 v7, vcc, v7, v21, vcc
	s_andn2_b64 exec, exec, s[14:15]
	s_cbranch_execz .LBB125_31
.LBB125_3:                              ; =>This Inner Loop Header: Depth=1
	global_load_dwordx4 v[22:25], v[6:7], off
	s_waitcnt vmcnt(0)
	v_sub_co_u32_e32 v10, vcc, v24, v22
	v_subb_co_u32_e32 v11, vcc, v25, v23, vcc
	v_cmp_lt_i64_e32 vcc, 8, v[10:11]
	s_and_saveexec_b64 s[22:23], vcc
	s_xor_b64 s[22:23], exec, s[22:23]
	s_cbranch_execz .LBB125_29
; %bb.4:                                ;   in Loop: Header=BB125_3 Depth=1
	v_cmp_lt_u64_e32 vcc, 16, v[10:11]
	s_and_saveexec_b64 s[24:25], vcc
	s_xor_b64 s[24:25], exec, s[24:25]
	s_cbranch_execz .LBB125_26
; %bb.5:                                ;   in Loop: Header=BB125_3 Depth=1
	v_cmp_lt_u64_e32 vcc, 32, v[10:11]
	;; [unrolled: 5-line block ×6, first 2 shown]
	s_and_saveexec_b64 s[36:37], vcc
	s_xor_b64 s[36:37], exec, s[36:37]
	s_cbranch_execz .LBB125_11
; %bb.10:                               ;   in Loop: Header=BB125_3 Depth=1
	ds_read_b64 v[10:11], v1 offset:56
	global_store_dword v[4:5], v12, off
	s_waitcnt lgkmcnt(0)
	v_add_co_u32_e32 v10, vcc, 1, v10
	v_addc_co_u32_e32 v11, vcc, 0, v11, vcc
	ds_write_b64 v1, v[10:11] offset:56
.LBB125_11:                             ;   in Loop: Header=BB125_3 Depth=1
	s_andn2_saveexec_b64 s[36:37], s[36:37]
	s_cbranch_execz .LBB125_13
; %bb.12:                               ;   in Loop: Header=BB125_3 Depth=1
	ds_read_b64 v[10:11], v1 offset:48
	global_store_dword v[4:5], v13, off
	s_waitcnt lgkmcnt(0)
	v_add_co_u32_e32 v10, vcc, 1, v10
	v_addc_co_u32_e32 v11, vcc, 0, v11, vcc
	ds_write_b64 v1, v[10:11] offset:48
.LBB125_13:                             ;   in Loop: Header=BB125_3 Depth=1
	s_or_b64 exec, exec, s[36:37]
.LBB125_14:                             ;   in Loop: Header=BB125_3 Depth=1
	s_andn2_saveexec_b64 s[34:35], s[34:35]
	s_cbranch_execz .LBB125_16
; %bb.15:                               ;   in Loop: Header=BB125_3 Depth=1
	ds_read_b64 v[10:11], v1 offset:40
	global_store_dword v[4:5], v14, off
	s_waitcnt lgkmcnt(0)
	v_add_co_u32_e32 v10, vcc, 1, v10
	v_addc_co_u32_e32 v11, vcc, 0, v11, vcc
	ds_write_b64 v1, v[10:11] offset:40
.LBB125_16:                             ;   in Loop: Header=BB125_3 Depth=1
	s_or_b64 exec, exec, s[34:35]
.LBB125_17:                             ;   in Loop: Header=BB125_3 Depth=1
	s_andn2_saveexec_b64 s[30:31], s[30:31]
	s_cbranch_execz .LBB125_19
; %bb.18:                               ;   in Loop: Header=BB125_3 Depth=1
	ds_read_b64 v[10:11], v1 offset:32
	global_store_dword v[4:5], v15, off
	s_waitcnt lgkmcnt(0)
	v_add_co_u32_e32 v10, vcc, 1, v10
	v_addc_co_u32_e32 v11, vcc, 0, v11, vcc
	ds_write_b64 v1, v[10:11] offset:32
.LBB125_19:                             ;   in Loop: Header=BB125_3 Depth=1
	s_or_b64 exec, exec, s[30:31]
.LBB125_20:                             ;   in Loop: Header=BB125_3 Depth=1
	s_andn2_saveexec_b64 s[28:29], s[28:29]
	s_cbranch_execz .LBB125_22
; %bb.21:                               ;   in Loop: Header=BB125_3 Depth=1
	ds_read_b64 v[10:11], v1 offset:24
	global_store_dword v[4:5], v16, off
	s_waitcnt lgkmcnt(0)
	v_add_co_u32_e32 v10, vcc, 1, v10
	v_addc_co_u32_e32 v11, vcc, 0, v11, vcc
	ds_write_b64 v1, v[10:11] offset:24
.LBB125_22:                             ;   in Loop: Header=BB125_3 Depth=1
	s_or_b64 exec, exec, s[28:29]
.LBB125_23:                             ;   in Loop: Header=BB125_3 Depth=1
	s_andn2_saveexec_b64 s[26:27], s[26:27]
	s_cbranch_execz .LBB125_25
; %bb.24:                               ;   in Loop: Header=BB125_3 Depth=1
	ds_read_b64 v[10:11], v1 offset:16
	global_store_dword v[4:5], v17, off
	s_waitcnt lgkmcnt(0)
	v_add_co_u32_e32 v10, vcc, 1, v10
	v_addc_co_u32_e32 v11, vcc, 0, v11, vcc
	ds_write_b64 v1, v[10:11] offset:16
.LBB125_25:                             ;   in Loop: Header=BB125_3 Depth=1
	s_or_b64 exec, exec, s[26:27]
.LBB125_26:                             ;   in Loop: Header=BB125_3 Depth=1
	s_andn2_saveexec_b64 s[24:25], s[24:25]
	s_cbranch_execz .LBB125_28
; %bb.27:                               ;   in Loop: Header=BB125_3 Depth=1
	ds_read_b64 v[10:11], v1 offset:8
	global_store_dword v[4:5], v18, off
	s_waitcnt lgkmcnt(0)
	v_add_co_u32_e32 v10, vcc, 1, v10
	v_addc_co_u32_e32 v11, vcc, 0, v11, vcc
	ds_write_b64 v1, v[10:11] offset:8
.LBB125_28:                             ;   in Loop: Header=BB125_3 Depth=1
	s_or_b64 exec, exec, s[24:25]
.LBB125_29:                             ;   in Loop: Header=BB125_3 Depth=1
	s_andn2_saveexec_b64 s[22:23], s[22:23]
	s_cbranch_execz .LBB125_2
; %bb.30:                               ;   in Loop: Header=BB125_3 Depth=1
	ds_read_b64 v[10:11], v1
	global_store_dword v[4:5], v3, off
	s_waitcnt lgkmcnt(0)
	v_add_co_u32_e32 v10, vcc, 1, v10
	v_addc_co_u32_e32 v11, vcc, 0, v11, vcc
	ds_write_b64 v1, v[10:11]
	s_branch .LBB125_2
.LBB125_31:
	s_or_b64 exec, exec, s[2:3]
	s_movk_i32 s0, 0x80
	v_cmp_gt_u32_e32 vcc, s0, v0
	s_waitcnt lgkmcnt(0)
	s_barrier
	s_barrier
	;; [unrolled: 1-line block ×3, first 2 shown]
	s_and_saveexec_b64 s[0:1], vcc
	s_cbranch_execz .LBB125_33
; %bb.32:
	ds_read_b128 v[2:5], v1 offset:8192
	ds_read_b128 v[6:9], v1
	ds_read_b128 v[10:13], v1 offset:16
	ds_read_b128 v[14:17], v1 offset:32
	ds_read_b128 v[18:21], v1 offset:48
	ds_read_b128 v[22:25], v1 offset:8208
	s_waitcnt lgkmcnt(4)
	v_add_co_u32_e32 v2, vcc, v6, v2
	v_addc_co_u32_e32 v3, vcc, v7, v3, vcc
	v_add_co_u32_e32 v4, vcc, v8, v4
	v_addc_co_u32_e32 v5, vcc, v9, v5, vcc
	ds_write_b128 v1, v[2:5]
	s_waitcnt lgkmcnt(1)
	v_add_co_u32_e32 v2, vcc, v10, v22
	ds_read_b128 v[6:9], v1 offset:8224
	v_addc_co_u32_e32 v3, vcc, v11, v23, vcc
	v_add_co_u32_e32 v4, vcc, v12, v24
	v_addc_co_u32_e32 v5, vcc, v13, v25, vcc
	ds_write_b128 v1, v[2:5] offset:16
	ds_read_b128 v[2:5], v1 offset:8240
	s_waitcnt lgkmcnt(2)
	v_add_co_u32_e32 v6, vcc, v14, v6
	v_addc_co_u32_e32 v7, vcc, v15, v7, vcc
	v_add_co_u32_e32 v8, vcc, v16, v8
	v_addc_co_u32_e32 v9, vcc, v17, v9, vcc
	s_waitcnt lgkmcnt(0)
	v_add_co_u32_e32 v2, vcc, v18, v2
	v_addc_co_u32_e32 v3, vcc, v19, v3, vcc
	v_add_co_u32_e32 v4, vcc, v20, v4
	v_addc_co_u32_e32 v5, vcc, v21, v5, vcc
	ds_write_b128 v1, v[6:9] offset:32
	ds_write_b128 v1, v[2:5] offset:48
.LBB125_33:
	s_or_b64 exec, exec, s[0:1]
	v_cmp_gt_u32_e32 vcc, 64, v0
	s_waitcnt lgkmcnt(0)
	s_barrier
	s_and_saveexec_b64 s[0:1], vcc
	s_cbranch_execz .LBB125_35
; %bb.34:
	ds_read_b128 v[2:5], v1 offset:4096
	ds_read_b128 v[6:9], v1
	ds_read_b128 v[10:13], v1 offset:16
	ds_read_b128 v[14:17], v1 offset:32
	ds_read_b128 v[18:21], v1 offset:48
	ds_read_b128 v[22:25], v1 offset:4112
	s_waitcnt lgkmcnt(4)
	v_add_co_u32_e32 v2, vcc, v6, v2
	v_addc_co_u32_e32 v3, vcc, v7, v3, vcc
	v_add_co_u32_e32 v4, vcc, v8, v4
	v_addc_co_u32_e32 v5, vcc, v9, v5, vcc
	ds_write_b128 v1, v[2:5]
	s_waitcnt lgkmcnt(1)
	v_add_co_u32_e32 v2, vcc, v10, v22
	ds_read_b128 v[6:9], v1 offset:4128
	v_addc_co_u32_e32 v3, vcc, v11, v23, vcc
	v_add_co_u32_e32 v4, vcc, v12, v24
	v_addc_co_u32_e32 v5, vcc, v13, v25, vcc
	ds_write_b128 v1, v[2:5] offset:16
	ds_read_b128 v[2:5], v1 offset:4144
	s_waitcnt lgkmcnt(2)
	v_add_co_u32_e32 v6, vcc, v14, v6
	v_addc_co_u32_e32 v7, vcc, v15, v7, vcc
	v_add_co_u32_e32 v8, vcc, v16, v8
	v_addc_co_u32_e32 v9, vcc, v17, v9, vcc
	s_waitcnt lgkmcnt(0)
	v_add_co_u32_e32 v2, vcc, v18, v2
	v_addc_co_u32_e32 v3, vcc, v19, v3, vcc
	v_add_co_u32_e32 v4, vcc, v20, v4
	v_addc_co_u32_e32 v5, vcc, v21, v5, vcc
	ds_write_b128 v1, v[6:9] offset:32
	ds_write_b128 v1, v[2:5] offset:48
.LBB125_35:
	s_or_b64 exec, exec, s[0:1]
	v_cmp_gt_u32_e32 vcc, 32, v0
	s_waitcnt lgkmcnt(0)
	s_barrier
	;; [unrolled: 40-line block ×4, first 2 shown]
	s_and_saveexec_b64 s[2:3], vcc
	s_cbranch_execz .LBB125_41
; %bb.40:
	ds_read_b128 v[2:5], v1 offset:512
	ds_read_b128 v[6:9], v1
	ds_read_b128 v[10:13], v1 offset:16
	ds_read_b128 v[14:17], v1 offset:32
	;; [unrolled: 1-line block ×4, first 2 shown]
	s_waitcnt lgkmcnt(4)
	v_add_co_u32_e64 v2, s[0:1], v6, v2
	v_addc_co_u32_e64 v3, s[0:1], v7, v3, s[0:1]
	v_add_co_u32_e64 v4, s[0:1], v8, v4
	v_addc_co_u32_e64 v5, s[0:1], v9, v5, s[0:1]
	ds_write_b128 v1, v[2:5]
	s_waitcnt lgkmcnt(1)
	v_add_co_u32_e64 v2, s[0:1], v10, v22
	ds_read_b128 v[6:9], v1 offset:544
	v_addc_co_u32_e64 v3, s[0:1], v11, v23, s[0:1]
	v_add_co_u32_e64 v4, s[0:1], v12, v24
	v_addc_co_u32_e64 v5, s[0:1], v13, v25, s[0:1]
	ds_write_b128 v1, v[2:5] offset:16
	ds_read_b128 v[2:5], v1 offset:560
	s_waitcnt lgkmcnt(2)
	v_add_co_u32_e64 v6, s[0:1], v14, v6
	v_addc_co_u32_e64 v7, s[0:1], v15, v7, s[0:1]
	v_add_co_u32_e64 v8, s[0:1], v16, v8
	v_addc_co_u32_e64 v9, s[0:1], v17, v9, s[0:1]
	s_waitcnt lgkmcnt(0)
	v_add_co_u32_e64 v2, s[0:1], v18, v2
	v_addc_co_u32_e64 v3, s[0:1], v19, v3, s[0:1]
	v_add_co_u32_e64 v4, s[0:1], v20, v4
	v_addc_co_u32_e64 v5, s[0:1], v21, v5, s[0:1]
	ds_write_b128 v1, v[6:9] offset:32
	ds_write_b128 v1, v[2:5] offset:48
.LBB125_41:
	s_or_b64 exec, exec, s[2:3]
	v_cmp_gt_u32_e64 s[0:1], 4, v0
	s_waitcnt lgkmcnt(0)
	s_barrier
	s_and_saveexec_b64 s[2:3], s[0:1]
	s_cbranch_execz .LBB125_43
; %bb.42:
	ds_read_b128 v[2:5], v1 offset:256
	ds_read_b128 v[6:9], v1
	ds_read_b128 v[10:13], v1 offset:16
	ds_read_b128 v[14:17], v1 offset:32
	;; [unrolled: 1-line block ×4, first 2 shown]
	s_waitcnt lgkmcnt(4)
	v_add_co_u32_e64 v2, s[0:1], v6, v2
	v_addc_co_u32_e64 v3, s[0:1], v7, v3, s[0:1]
	v_add_co_u32_e64 v4, s[0:1], v8, v4
	v_addc_co_u32_e64 v5, s[0:1], v9, v5, s[0:1]
	ds_write_b128 v1, v[2:5]
	s_waitcnt lgkmcnt(1)
	v_add_co_u32_e64 v2, s[0:1], v10, v22
	ds_read_b128 v[6:9], v1 offset:288
	v_addc_co_u32_e64 v3, s[0:1], v11, v23, s[0:1]
	v_add_co_u32_e64 v4, s[0:1], v12, v24
	v_addc_co_u32_e64 v5, s[0:1], v13, v25, s[0:1]
	ds_write_b128 v1, v[2:5] offset:16
	ds_read_b128 v[2:5], v1 offset:304
	s_waitcnt lgkmcnt(2)
	v_add_co_u32_e64 v6, s[0:1], v14, v6
	v_addc_co_u32_e64 v7, s[0:1], v15, v7, s[0:1]
	v_add_co_u32_e64 v8, s[0:1], v16, v8
	v_addc_co_u32_e64 v9, s[0:1], v17, v9, s[0:1]
	s_waitcnt lgkmcnt(0)
	v_add_co_u32_e64 v2, s[0:1], v18, v2
	v_addc_co_u32_e64 v3, s[0:1], v19, v3, s[0:1]
	v_add_co_u32_e64 v4, s[0:1], v20, v4
	v_addc_co_u32_e64 v5, s[0:1], v21, v5, s[0:1]
	ds_write_b128 v1, v[6:9] offset:32
	ds_write_b128 v1, v[2:5] offset:48
.LBB125_43:
	s_or_b64 exec, exec, s[2:3]
	v_cmp_gt_u32_e64 s[0:1], 2, v0
	s_waitcnt lgkmcnt(0)
	s_barrier
	s_and_saveexec_b64 s[2:3], s[0:1]
	s_cbranch_execz .LBB125_45
; %bb.44:
	ds_read_b128 v[2:5], v1 offset:128
	ds_read_b128 v[6:9], v1
	ds_read_b128 v[10:13], v1 offset:16
	ds_read_b128 v[14:17], v1 offset:32
	;; [unrolled: 1-line block ×4, first 2 shown]
	s_waitcnt lgkmcnt(4)
	v_add_co_u32_e64 v2, s[0:1], v6, v2
	v_addc_co_u32_e64 v3, s[0:1], v7, v3, s[0:1]
	v_add_co_u32_e64 v4, s[0:1], v8, v4
	v_addc_co_u32_e64 v5, s[0:1], v9, v5, s[0:1]
	ds_write_b128 v1, v[2:5]
	s_waitcnt lgkmcnt(1)
	v_add_co_u32_e64 v2, s[0:1], v10, v22
	ds_read_b128 v[6:9], v1 offset:160
	v_addc_co_u32_e64 v3, s[0:1], v11, v23, s[0:1]
	v_add_co_u32_e64 v4, s[0:1], v12, v24
	v_addc_co_u32_e64 v5, s[0:1], v13, v25, s[0:1]
	ds_write_b128 v1, v[2:5] offset:16
	ds_read_b128 v[2:5], v1 offset:176
	s_waitcnt lgkmcnt(2)
	v_add_co_u32_e64 v6, s[0:1], v14, v6
	v_addc_co_u32_e64 v7, s[0:1], v15, v7, s[0:1]
	v_add_co_u32_e64 v8, s[0:1], v16, v8
	v_addc_co_u32_e64 v9, s[0:1], v17, v9, s[0:1]
	s_waitcnt lgkmcnt(0)
	v_add_co_u32_e64 v2, s[0:1], v18, v2
	v_addc_co_u32_e64 v3, s[0:1], v19, v3, s[0:1]
	v_add_co_u32_e64 v4, s[0:1], v20, v4
	v_addc_co_u32_e64 v5, s[0:1], v21, v5, s[0:1]
	ds_write_b128 v1, v[6:9] offset:32
	ds_write_b128 v1, v[2:5] offset:48
.LBB125_45:
	s_or_b64 exec, exec, s[2:3]
	v_cmp_eq_u32_e64 s[0:1], 0, v0
	s_waitcnt lgkmcnt(0)
	s_barrier
	s_and_saveexec_b64 s[2:3], s[0:1]
	s_cbranch_execz .LBB125_47
; %bb.46:
	v_mov_b32_e32 v1, 0
	ds_read_b128 v[2:5], v1 offset:64
	ds_read_b128 v[6:9], v1
	ds_read_b128 v[10:13], v1 offset:16
	ds_read_b128 v[14:17], v1 offset:32
	ds_read_b128 v[18:21], v1 offset:48
	ds_read_b128 v[22:25], v1 offset:80
	s_waitcnt lgkmcnt(4)
	v_add_co_u32_e64 v2, s[0:1], v6, v2
	v_addc_co_u32_e64 v3, s[0:1], v7, v3, s[0:1]
	v_add_co_u32_e64 v4, s[0:1], v8, v4
	v_addc_co_u32_e64 v5, s[0:1], v9, v5, s[0:1]
	ds_write_b128 v1, v[2:5]
	s_waitcnt lgkmcnt(1)
	v_add_co_u32_e64 v2, s[0:1], v10, v22
	ds_read_b128 v[6:9], v1 offset:96
	v_addc_co_u32_e64 v3, s[0:1], v11, v23, s[0:1]
	v_add_co_u32_e64 v4, s[0:1], v12, v24
	v_addc_co_u32_e64 v5, s[0:1], v13, v25, s[0:1]
	ds_write_b128 v1, v[2:5] offset:16
	ds_read_b128 v[2:5], v1 offset:112
	s_waitcnt lgkmcnt(2)
	v_add_co_u32_e64 v6, s[0:1], v14, v6
	v_addc_co_u32_e64 v7, s[0:1], v15, v7, s[0:1]
	v_add_co_u32_e64 v8, s[0:1], v16, v8
	v_addc_co_u32_e64 v9, s[0:1], v17, v9, s[0:1]
	s_waitcnt lgkmcnt(0)
	v_add_co_u32_e64 v2, s[0:1], v18, v2
	v_addc_co_u32_e64 v3, s[0:1], v19, v3, s[0:1]
	v_add_co_u32_e64 v4, s[0:1], v20, v4
	v_addc_co_u32_e64 v5, s[0:1], v21, v5, s[0:1]
	ds_write_b128 v1, v[6:9] offset:32
	ds_write_b128 v1, v[2:5] offset:48
.LBB125_47:
	s_or_b64 exec, exec, s[2:3]
	s_waitcnt lgkmcnt(0)
	s_barrier
	s_and_saveexec_b64 s[0:1], vcc
	s_cbranch_execz .LBB125_49
; %bb.48:
	v_lshl_or_b32 v2, s6, 3, v0
	v_lshlrev_b32_e32 v0, 3, v0
	ds_read_b64 v[0:1], v0
	v_mov_b32_e32 v3, 0
	v_lshlrev_b64 v[2:3], 3, v[2:3]
	v_mov_b32_e32 v4, s9
	v_add_co_u32_e32 v2, vcc, s8, v2
	v_addc_co_u32_e32 v3, vcc, v4, v3, vcc
	s_waitcnt lgkmcnt(0)
	global_store_dwordx2 v[2:3], v[0:1], off
.LBB125_49:
	s_endpgm
	.section	.rodata,"a",@progbits
	.p2align	6, 0x0
	.amdhsa_kernel _ZN9rocsparseL26bsrgemm_group_reduce_part2ILj256ELj8ELj2E21rocsparse_complex_numIfEllEEvT4_PKT3_PS3_Pi
		.amdhsa_group_segment_fixed_size 16384
		.amdhsa_private_segment_fixed_size 0
		.amdhsa_kernarg_size 288
		.amdhsa_user_sgpr_count 6
		.amdhsa_user_sgpr_private_segment_buffer 1
		.amdhsa_user_sgpr_dispatch_ptr 0
		.amdhsa_user_sgpr_queue_ptr 0
		.amdhsa_user_sgpr_kernarg_segment_ptr 1
		.amdhsa_user_sgpr_dispatch_id 0
		.amdhsa_user_sgpr_flat_scratch_init 0
		.amdhsa_user_sgpr_kernarg_preload_length 0
		.amdhsa_user_sgpr_kernarg_preload_offset 0
		.amdhsa_user_sgpr_private_segment_size 0
		.amdhsa_uses_dynamic_stack 0
		.amdhsa_system_sgpr_private_segment_wavefront_offset 0
		.amdhsa_system_sgpr_workgroup_id_x 1
		.amdhsa_system_sgpr_workgroup_id_y 0
		.amdhsa_system_sgpr_workgroup_id_z 0
		.amdhsa_system_sgpr_workgroup_info 0
		.amdhsa_system_vgpr_workitem_id 0
		.amdhsa_next_free_vgpr 26
		.amdhsa_next_free_sgpr 38
		.amdhsa_accum_offset 28
		.amdhsa_reserve_vcc 1
		.amdhsa_reserve_flat_scratch 0
		.amdhsa_float_round_mode_32 0
		.amdhsa_float_round_mode_16_64 0
		.amdhsa_float_denorm_mode_32 3
		.amdhsa_float_denorm_mode_16_64 3
		.amdhsa_dx10_clamp 1
		.amdhsa_ieee_mode 1
		.amdhsa_fp16_overflow 0
		.amdhsa_tg_split 0
		.amdhsa_exception_fp_ieee_invalid_op 0
		.amdhsa_exception_fp_denorm_src 0
		.amdhsa_exception_fp_ieee_div_zero 0
		.amdhsa_exception_fp_ieee_overflow 0
		.amdhsa_exception_fp_ieee_underflow 0
		.amdhsa_exception_fp_ieee_inexact 0
		.amdhsa_exception_int_div_zero 0
	.end_amdhsa_kernel
	.section	.text._ZN9rocsparseL26bsrgemm_group_reduce_part2ILj256ELj8ELj2E21rocsparse_complex_numIfEllEEvT4_PKT3_PS3_Pi,"axG",@progbits,_ZN9rocsparseL26bsrgemm_group_reduce_part2ILj256ELj8ELj2E21rocsparse_complex_numIfEllEEvT4_PKT3_PS3_Pi,comdat
.Lfunc_end125:
	.size	_ZN9rocsparseL26bsrgemm_group_reduce_part2ILj256ELj8ELj2E21rocsparse_complex_numIfEllEEvT4_PKT3_PS3_Pi, .Lfunc_end125-_ZN9rocsparseL26bsrgemm_group_reduce_part2ILj256ELj8ELj2E21rocsparse_complex_numIfEllEEvT4_PKT3_PS3_Pi
                                        ; -- End function
	.section	.AMDGPU.csdata,"",@progbits
; Kernel info:
; codeLenInByte = 2788
; NumSgprs: 42
; NumVgprs: 26
; NumAgprs: 0
; TotalNumVgprs: 26
; ScratchSize: 0
; MemoryBound: 0
; FloatMode: 240
; IeeeMode: 1
; LDSByteSize: 16384 bytes/workgroup (compile time only)
; SGPRBlocks: 5
; VGPRBlocks: 3
; NumSGPRsForWavesPerEU: 42
; NumVGPRsForWavesPerEU: 26
; AccumOffset: 28
; Occupancy: 4
; WaveLimiterHint : 0
; COMPUTE_PGM_RSRC2:SCRATCH_EN: 0
; COMPUTE_PGM_RSRC2:USER_SGPR: 6
; COMPUTE_PGM_RSRC2:TRAP_HANDLER: 0
; COMPUTE_PGM_RSRC2:TGID_X_EN: 1
; COMPUTE_PGM_RSRC2:TGID_Y_EN: 0
; COMPUTE_PGM_RSRC2:TGID_Z_EN: 0
; COMPUTE_PGM_RSRC2:TIDIG_COMP_CNT: 0
; COMPUTE_PGM_RSRC3_GFX90A:ACCUM_OFFSET: 6
; COMPUTE_PGM_RSRC3_GFX90A:TG_SPLIT: 0
	.section	.text._ZN9rocsparseL26bsrgemm_group_reduce_part2ILj256ELj8ELj8E21rocsparse_complex_numIfEllEEvT4_PKT3_PS3_Pi,"axG",@progbits,_ZN9rocsparseL26bsrgemm_group_reduce_part2ILj256ELj8ELj8E21rocsparse_complex_numIfEllEEvT4_PKT3_PS3_Pi,comdat
	.globl	_ZN9rocsparseL26bsrgemm_group_reduce_part2ILj256ELj8ELj8E21rocsparse_complex_numIfEllEEvT4_PKT3_PS3_Pi ; -- Begin function _ZN9rocsparseL26bsrgemm_group_reduce_part2ILj256ELj8ELj8E21rocsparse_complex_numIfEllEEvT4_PKT3_PS3_Pi
	.p2align	8
	.type	_ZN9rocsparseL26bsrgemm_group_reduce_part2ILj256ELj8ELj8E21rocsparse_complex_numIfEllEEvT4_PKT3_PS3_Pi,@function
_ZN9rocsparseL26bsrgemm_group_reduce_part2ILj256ELj8ELj8E21rocsparse_complex_numIfEllEEvT4_PKT3_PS3_Pi: ; @_ZN9rocsparseL26bsrgemm_group_reduce_part2ILj256ELj8ELj8E21rocsparse_complex_numIfEllEEvT4_PKT3_PS3_Pi
; %bb.0:
	s_load_dwordx2 s[10:11], s[4:5], 0x0
	s_load_dwordx2 s[8:9], s[4:5], 0x10
	s_mov_b32 s1, 0
	s_mov_b32 s2, s1
	;; [unrolled: 1-line block ×3, first 2 shown]
	v_lshl_or_b32 v2, s6, 8, v0
	s_mov_b32 s0, s1
	v_pk_mov_b32 v[6:7], s[2:3], s[2:3] op_sel:[0,1]
	v_mov_b32_e32 v3, 0
	v_lshlrev_b32_e32 v1, 6, v0
	v_pk_mov_b32 v[4:5], s[0:1], s[0:1] op_sel:[0,1]
	s_waitcnt lgkmcnt(0)
	v_cmp_gt_i64_e32 vcc, s[10:11], v[2:3]
	ds_write_b128 v1, v[4:7]
	ds_write_b128 v1, v[4:7] offset:16
	ds_write_b128 v1, v[4:7] offset:32
	;; [unrolled: 1-line block ×3, first 2 shown]
	s_waitcnt lgkmcnt(0)
	s_and_saveexec_b64 s[2:3], vcc
	s_cbranch_execz .LBB126_31
; %bb.1:
	s_load_dword s0, s[4:5], 0x20
	s_load_dwordx2 s[12:13], s[4:5], 0x18
	s_load_dwordx2 s[14:15], s[4:5], 0x8
	v_lshlrev_b64 v[4:5], 2, v[2:3]
	s_mov_b64 s[16:17], 0x80
	s_waitcnt lgkmcnt(0)
	s_lshl_b32 s0, s0, 8
	v_mov_b32_e32 v6, s13
	v_add_co_u32_e32 v4, vcc, s12, v4
	v_addc_co_u32_e32 v5, vcc, v6, v5, vcc
	v_lshlrev_b64 v[6:7], 3, v[2:3]
	s_lshl_b64 s[4:5], s[0:1], 2
	v_mov_b32_e32 v8, s15
	v_add_co_u32_e32 v6, vcc, s14, v6
	s_lshl_b64 s[12:13], s[0:1], 3
	v_addc_co_u32_e32 v7, vcc, v8, v7, vcc
	s_mov_b64 s[14:15], 0
	s_mov_b64 s[18:19], 0x100
	;; [unrolled: 1-line block ×3, first 2 shown]
	v_mov_b32_e32 v12, 7
	v_mov_b32_e32 v13, 6
	;; [unrolled: 1-line block ×10, first 2 shown]
	v_pk_mov_b32 v[8:9], v[2:3], v[2:3] op_sel:[0,1]
	s_branch .LBB126_3
.LBB126_2:                              ;   in Loop: Header=BB126_3 Depth=1
	s_or_b64 exec, exec, s[22:23]
	v_add_co_u32_e32 v8, vcc, s0, v8
	v_addc_co_u32_e32 v9, vcc, v9, v19, vcc
	v_add_co_u32_e32 v4, vcc, s4, v4
	v_addc_co_u32_e32 v5, vcc, v5, v20, vcc
	v_cmp_le_i64_e32 vcc, s[10:11], v[8:9]
	s_or_b64 s[14:15], vcc, s[14:15]
	v_add_co_u32_e32 v6, vcc, s12, v6
	v_addc_co_u32_e32 v7, vcc, v7, v21, vcc
	s_andn2_b64 exec, exec, s[14:15]
	s_cbranch_execz .LBB126_31
.LBB126_3:                              ; =>This Inner Loop Header: Depth=1
	global_load_dwordx4 v[22:25], v[6:7], off
	s_waitcnt vmcnt(0)
	v_sub_co_u32_e32 v10, vcc, v24, v22
	v_subb_co_u32_e32 v11, vcc, v25, v23, vcc
	v_cmp_lt_i64_e32 vcc, 8, v[10:11]
	s_and_saveexec_b64 s[22:23], vcc
	s_xor_b64 s[22:23], exec, s[22:23]
	s_cbranch_execz .LBB126_29
; %bb.4:                                ;   in Loop: Header=BB126_3 Depth=1
	v_cmp_lt_u64_e32 vcc, 16, v[10:11]
	s_and_saveexec_b64 s[24:25], vcc
	s_xor_b64 s[24:25], exec, s[24:25]
	s_cbranch_execz .LBB126_26
; %bb.5:                                ;   in Loop: Header=BB126_3 Depth=1
	v_cmp_lt_u64_e32 vcc, 32, v[10:11]
	;; [unrolled: 5-line block ×6, first 2 shown]
	s_and_saveexec_b64 s[36:37], vcc
	s_xor_b64 s[36:37], exec, s[36:37]
	s_cbranch_execz .LBB126_11
; %bb.10:                               ;   in Loop: Header=BB126_3 Depth=1
	ds_read_b64 v[10:11], v1 offset:56
	global_store_dword v[4:5], v12, off
	s_waitcnt lgkmcnt(0)
	v_add_co_u32_e32 v10, vcc, 1, v10
	v_addc_co_u32_e32 v11, vcc, 0, v11, vcc
	ds_write_b64 v1, v[10:11] offset:56
.LBB126_11:                             ;   in Loop: Header=BB126_3 Depth=1
	s_andn2_saveexec_b64 s[36:37], s[36:37]
	s_cbranch_execz .LBB126_13
; %bb.12:                               ;   in Loop: Header=BB126_3 Depth=1
	ds_read_b64 v[10:11], v1 offset:48
	global_store_dword v[4:5], v13, off
	s_waitcnt lgkmcnt(0)
	v_add_co_u32_e32 v10, vcc, 1, v10
	v_addc_co_u32_e32 v11, vcc, 0, v11, vcc
	ds_write_b64 v1, v[10:11] offset:48
.LBB126_13:                             ;   in Loop: Header=BB126_3 Depth=1
	s_or_b64 exec, exec, s[36:37]
.LBB126_14:                             ;   in Loop: Header=BB126_3 Depth=1
	s_andn2_saveexec_b64 s[34:35], s[34:35]
	s_cbranch_execz .LBB126_16
; %bb.15:                               ;   in Loop: Header=BB126_3 Depth=1
	ds_read_b64 v[10:11], v1 offset:40
	global_store_dword v[4:5], v14, off
	s_waitcnt lgkmcnt(0)
	v_add_co_u32_e32 v10, vcc, 1, v10
	v_addc_co_u32_e32 v11, vcc, 0, v11, vcc
	ds_write_b64 v1, v[10:11] offset:40
.LBB126_16:                             ;   in Loop: Header=BB126_3 Depth=1
	s_or_b64 exec, exec, s[34:35]
.LBB126_17:                             ;   in Loop: Header=BB126_3 Depth=1
	s_andn2_saveexec_b64 s[30:31], s[30:31]
	s_cbranch_execz .LBB126_19
; %bb.18:                               ;   in Loop: Header=BB126_3 Depth=1
	ds_read_b64 v[10:11], v1 offset:32
	global_store_dword v[4:5], v15, off
	s_waitcnt lgkmcnt(0)
	v_add_co_u32_e32 v10, vcc, 1, v10
	v_addc_co_u32_e32 v11, vcc, 0, v11, vcc
	ds_write_b64 v1, v[10:11] offset:32
.LBB126_19:                             ;   in Loop: Header=BB126_3 Depth=1
	s_or_b64 exec, exec, s[30:31]
.LBB126_20:                             ;   in Loop: Header=BB126_3 Depth=1
	s_andn2_saveexec_b64 s[28:29], s[28:29]
	s_cbranch_execz .LBB126_22
; %bb.21:                               ;   in Loop: Header=BB126_3 Depth=1
	ds_read_b64 v[10:11], v1 offset:24
	global_store_dword v[4:5], v16, off
	s_waitcnt lgkmcnt(0)
	v_add_co_u32_e32 v10, vcc, 1, v10
	v_addc_co_u32_e32 v11, vcc, 0, v11, vcc
	ds_write_b64 v1, v[10:11] offset:24
.LBB126_22:                             ;   in Loop: Header=BB126_3 Depth=1
	s_or_b64 exec, exec, s[28:29]
.LBB126_23:                             ;   in Loop: Header=BB126_3 Depth=1
	s_andn2_saveexec_b64 s[26:27], s[26:27]
	s_cbranch_execz .LBB126_25
; %bb.24:                               ;   in Loop: Header=BB126_3 Depth=1
	ds_read_b64 v[10:11], v1 offset:16
	global_store_dword v[4:5], v17, off
	s_waitcnt lgkmcnt(0)
	v_add_co_u32_e32 v10, vcc, 1, v10
	v_addc_co_u32_e32 v11, vcc, 0, v11, vcc
	ds_write_b64 v1, v[10:11] offset:16
.LBB126_25:                             ;   in Loop: Header=BB126_3 Depth=1
	s_or_b64 exec, exec, s[26:27]
.LBB126_26:                             ;   in Loop: Header=BB126_3 Depth=1
	s_andn2_saveexec_b64 s[24:25], s[24:25]
	s_cbranch_execz .LBB126_28
; %bb.27:                               ;   in Loop: Header=BB126_3 Depth=1
	ds_read_b64 v[10:11], v1 offset:8
	global_store_dword v[4:5], v18, off
	s_waitcnt lgkmcnt(0)
	v_add_co_u32_e32 v10, vcc, 1, v10
	v_addc_co_u32_e32 v11, vcc, 0, v11, vcc
	ds_write_b64 v1, v[10:11] offset:8
.LBB126_28:                             ;   in Loop: Header=BB126_3 Depth=1
	s_or_b64 exec, exec, s[24:25]
.LBB126_29:                             ;   in Loop: Header=BB126_3 Depth=1
	s_andn2_saveexec_b64 s[22:23], s[22:23]
	s_cbranch_execz .LBB126_2
; %bb.30:                               ;   in Loop: Header=BB126_3 Depth=1
	ds_read_b64 v[10:11], v1
	global_store_dword v[4:5], v3, off
	s_waitcnt lgkmcnt(0)
	v_add_co_u32_e32 v10, vcc, 1, v10
	v_addc_co_u32_e32 v11, vcc, 0, v11, vcc
	ds_write_b64 v1, v[10:11]
	s_branch .LBB126_2
.LBB126_31:
	s_or_b64 exec, exec, s[2:3]
	s_movk_i32 s0, 0x80
	v_cmp_gt_u32_e32 vcc, s0, v0
	s_waitcnt lgkmcnt(0)
	s_barrier
	s_barrier
	;; [unrolled: 1-line block ×3, first 2 shown]
	s_and_saveexec_b64 s[0:1], vcc
	s_cbranch_execz .LBB126_33
; %bb.32:
	ds_read_b128 v[2:5], v1 offset:8192
	ds_read_b128 v[6:9], v1
	ds_read_b128 v[10:13], v1 offset:16
	ds_read_b128 v[14:17], v1 offset:32
	ds_read_b128 v[18:21], v1 offset:48
	ds_read_b128 v[22:25], v1 offset:8208
	s_waitcnt lgkmcnt(4)
	v_add_co_u32_e32 v2, vcc, v6, v2
	v_addc_co_u32_e32 v3, vcc, v7, v3, vcc
	v_add_co_u32_e32 v4, vcc, v8, v4
	v_addc_co_u32_e32 v5, vcc, v9, v5, vcc
	ds_write_b128 v1, v[2:5]
	s_waitcnt lgkmcnt(1)
	v_add_co_u32_e32 v2, vcc, v10, v22
	ds_read_b128 v[6:9], v1 offset:8224
	v_addc_co_u32_e32 v3, vcc, v11, v23, vcc
	v_add_co_u32_e32 v4, vcc, v12, v24
	v_addc_co_u32_e32 v5, vcc, v13, v25, vcc
	ds_write_b128 v1, v[2:5] offset:16
	ds_read_b128 v[2:5], v1 offset:8240
	s_waitcnt lgkmcnt(2)
	v_add_co_u32_e32 v6, vcc, v14, v6
	v_addc_co_u32_e32 v7, vcc, v15, v7, vcc
	v_add_co_u32_e32 v8, vcc, v16, v8
	v_addc_co_u32_e32 v9, vcc, v17, v9, vcc
	s_waitcnt lgkmcnt(0)
	v_add_co_u32_e32 v2, vcc, v18, v2
	v_addc_co_u32_e32 v3, vcc, v19, v3, vcc
	v_add_co_u32_e32 v4, vcc, v20, v4
	v_addc_co_u32_e32 v5, vcc, v21, v5, vcc
	ds_write_b128 v1, v[6:9] offset:32
	ds_write_b128 v1, v[2:5] offset:48
.LBB126_33:
	s_or_b64 exec, exec, s[0:1]
	v_cmp_gt_u32_e32 vcc, 64, v0
	s_waitcnt lgkmcnt(0)
	s_barrier
	s_and_saveexec_b64 s[0:1], vcc
	s_cbranch_execz .LBB126_35
; %bb.34:
	ds_read_b128 v[2:5], v1 offset:4096
	ds_read_b128 v[6:9], v1
	ds_read_b128 v[10:13], v1 offset:16
	ds_read_b128 v[14:17], v1 offset:32
	ds_read_b128 v[18:21], v1 offset:48
	ds_read_b128 v[22:25], v1 offset:4112
	s_waitcnt lgkmcnt(4)
	v_add_co_u32_e32 v2, vcc, v6, v2
	v_addc_co_u32_e32 v3, vcc, v7, v3, vcc
	v_add_co_u32_e32 v4, vcc, v8, v4
	v_addc_co_u32_e32 v5, vcc, v9, v5, vcc
	ds_write_b128 v1, v[2:5]
	s_waitcnt lgkmcnt(1)
	v_add_co_u32_e32 v2, vcc, v10, v22
	ds_read_b128 v[6:9], v1 offset:4128
	v_addc_co_u32_e32 v3, vcc, v11, v23, vcc
	v_add_co_u32_e32 v4, vcc, v12, v24
	v_addc_co_u32_e32 v5, vcc, v13, v25, vcc
	ds_write_b128 v1, v[2:5] offset:16
	ds_read_b128 v[2:5], v1 offset:4144
	s_waitcnt lgkmcnt(2)
	v_add_co_u32_e32 v6, vcc, v14, v6
	v_addc_co_u32_e32 v7, vcc, v15, v7, vcc
	v_add_co_u32_e32 v8, vcc, v16, v8
	v_addc_co_u32_e32 v9, vcc, v17, v9, vcc
	s_waitcnt lgkmcnt(0)
	v_add_co_u32_e32 v2, vcc, v18, v2
	v_addc_co_u32_e32 v3, vcc, v19, v3, vcc
	v_add_co_u32_e32 v4, vcc, v20, v4
	v_addc_co_u32_e32 v5, vcc, v21, v5, vcc
	ds_write_b128 v1, v[6:9] offset:32
	ds_write_b128 v1, v[2:5] offset:48
.LBB126_35:
	s_or_b64 exec, exec, s[0:1]
	v_cmp_gt_u32_e32 vcc, 32, v0
	s_waitcnt lgkmcnt(0)
	s_barrier
	;; [unrolled: 40-line block ×4, first 2 shown]
	s_and_saveexec_b64 s[2:3], vcc
	s_cbranch_execz .LBB126_41
; %bb.40:
	ds_read_b128 v[2:5], v1 offset:512
	ds_read_b128 v[6:9], v1
	ds_read_b128 v[10:13], v1 offset:16
	ds_read_b128 v[14:17], v1 offset:32
	;; [unrolled: 1-line block ×4, first 2 shown]
	s_waitcnt lgkmcnt(4)
	v_add_co_u32_e64 v2, s[0:1], v6, v2
	v_addc_co_u32_e64 v3, s[0:1], v7, v3, s[0:1]
	v_add_co_u32_e64 v4, s[0:1], v8, v4
	v_addc_co_u32_e64 v5, s[0:1], v9, v5, s[0:1]
	ds_write_b128 v1, v[2:5]
	s_waitcnt lgkmcnt(1)
	v_add_co_u32_e64 v2, s[0:1], v10, v22
	ds_read_b128 v[6:9], v1 offset:544
	v_addc_co_u32_e64 v3, s[0:1], v11, v23, s[0:1]
	v_add_co_u32_e64 v4, s[0:1], v12, v24
	v_addc_co_u32_e64 v5, s[0:1], v13, v25, s[0:1]
	ds_write_b128 v1, v[2:5] offset:16
	ds_read_b128 v[2:5], v1 offset:560
	s_waitcnt lgkmcnt(2)
	v_add_co_u32_e64 v6, s[0:1], v14, v6
	v_addc_co_u32_e64 v7, s[0:1], v15, v7, s[0:1]
	v_add_co_u32_e64 v8, s[0:1], v16, v8
	v_addc_co_u32_e64 v9, s[0:1], v17, v9, s[0:1]
	s_waitcnt lgkmcnt(0)
	v_add_co_u32_e64 v2, s[0:1], v18, v2
	v_addc_co_u32_e64 v3, s[0:1], v19, v3, s[0:1]
	v_add_co_u32_e64 v4, s[0:1], v20, v4
	v_addc_co_u32_e64 v5, s[0:1], v21, v5, s[0:1]
	ds_write_b128 v1, v[6:9] offset:32
	ds_write_b128 v1, v[2:5] offset:48
.LBB126_41:
	s_or_b64 exec, exec, s[2:3]
	v_cmp_gt_u32_e64 s[0:1], 4, v0
	s_waitcnt lgkmcnt(0)
	s_barrier
	s_and_saveexec_b64 s[2:3], s[0:1]
	s_cbranch_execz .LBB126_43
; %bb.42:
	ds_read_b128 v[2:5], v1 offset:256
	ds_read_b128 v[6:9], v1
	ds_read_b128 v[10:13], v1 offset:16
	ds_read_b128 v[14:17], v1 offset:32
	;; [unrolled: 1-line block ×4, first 2 shown]
	s_waitcnt lgkmcnt(4)
	v_add_co_u32_e64 v2, s[0:1], v6, v2
	v_addc_co_u32_e64 v3, s[0:1], v7, v3, s[0:1]
	v_add_co_u32_e64 v4, s[0:1], v8, v4
	v_addc_co_u32_e64 v5, s[0:1], v9, v5, s[0:1]
	ds_write_b128 v1, v[2:5]
	s_waitcnt lgkmcnt(1)
	v_add_co_u32_e64 v2, s[0:1], v10, v22
	ds_read_b128 v[6:9], v1 offset:288
	v_addc_co_u32_e64 v3, s[0:1], v11, v23, s[0:1]
	v_add_co_u32_e64 v4, s[0:1], v12, v24
	v_addc_co_u32_e64 v5, s[0:1], v13, v25, s[0:1]
	ds_write_b128 v1, v[2:5] offset:16
	ds_read_b128 v[2:5], v1 offset:304
	s_waitcnt lgkmcnt(2)
	v_add_co_u32_e64 v6, s[0:1], v14, v6
	v_addc_co_u32_e64 v7, s[0:1], v15, v7, s[0:1]
	v_add_co_u32_e64 v8, s[0:1], v16, v8
	v_addc_co_u32_e64 v9, s[0:1], v17, v9, s[0:1]
	s_waitcnt lgkmcnt(0)
	v_add_co_u32_e64 v2, s[0:1], v18, v2
	v_addc_co_u32_e64 v3, s[0:1], v19, v3, s[0:1]
	v_add_co_u32_e64 v4, s[0:1], v20, v4
	v_addc_co_u32_e64 v5, s[0:1], v21, v5, s[0:1]
	ds_write_b128 v1, v[6:9] offset:32
	ds_write_b128 v1, v[2:5] offset:48
.LBB126_43:
	s_or_b64 exec, exec, s[2:3]
	v_cmp_gt_u32_e64 s[0:1], 2, v0
	s_waitcnt lgkmcnt(0)
	s_barrier
	s_and_saveexec_b64 s[2:3], s[0:1]
	s_cbranch_execz .LBB126_45
; %bb.44:
	ds_read_b128 v[2:5], v1 offset:128
	ds_read_b128 v[6:9], v1
	ds_read_b128 v[10:13], v1 offset:16
	ds_read_b128 v[14:17], v1 offset:32
	;; [unrolled: 1-line block ×4, first 2 shown]
	s_waitcnt lgkmcnt(4)
	v_add_co_u32_e64 v2, s[0:1], v6, v2
	v_addc_co_u32_e64 v3, s[0:1], v7, v3, s[0:1]
	v_add_co_u32_e64 v4, s[0:1], v8, v4
	v_addc_co_u32_e64 v5, s[0:1], v9, v5, s[0:1]
	ds_write_b128 v1, v[2:5]
	s_waitcnt lgkmcnt(1)
	v_add_co_u32_e64 v2, s[0:1], v10, v22
	ds_read_b128 v[6:9], v1 offset:160
	v_addc_co_u32_e64 v3, s[0:1], v11, v23, s[0:1]
	v_add_co_u32_e64 v4, s[0:1], v12, v24
	v_addc_co_u32_e64 v5, s[0:1], v13, v25, s[0:1]
	ds_write_b128 v1, v[2:5] offset:16
	ds_read_b128 v[2:5], v1 offset:176
	s_waitcnt lgkmcnt(2)
	v_add_co_u32_e64 v6, s[0:1], v14, v6
	v_addc_co_u32_e64 v7, s[0:1], v15, v7, s[0:1]
	v_add_co_u32_e64 v8, s[0:1], v16, v8
	v_addc_co_u32_e64 v9, s[0:1], v17, v9, s[0:1]
	s_waitcnt lgkmcnt(0)
	v_add_co_u32_e64 v2, s[0:1], v18, v2
	v_addc_co_u32_e64 v3, s[0:1], v19, v3, s[0:1]
	v_add_co_u32_e64 v4, s[0:1], v20, v4
	v_addc_co_u32_e64 v5, s[0:1], v21, v5, s[0:1]
	ds_write_b128 v1, v[6:9] offset:32
	ds_write_b128 v1, v[2:5] offset:48
.LBB126_45:
	s_or_b64 exec, exec, s[2:3]
	v_cmp_eq_u32_e64 s[0:1], 0, v0
	s_waitcnt lgkmcnt(0)
	s_barrier
	s_and_saveexec_b64 s[2:3], s[0:1]
	s_cbranch_execz .LBB126_47
; %bb.46:
	v_mov_b32_e32 v1, 0
	ds_read_b128 v[2:5], v1 offset:64
	ds_read_b128 v[6:9], v1
	ds_read_b128 v[10:13], v1 offset:16
	ds_read_b128 v[14:17], v1 offset:32
	;; [unrolled: 1-line block ×4, first 2 shown]
	s_waitcnt lgkmcnt(4)
	v_add_co_u32_e64 v2, s[0:1], v6, v2
	v_addc_co_u32_e64 v3, s[0:1], v7, v3, s[0:1]
	v_add_co_u32_e64 v4, s[0:1], v8, v4
	v_addc_co_u32_e64 v5, s[0:1], v9, v5, s[0:1]
	ds_write_b128 v1, v[2:5]
	s_waitcnt lgkmcnt(1)
	v_add_co_u32_e64 v2, s[0:1], v10, v22
	ds_read_b128 v[6:9], v1 offset:96
	v_addc_co_u32_e64 v3, s[0:1], v11, v23, s[0:1]
	v_add_co_u32_e64 v4, s[0:1], v12, v24
	v_addc_co_u32_e64 v5, s[0:1], v13, v25, s[0:1]
	ds_write_b128 v1, v[2:5] offset:16
	ds_read_b128 v[2:5], v1 offset:112
	s_waitcnt lgkmcnt(2)
	v_add_co_u32_e64 v6, s[0:1], v14, v6
	v_addc_co_u32_e64 v7, s[0:1], v15, v7, s[0:1]
	v_add_co_u32_e64 v8, s[0:1], v16, v8
	v_addc_co_u32_e64 v9, s[0:1], v17, v9, s[0:1]
	s_waitcnt lgkmcnt(0)
	v_add_co_u32_e64 v2, s[0:1], v18, v2
	v_addc_co_u32_e64 v3, s[0:1], v19, v3, s[0:1]
	v_add_co_u32_e64 v4, s[0:1], v20, v4
	v_addc_co_u32_e64 v5, s[0:1], v21, v5, s[0:1]
	ds_write_b128 v1, v[6:9] offset:32
	ds_write_b128 v1, v[2:5] offset:48
.LBB126_47:
	s_or_b64 exec, exec, s[2:3]
	s_waitcnt lgkmcnt(0)
	s_barrier
	s_and_saveexec_b64 s[0:1], vcc
	s_cbranch_execz .LBB126_49
; %bb.48:
	v_lshl_or_b32 v2, s6, 3, v0
	v_lshlrev_b32_e32 v0, 3, v0
	ds_read_b64 v[0:1], v0
	v_mov_b32_e32 v3, 0
	v_lshlrev_b64 v[2:3], 3, v[2:3]
	v_mov_b32_e32 v4, s9
	v_add_co_u32_e32 v2, vcc, s8, v2
	v_addc_co_u32_e32 v3, vcc, v4, v3, vcc
	s_waitcnt lgkmcnt(0)
	global_store_dwordx2 v[2:3], v[0:1], off
.LBB126_49:
	s_endpgm
	.section	.rodata,"a",@progbits
	.p2align	6, 0x0
	.amdhsa_kernel _ZN9rocsparseL26bsrgemm_group_reduce_part2ILj256ELj8ELj8E21rocsparse_complex_numIfEllEEvT4_PKT3_PS3_Pi
		.amdhsa_group_segment_fixed_size 16384
		.amdhsa_private_segment_fixed_size 0
		.amdhsa_kernarg_size 288
		.amdhsa_user_sgpr_count 6
		.amdhsa_user_sgpr_private_segment_buffer 1
		.amdhsa_user_sgpr_dispatch_ptr 0
		.amdhsa_user_sgpr_queue_ptr 0
		.amdhsa_user_sgpr_kernarg_segment_ptr 1
		.amdhsa_user_sgpr_dispatch_id 0
		.amdhsa_user_sgpr_flat_scratch_init 0
		.amdhsa_user_sgpr_kernarg_preload_length 0
		.amdhsa_user_sgpr_kernarg_preload_offset 0
		.amdhsa_user_sgpr_private_segment_size 0
		.amdhsa_uses_dynamic_stack 0
		.amdhsa_system_sgpr_private_segment_wavefront_offset 0
		.amdhsa_system_sgpr_workgroup_id_x 1
		.amdhsa_system_sgpr_workgroup_id_y 0
		.amdhsa_system_sgpr_workgroup_id_z 0
		.amdhsa_system_sgpr_workgroup_info 0
		.amdhsa_system_vgpr_workitem_id 0
		.amdhsa_next_free_vgpr 26
		.amdhsa_next_free_sgpr 38
		.amdhsa_accum_offset 28
		.amdhsa_reserve_vcc 1
		.amdhsa_reserve_flat_scratch 0
		.amdhsa_float_round_mode_32 0
		.amdhsa_float_round_mode_16_64 0
		.amdhsa_float_denorm_mode_32 3
		.amdhsa_float_denorm_mode_16_64 3
		.amdhsa_dx10_clamp 1
		.amdhsa_ieee_mode 1
		.amdhsa_fp16_overflow 0
		.amdhsa_tg_split 0
		.amdhsa_exception_fp_ieee_invalid_op 0
		.amdhsa_exception_fp_denorm_src 0
		.amdhsa_exception_fp_ieee_div_zero 0
		.amdhsa_exception_fp_ieee_overflow 0
		.amdhsa_exception_fp_ieee_underflow 0
		.amdhsa_exception_fp_ieee_inexact 0
		.amdhsa_exception_int_div_zero 0
	.end_amdhsa_kernel
	.section	.text._ZN9rocsparseL26bsrgemm_group_reduce_part2ILj256ELj8ELj8E21rocsparse_complex_numIfEllEEvT4_PKT3_PS3_Pi,"axG",@progbits,_ZN9rocsparseL26bsrgemm_group_reduce_part2ILj256ELj8ELj8E21rocsparse_complex_numIfEllEEvT4_PKT3_PS3_Pi,comdat
.Lfunc_end126:
	.size	_ZN9rocsparseL26bsrgemm_group_reduce_part2ILj256ELj8ELj8E21rocsparse_complex_numIfEllEEvT4_PKT3_PS3_Pi, .Lfunc_end126-_ZN9rocsparseL26bsrgemm_group_reduce_part2ILj256ELj8ELj8E21rocsparse_complex_numIfEllEEvT4_PKT3_PS3_Pi
                                        ; -- End function
	.section	.AMDGPU.csdata,"",@progbits
; Kernel info:
; codeLenInByte = 2788
; NumSgprs: 42
; NumVgprs: 26
; NumAgprs: 0
; TotalNumVgprs: 26
; ScratchSize: 0
; MemoryBound: 0
; FloatMode: 240
; IeeeMode: 1
; LDSByteSize: 16384 bytes/workgroup (compile time only)
; SGPRBlocks: 5
; VGPRBlocks: 3
; NumSGPRsForWavesPerEU: 42
; NumVGPRsForWavesPerEU: 26
; AccumOffset: 28
; Occupancy: 4
; WaveLimiterHint : 0
; COMPUTE_PGM_RSRC2:SCRATCH_EN: 0
; COMPUTE_PGM_RSRC2:USER_SGPR: 6
; COMPUTE_PGM_RSRC2:TRAP_HANDLER: 0
; COMPUTE_PGM_RSRC2:TGID_X_EN: 1
; COMPUTE_PGM_RSRC2:TGID_Y_EN: 0
; COMPUTE_PGM_RSRC2:TGID_Z_EN: 0
; COMPUTE_PGM_RSRC2:TIDIG_COMP_CNT: 0
; COMPUTE_PGM_RSRC3_GFX90A:ACCUM_OFFSET: 6
; COMPUTE_PGM_RSRC3_GFX90A:TG_SPLIT: 0
	.section	.text._ZN9rocsparseL27bsrgemm_fill_wf_per_row_2x2ILj256ELj16ELj8ELj137Ell21rocsparse_complex_numIfEEEv20rocsparse_direction_T4_S4_PKS4_S6_NS_24const_host_device_scalarIT5_EEPKT3_S6_PKS8_SC_S6_SE_S9_SC_S6_SE_SC_PS4_PS8_21rocsparse_index_base_SH_SH_SH_bbb,"axG",@progbits,_ZN9rocsparseL27bsrgemm_fill_wf_per_row_2x2ILj256ELj16ELj8ELj137Ell21rocsparse_complex_numIfEEEv20rocsparse_direction_T4_S4_PKS4_S6_NS_24const_host_device_scalarIT5_EEPKT3_S6_PKS8_SC_S6_SE_S9_SC_S6_SE_SC_PS4_PS8_21rocsparse_index_base_SH_SH_SH_bbb,comdat
	.globl	_ZN9rocsparseL27bsrgemm_fill_wf_per_row_2x2ILj256ELj16ELj8ELj137Ell21rocsparse_complex_numIfEEEv20rocsparse_direction_T4_S4_PKS4_S6_NS_24const_host_device_scalarIT5_EEPKT3_S6_PKS8_SC_S6_SE_S9_SC_S6_SE_SC_PS4_PS8_21rocsparse_index_base_SH_SH_SH_bbb ; -- Begin function _ZN9rocsparseL27bsrgemm_fill_wf_per_row_2x2ILj256ELj16ELj8ELj137Ell21rocsparse_complex_numIfEEEv20rocsparse_direction_T4_S4_PKS4_S6_NS_24const_host_device_scalarIT5_EEPKT3_S6_PKS8_SC_S6_SE_S9_SC_S6_SE_SC_PS4_PS8_21rocsparse_index_base_SH_SH_SH_bbb
	.p2align	8
	.type	_ZN9rocsparseL27bsrgemm_fill_wf_per_row_2x2ILj256ELj16ELj8ELj137Ell21rocsparse_complex_numIfEEEv20rocsparse_direction_T4_S4_PKS4_S6_NS_24const_host_device_scalarIT5_EEPKT3_S6_PKS8_SC_S6_SE_S9_SC_S6_SE_SC_PS4_PS8_21rocsparse_index_base_SH_SH_SH_bbb,@function
_ZN9rocsparseL27bsrgemm_fill_wf_per_row_2x2ILj256ELj16ELj8ELj137Ell21rocsparse_complex_numIfEEEv20rocsparse_direction_T4_S4_PKS4_S6_NS_24const_host_device_scalarIT5_EEPKT3_S6_PKS8_SC_S6_SE_S9_SC_S6_SE_SC_PS4_PS8_21rocsparse_index_base_SH_SH_SH_bbb: ; @_ZN9rocsparseL27bsrgemm_fill_wf_per_row_2x2ILj256ELj16ELj8ELj137Ell21rocsparse_complex_numIfEEEv20rocsparse_direction_T4_S4_PKS4_S6_NS_24const_host_device_scalarIT5_EEPKT3_S6_PKS8_SC_S6_SE_S9_SC_S6_SE_SC_PS4_PS8_21rocsparse_index_base_SH_SH_SH_bbb
; %bb.0:
	s_load_dwordx8 s[8:15], s[4:5], 0x70
	s_load_dwordx8 s[16:23], s[4:5], 0x50
	s_load_dword s7, s[4:5], 0xa8
	s_load_dwordx4 s[44:47], s[4:5], 0x18
	s_load_dwordx8 s[24:31], s[4:5], 0x30
	s_load_dwordx2 s[2:3], s[4:5], 0x90
	s_load_dwordx4 s[36:39], s[4:5], 0x98
	s_waitcnt lgkmcnt(0)
	s_bitcmp1_b32 s7, 0
	s_cselect_b64 s[50:51], -1, 0
	s_bitcmp1_b32 s7, 16
	s_cselect_b64 s[0:1], -1, 0
	s_xor_b64 s[0:1], s[0:1], -1
	v_cndmask_b32_e64 v1, 0, 1, s[0:1]
	s_mov_b32 s35, 0
	s_bitcmp0_b32 s7, 0
	v_cmp_ne_u32_e64 s[0:1], 1, v1
	s_mov_b32 s55, 0
	s_cbranch_scc1 .LBB127_5
; %bb.1:
	s_load_dwordx2 s[34:35], s[4:5], 0x28
	s_and_b64 vcc, exec, s[0:1]
	s_waitcnt lgkmcnt(0)
	s_mov_b32 s55, s34
	s_cbranch_vccnz .LBB127_3
; %bb.2:
	s_load_dword s55, s[34:35], 0x0
.LBB127_3:
	s_and_b64 vcc, exec, s[0:1]
	s_cbranch_vccnz .LBB127_5
; %bb.4:
	s_load_dword s35, s[34:35], 0x4
.LBB127_5:
	s_bitcmp1_b32 s7, 8
	s_cselect_b64 s[48:49], -1, 0
	s_bfe_u32 s7, s7, 0x10008
	s_mov_b32 s34, 0
	s_cmp_eq_u32 s7, 0
	s_mov_b32 s33, 0
	s_cbranch_scc1 .LBB127_11
; %bb.6:
	s_and_b64 vcc, exec, s[0:1]
	s_mov_b32 s33, s20
	s_cbranch_vccnz .LBB127_8
; %bb.7:
	s_load_dword s33, s[20:21], 0x0
.LBB127_8:
	s_and_b64 vcc, exec, s[0:1]
	s_cbranch_vccnz .LBB127_10
; %bb.9:
	s_load_dword s21, s[20:21], 0x4
.LBB127_10:
	s_waitcnt lgkmcnt(0)
	s_mov_b32 s34, s21
.LBB127_11:
	s_load_dwordx4 s[40:43], s[4:5], 0x8
	v_and_b32_e32 v26, 15, v0
	v_lshrrev_b32_e32 v2, 4, v0
	v_mov_b32_e32 v0, 0x1000
	v_lshl_or_b32 v28, v2, 6, v0
	v_cmp_gt_u32_e64 s[0:1], 8, v26
	s_and_saveexec_b64 s[20:21], s[0:1]
	s_cbranch_execz .LBB127_13
; %bb.12:
	v_lshl_add_u32 v3, v26, 3, v28
	s_waitcnt lgkmcnt(0)
	v_pk_mov_b32 v[0:1], s[42:43], s[42:43] op_sel:[0,1]
	ds_write_b64 v3, v[0:1]
.LBB127_13:
	s_or_b64 exec, exec, s[20:21]
	v_lshlrev_b32_e32 v0, 3, v26
	v_lshl_or_b32 v4, v2, 8, v0
	v_mov_b32_e32 v0, 0
	v_or_b32_e32 v3, -16, v26
	s_mov_b64 s[20:21], 0
	v_mov_b32_e32 v1, v0
.LBB127_14:                             ; =>This Inner Loop Header: Depth=1
	v_add_co_u32_e32 v3, vcc, 16, v3
	s_xor_b64 s[52:53], vcc, -1
	s_and_b64 s[52:53], exec, s[52:53]
	ds_write_b64 v4, v[0:1]
	s_or_b64 s[20:21], s[52:53], s[20:21]
	v_add_u32_e32 v4, 0x80, v4
	s_andn2_b64 exec, exec, s[20:21]
	s_cbranch_execnz .LBB127_14
; %bb.15:
	s_or_b64 exec, exec, s[20:21]
	v_lshl_or_b32 v4, s6, 4, v2
	v_mov_b32_e32 v5, 0
	s_waitcnt lgkmcnt(0)
	v_cmp_gt_i64_e32 vcc, s[40:41], v[4:5]
	s_barrier
	s_and_saveexec_b64 s[6:7], vcc
	s_cbranch_execz .LBB127_21
; %bb.16:
	s_cmp_eq_u64 s[46:47], 0
	s_cbranch_scc1 .LBB127_18
; %bb.17:
	s_load_dwordx2 s[6:7], s[44:45], 0x0
	v_lshlrev_b64 v[0:1], 3, v[4:5]
	s_waitcnt lgkmcnt(0)
	s_lshl_b64 s[6:7], s[6:7], 3
	s_add_u32 s6, s46, s6
	s_addc_u32 s7, s47, s7
	v_mov_b32_e32 v3, s7
	v_add_co_u32_e32 v0, vcc, s6, v0
	v_addc_co_u32_e32 v1, vcc, v3, v1, vcc
	global_load_dwordx2 v[4:5], v[0:1], off
.LBB127_18:
	s_load_dword s54, s[4:5], 0x0
	s_andn2_b64 vcc, exec, s[50:51]
	v_lshlrev_b32_e32 v27, 8, v2
	s_cbranch_vccz .LBB127_22
; %bb.19:
	s_andn2_b64 vcc, exec, s[48:49]
	s_waitcnt lgkmcnt(0)
	s_cbranch_vccz .LBB127_77
.LBB127_20:
	s_and_b64 exec, exec, s[0:1]
	s_cbranch_execnz .LBB127_129
.LBB127_21:
	s_endpgm
.LBB127_22:
	s_waitcnt vmcnt(0)
	v_lshlrev_b64 v[0:1], 3, v[4:5]
	v_mov_b32_e32 v2, s25
	v_add_co_u32_e32 v0, vcc, s24, v0
	v_addc_co_u32_e32 v1, vcc, v2, v1, vcc
	global_load_dwordx4 v[0:3], v[0:1], off
	v_subrev_co_u32_e32 v8, vcc, s36, v26
	v_subb_co_u32_e64 v9, s[4:5], 0, 0, vcc
	s_mov_b32 s20, 0
	s_waitcnt vmcnt(0)
	v_subrev_co_u32_e32 v6, vcc, s36, v2
	v_subbrev_co_u32_e32 v7, vcc, 0, v3, vcc
	v_add_co_u32_e32 v8, vcc, v0, v8
	v_addc_co_u32_e32 v9, vcc, v1, v9, vcc
	v_cmp_lt_i64_e32 vcc, v[8:9], v[6:7]
	s_and_saveexec_b64 s[4:5], vcc
	s_cbranch_execz .LBB127_76
; %bb.23:
	s_waitcnt lgkmcnt(0)
	s_cmp_eq_u32 s54, 0
	s_mov_b32 s56, s36
	s_mov_b32 s57, s37
	;; [unrolled: 1-line block ×3, first 2 shown]
	s_cselect_b32 s59, 2, 1
	s_cselect_b32 s60, 1, 2
	s_mov_b64 s[6:7], 0
	v_mov_b32_e32 v13, s27
	v_mov_b32_e32 v29, s20
	;; [unrolled: 1-line block ×3, first 2 shown]
	s_branch .LBB127_25
.LBB127_24:                             ;   in Loop: Header=BB127_25 Depth=1
	s_or_b64 exec, exec, s[20:21]
	v_add_co_u32_e32 v8, vcc, 16, v8
	v_addc_co_u32_e32 v9, vcc, 0, v9, vcc
	v_cmp_ge_i64_e32 vcc, v[8:9], v[6:7]
	s_or_b64 s[6:7], vcc, s[6:7]
	s_andn2_b64 exec, exec, s[6:7]
	s_cbranch_execz .LBB127_76
.LBB127_25:                             ; =>This Loop Header: Depth=1
                                        ;     Child Loop BB127_28 Depth 2
                                        ;       Child Loop BB127_30 Depth 3
                                        ;       Child Loop BB127_42 Depth 3
	;; [unrolled: 1-line block ×4, first 2 shown]
	v_lshlrev_b64 v[0:1], 3, v[8:9]
	v_add_co_u32_e32 v0, vcc, s26, v0
	v_addc_co_u32_e32 v1, vcc, v13, v1, vcc
	global_load_dwordx2 v[0:1], v[0:1], off
	s_waitcnt vmcnt(0)
	v_subrev_co_u32_e32 v0, vcc, s56, v0
	v_subb_co_u32_e32 v1, vcc, v1, v29, vcc
	v_lshlrev_b64 v[0:1], 3, v[0:1]
	v_add_co_u32_e32 v0, vcc, s30, v0
	v_addc_co_u32_e32 v1, vcc, v30, v1, vcc
	global_load_dwordx4 v[0:3], v[0:1], off
	s_waitcnt vmcnt(0)
	v_cmp_lt_i64_e32 vcc, v[0:1], v[2:3]
	s_and_saveexec_b64 s[20:21], vcc
	s_cbranch_execz .LBB127_24
; %bb.26:                               ;   in Loop: Header=BB127_25 Depth=1
	v_lshlrev_b64 v[10:11], 2, v[8:9]
	v_lshlrev_b64 v[14:15], 5, v[8:9]
	v_mov_b32_e32 v12, s29
	v_add_co_u32_e32 v14, vcc, s28, v14
	v_or_b32_e32 v19, 0, v11
	v_or_b32_e32 v18, s59, v10
	v_addc_co_u32_e32 v15, vcc, v12, v15, vcc
	v_lshlrev_b64 v[18:19], 3, v[18:19]
	v_add_co_u32_e32 v18, vcc, s28, v18
	v_or_b32_e32 v11, 0, v11
	v_or_b32_e32 v10, s60, v10
	v_addc_co_u32_e32 v19, vcc, v12, v19, vcc
	v_lshlrev_b64 v[10:11], 3, v[10:11]
	v_add_co_u32_e32 v10, vcc, s28, v10
	global_load_dwordx2 v[16:17], v[14:15], off
	v_addc_co_u32_e32 v11, vcc, v12, v11, vcc
	global_load_dwordx2 v[18:19], v[18:19], off
	s_nop 0
	global_load_dwordx2 v[20:21], v[10:11], off
	global_load_dwordx2 v[22:23], v[14:15], off offset:24
	v_mov_b32_e32 v10, s58
	v_subrev_co_u32_e32 v2, vcc, s57, v2
	v_subb_co_u32_e32 v3, vcc, v3, v10, vcc
	v_subrev_co_u32_e32 v0, vcc, s57, v0
	v_subb_co_u32_e32 v1, vcc, v1, v10, vcc
	s_mov_b64 s[24:25], 0
	s_waitcnt vmcnt(3)
	v_mul_f32_e64 v31, v17, -s35
	v_mul_f32_e32 v32, s55, v17
	s_waitcnt vmcnt(2)
	v_mul_f32_e64 v33, v19, -s35
	v_mul_f32_e32 v34, s55, v19
	s_waitcnt vmcnt(0)
	v_mul_f32_e32 v35, s55, v23
	v_mul_f32_e64 v36, v23, -s35
	v_mul_f32_e32 v37, s55, v21
	v_mul_f32_e64 v38, v21, -s35
	v_fmac_f32_e32 v31, s55, v16
	v_fmac_f32_e32 v32, s35, v16
	v_fmac_f32_e32 v33, s55, v18
	v_fmac_f32_e32 v34, s35, v18
	v_fmac_f32_e32 v35, s35, v22
	v_fmac_f32_e32 v36, s55, v22
	v_fmac_f32_e32 v37, s35, v20
	v_fmac_f32_e32 v38, s55, v20
	s_branch .LBB127_28
.LBB127_27:                             ;   in Loop: Header=BB127_28 Depth=2
	s_or_b64 exec, exec, s[36:37]
	v_add_co_u32_e32 v0, vcc, 1, v0
	v_addc_co_u32_e32 v1, vcc, 0, v1, vcc
	v_cmp_ge_i64_e32 vcc, v[0:1], v[2:3]
	s_or_b64 s[24:25], vcc, s[24:25]
	s_andn2_b64 exec, exec, s[24:25]
	s_cbranch_execz .LBB127_24
.LBB127_28:                             ;   Parent Loop BB127_25 Depth=1
                                        ; =>  This Loop Header: Depth=2
                                        ;       Child Loop BB127_30 Depth 3
                                        ;       Child Loop BB127_42 Depth 3
	;; [unrolled: 1-line block ×4, first 2 shown]
	v_lshlrev_b64 v[10:11], 3, v[0:1]
	v_lshlrev_b64 v[14:15], 2, v[0:1]
	v_mov_b32_e32 v12, s17
	v_add_co_u32_e32 v10, vcc, s16, v10
	v_or_b32_e32 v17, 0, v15
	v_or_b32_e32 v16, s60, v14
	;; [unrolled: 1-line block ×4, first 2 shown]
	v_addc_co_u32_e32 v11, vcc, v12, v11, vcc
	v_lshlrev_b64 v[14:15], 3, v[14:15]
	v_mov_b32_e32 v12, s19
	v_add_co_u32_e32 v14, vcc, s18, v14
	v_lshlrev_b64 v[18:19], 5, v[0:1]
	v_addc_co_u32_e32 v15, vcc, v12, v15, vcc
	v_add_co_u32_e32 v22, vcc, s18, v18
	global_load_dwordx2 v[20:21], v[14:15], off
	v_addc_co_u32_e32 v23, vcc, v12, v19, vcc
	global_load_dwordx2 v[18:19], v[22:23], off
	v_lshlrev_b64 v[14:15], 3, v[16:17]
	global_load_dwordx2 v[10:11], v[10:11], off
	v_add_co_u32_e32 v14, vcc, s18, v14
	v_addc_co_u32_e32 v15, vcc, v12, v15, vcc
	global_load_dwordx2 v[14:15], v[14:15], off
	s_nop 0
	global_load_dwordx2 v[16:17], v[22:23], off offset:24
	v_mov_b32_e32 v12, s58
	s_mov_b64 s[36:37], 0
	s_waitcnt vmcnt(4)
	v_mul_f32_e64 v22, v21, -v37
	v_mul_f32_e32 v39, v38, v21
	v_fmac_f32_e32 v22, v38, v20
	v_fmac_f32_e32 v39, v37, v20
	s_waitcnt vmcnt(3)
	v_fmac_f32_e32 v22, v31, v18
	s_waitcnt vmcnt(2)
	v_subrev_co_u32_e32 v10, vcc, s57, v10
	v_subb_co_u32_e32 v11, vcc, v11, v12, vcc
	v_and_b32_e32 v12, 7, v10
	v_fmac_f32_e32 v39, v32, v18
	v_fma_f32 v40, -v32, v19, v22
	v_fmac_f32_e32 v39, v31, v19
	v_pk_mov_b32 v[22:23], v[12:13], v[12:13] op_sel:[0,1]
	s_branch .LBB127_30
.LBB127_29:                             ;   in Loop: Header=BB127_30 Depth=3
	s_or_b64 exec, exec, s[40:41]
	s_xor_b64 s[40:41], s[44:45], -1
	s_and_b64 s[40:41], exec, s[40:41]
	s_or_b64 s[36:37], s[40:41], s[36:37]
	s_andn2_b64 exec, exec, s[36:37]
	s_cbranch_execz .LBB127_40
.LBB127_30:                             ;   Parent Loop BB127_25 Depth=1
                                        ;     Parent Loop BB127_28 Depth=2
                                        ; =>    This Inner Loop Header: Depth=3
	v_lshl_add_u32 v23, v22, 3, v28
	ds_read_b64 v[24:25], v23
                                        ; implicit-def: $sgpr44_sgpr45
	s_waitcnt lgkmcnt(0)
	v_cmp_ne_u64_e32 vcc, v[24:25], v[10:11]
	s_and_saveexec_b64 s[40:41], vcc
	s_xor_b64 s[40:41], exec, s[40:41]
	s_cbranch_execz .LBB127_38
; %bb.31:                               ;   in Loop: Header=BB127_30 Depth=3
	v_cmp_ne_u64_e32 vcc, s[42:43], v[24:25]
                                        ; implicit-def: $sgpr44_sgpr45
	s_and_saveexec_b64 s[46:47], vcc
	s_xor_b64 s[46:47], exec, s[46:47]
; %bb.32:                               ;   in Loop: Header=BB127_30 Depth=3
	v_add_u32_e32 v22, 1, v22
	v_and_b32_e32 v22, 7, v22
	s_mov_b64 s[44:45], -1
                                        ; implicit-def: $vgpr23
; %bb.33:                               ;   in Loop: Header=BB127_30 Depth=3
	s_andn2_saveexec_b64 s[46:47], s[46:47]
	s_cbranch_execz .LBB127_37
; %bb.34:                               ;   in Loop: Header=BB127_30 Depth=3
	v_pk_mov_b32 v[24:25], s[42:43], s[42:43] op_sel:[0,1]
	ds_cmpst_rtn_b64 v[24:25], v23, v[24:25], v[10:11]
	s_mov_b64 s[50:51], -1
	s_waitcnt lgkmcnt(0)
	v_cmp_eq_u64_e32 vcc, s[42:43], v[24:25]
	s_and_saveexec_b64 s[52:53], vcc
	s_cbranch_execz .LBB127_36
; %bb.35:                               ;   in Loop: Header=BB127_30 Depth=3
	v_lshl_add_u32 v23, v22, 5, v27
	ds_add_f32 v23, v40
	ds_add_f32 v23, v39 offset:4
	s_xor_b64 s[50:51], exec, -1
.LBB127_36:                             ;   in Loop: Header=BB127_30 Depth=3
	s_or_b64 exec, exec, s[52:53]
	s_andn2_b64 s[44:45], s[44:45], exec
	s_and_b64 s[50:51], s[50:51], exec
	s_or_b64 s[44:45], s[44:45], s[50:51]
.LBB127_37:                             ;   in Loop: Header=BB127_30 Depth=3
	s_or_b64 exec, exec, s[46:47]
	s_and_b64 s[44:45], s[44:45], exec
.LBB127_38:                             ;   in Loop: Header=BB127_30 Depth=3
	s_andn2_saveexec_b64 s[40:41], s[40:41]
	s_cbranch_execz .LBB127_29
; %bb.39:                               ;   in Loop: Header=BB127_30 Depth=3
	v_lshl_add_u32 v23, v22, 5, v27
	ds_add_f32 v23, v40
	ds_add_f32 v23, v39 offset:4
	s_andn2_b64 s[44:45], s[44:45], exec
	s_branch .LBB127_29
.LBB127_40:                             ;   in Loop: Header=BB127_28 Depth=2
	s_or_b64 exec, exec, s[36:37]
	s_waitcnt vmcnt(0)
	v_mul_f32_e64 v22, v17, -v37
	v_mul_f32_e32 v39, v38, v17
	v_fmac_f32_e32 v22, v38, v16
	v_fmac_f32_e32 v39, v37, v16
	v_fmac_f32_e32 v22, v31, v14
	v_fmac_f32_e32 v39, v32, v14
	v_fma_f32 v40, -v32, v15, v22
	v_fmac_f32_e32 v39, v31, v15
	s_mov_b64 s[36:37], 0
	v_pk_mov_b32 v[22:23], v[12:13], v[12:13] op_sel:[0,1]
	s_branch .LBB127_42
.LBB127_41:                             ;   in Loop: Header=BB127_42 Depth=3
	s_or_b64 exec, exec, s[40:41]
	s_xor_b64 s[40:41], s[44:45], -1
	s_and_b64 s[40:41], exec, s[40:41]
	s_or_b64 s[36:37], s[40:41], s[36:37]
	s_andn2_b64 exec, exec, s[36:37]
	s_cbranch_execz .LBB127_52
.LBB127_42:                             ;   Parent Loop BB127_25 Depth=1
                                        ;     Parent Loop BB127_28 Depth=2
                                        ; =>    This Inner Loop Header: Depth=3
	v_lshl_add_u32 v23, v22, 3, v28
	ds_read_b64 v[24:25], v23
                                        ; implicit-def: $sgpr44_sgpr45
	s_waitcnt lgkmcnt(0)
	v_cmp_ne_u64_e32 vcc, v[24:25], v[10:11]
	s_and_saveexec_b64 s[40:41], vcc
	s_xor_b64 s[40:41], exec, s[40:41]
	s_cbranch_execz .LBB127_50
; %bb.43:                               ;   in Loop: Header=BB127_42 Depth=3
	v_cmp_ne_u64_e32 vcc, s[42:43], v[24:25]
                                        ; implicit-def: $sgpr44_sgpr45
	s_and_saveexec_b64 s[46:47], vcc
	s_xor_b64 s[46:47], exec, s[46:47]
; %bb.44:                               ;   in Loop: Header=BB127_42 Depth=3
	v_add_u32_e32 v22, 1, v22
	v_and_b32_e32 v22, 7, v22
	s_mov_b64 s[44:45], -1
                                        ; implicit-def: $vgpr23
; %bb.45:                               ;   in Loop: Header=BB127_42 Depth=3
	s_andn2_saveexec_b64 s[46:47], s[46:47]
	s_cbranch_execz .LBB127_49
; %bb.46:                               ;   in Loop: Header=BB127_42 Depth=3
	v_pk_mov_b32 v[24:25], s[42:43], s[42:43] op_sel:[0,1]
	ds_cmpst_rtn_b64 v[24:25], v23, v[24:25], v[10:11]
	s_mov_b64 s[50:51], -1
	s_waitcnt lgkmcnt(0)
	v_cmp_eq_u64_e32 vcc, s[42:43], v[24:25]
	s_and_saveexec_b64 s[52:53], vcc
	s_cbranch_execz .LBB127_48
; %bb.47:                               ;   in Loop: Header=BB127_42 Depth=3
	v_lshl_add_u32 v23, v22, 5, v27
	ds_add_f32 v23, v40 offset:8
	ds_add_f32 v23, v39 offset:12
	s_xor_b64 s[50:51], exec, -1
.LBB127_48:                             ;   in Loop: Header=BB127_42 Depth=3
	s_or_b64 exec, exec, s[52:53]
	s_andn2_b64 s[44:45], s[44:45], exec
	s_and_b64 s[50:51], s[50:51], exec
	s_or_b64 s[44:45], s[44:45], s[50:51]
.LBB127_49:                             ;   in Loop: Header=BB127_42 Depth=3
	s_or_b64 exec, exec, s[46:47]
	s_and_b64 s[44:45], s[44:45], exec
.LBB127_50:                             ;   in Loop: Header=BB127_42 Depth=3
	s_andn2_saveexec_b64 s[40:41], s[40:41]
	s_cbranch_execz .LBB127_41
; %bb.51:                               ;   in Loop: Header=BB127_42 Depth=3
	v_lshl_add_u32 v23, v22, 5, v27
	ds_add_f32 v23, v40 offset:8
	ds_add_f32 v23, v39 offset:12
	s_andn2_b64 s[44:45], s[44:45], exec
	s_branch .LBB127_41
.LBB127_52:                             ;   in Loop: Header=BB127_28 Depth=2
	s_or_b64 exec, exec, s[36:37]
	v_mul_f32_e64 v23, v21, -v35
	v_mul_f32_e32 v22, v36, v21
	v_fmac_f32_e32 v23, v36, v20
	v_fmac_f32_e32 v22, v35, v20
	;; [unrolled: 1-line block ×4, first 2 shown]
	v_fma_f32 v23, -v34, v19, v23
	v_fmac_f32_e32 v22, v33, v19
	s_mov_b64 s[36:37], 0
	v_pk_mov_b32 v[18:19], v[12:13], v[12:13] op_sel:[0,1]
	s_branch .LBB127_54
.LBB127_53:                             ;   in Loop: Header=BB127_54 Depth=3
	s_or_b64 exec, exec, s[40:41]
	s_xor_b64 s[40:41], s[44:45], -1
	s_and_b64 s[40:41], exec, s[40:41]
	s_or_b64 s[36:37], s[40:41], s[36:37]
	s_andn2_b64 exec, exec, s[36:37]
	s_cbranch_execz .LBB127_64
.LBB127_54:                             ;   Parent Loop BB127_25 Depth=1
                                        ;     Parent Loop BB127_28 Depth=2
                                        ; =>    This Inner Loop Header: Depth=3
	v_lshl_add_u32 v19, v18, 3, v28
	ds_read_b64 v[20:21], v19
                                        ; implicit-def: $sgpr44_sgpr45
	s_waitcnt lgkmcnt(0)
	v_cmp_ne_u64_e32 vcc, v[20:21], v[10:11]
	s_and_saveexec_b64 s[40:41], vcc
	s_xor_b64 s[40:41], exec, s[40:41]
	s_cbranch_execz .LBB127_62
; %bb.55:                               ;   in Loop: Header=BB127_54 Depth=3
	v_cmp_ne_u64_e32 vcc, s[42:43], v[20:21]
                                        ; implicit-def: $sgpr44_sgpr45
	s_and_saveexec_b64 s[46:47], vcc
	s_xor_b64 s[46:47], exec, s[46:47]
; %bb.56:                               ;   in Loop: Header=BB127_54 Depth=3
	v_add_u32_e32 v18, 1, v18
	v_and_b32_e32 v18, 7, v18
	s_mov_b64 s[44:45], -1
                                        ; implicit-def: $vgpr19
; %bb.57:                               ;   in Loop: Header=BB127_54 Depth=3
	s_andn2_saveexec_b64 s[46:47], s[46:47]
	s_cbranch_execz .LBB127_61
; %bb.58:                               ;   in Loop: Header=BB127_54 Depth=3
	v_pk_mov_b32 v[20:21], s[42:43], s[42:43] op_sel:[0,1]
	ds_cmpst_rtn_b64 v[20:21], v19, v[20:21], v[10:11]
	s_mov_b64 s[50:51], -1
	s_waitcnt lgkmcnt(0)
	v_cmp_eq_u64_e32 vcc, s[42:43], v[20:21]
	s_and_saveexec_b64 s[52:53], vcc
	s_cbranch_execz .LBB127_60
; %bb.59:                               ;   in Loop: Header=BB127_54 Depth=3
	v_lshl_add_u32 v19, v18, 5, v27
	ds_add_f32 v19, v23 offset:16
	ds_add_f32 v19, v22 offset:20
	s_xor_b64 s[50:51], exec, -1
.LBB127_60:                             ;   in Loop: Header=BB127_54 Depth=3
	s_or_b64 exec, exec, s[52:53]
	s_andn2_b64 s[44:45], s[44:45], exec
	s_and_b64 s[50:51], s[50:51], exec
	s_or_b64 s[44:45], s[44:45], s[50:51]
.LBB127_61:                             ;   in Loop: Header=BB127_54 Depth=3
	s_or_b64 exec, exec, s[46:47]
	s_and_b64 s[44:45], s[44:45], exec
.LBB127_62:                             ;   in Loop: Header=BB127_54 Depth=3
	s_andn2_saveexec_b64 s[40:41], s[40:41]
	s_cbranch_execz .LBB127_53
; %bb.63:                               ;   in Loop: Header=BB127_54 Depth=3
	v_lshl_add_u32 v19, v18, 5, v27
	ds_add_f32 v19, v23 offset:16
	ds_add_f32 v19, v22 offset:20
	s_andn2_b64 s[44:45], s[44:45], exec
	s_branch .LBB127_53
.LBB127_64:                             ;   in Loop: Header=BB127_28 Depth=2
	s_or_b64 exec, exec, s[36:37]
	v_mul_f32_e64 v18, v17, -v35
	v_mul_f32_e32 v17, v36, v17
	v_fmac_f32_e32 v18, v36, v16
	v_fmac_f32_e32 v17, v35, v16
	;; [unrolled: 1-line block ×4, first 2 shown]
	v_fma_f32 v16, -v34, v15, v18
	v_fmac_f32_e32 v17, v33, v15
	s_mov_b64 s[36:37], 0
	s_branch .LBB127_66
.LBB127_65:                             ;   in Loop: Header=BB127_66 Depth=3
	s_or_b64 exec, exec, s[40:41]
	s_xor_b64 s[40:41], s[44:45], -1
	s_and_b64 s[40:41], exec, s[40:41]
	s_or_b64 s[36:37], s[40:41], s[36:37]
	s_andn2_b64 exec, exec, s[36:37]
	s_cbranch_execz .LBB127_27
.LBB127_66:                             ;   Parent Loop BB127_25 Depth=1
                                        ;     Parent Loop BB127_28 Depth=2
                                        ; =>    This Inner Loop Header: Depth=3
	v_lshl_add_u32 v18, v12, 3, v28
	ds_read_b64 v[14:15], v18
                                        ; implicit-def: $sgpr44_sgpr45
	s_waitcnt lgkmcnt(0)
	v_cmp_ne_u64_e32 vcc, v[14:15], v[10:11]
	s_and_saveexec_b64 s[40:41], vcc
	s_xor_b64 s[40:41], exec, s[40:41]
	s_cbranch_execz .LBB127_74
; %bb.67:                               ;   in Loop: Header=BB127_66 Depth=3
	v_cmp_ne_u64_e32 vcc, s[42:43], v[14:15]
                                        ; implicit-def: $sgpr44_sgpr45
	s_and_saveexec_b64 s[46:47], vcc
	s_xor_b64 s[46:47], exec, s[46:47]
; %bb.68:                               ;   in Loop: Header=BB127_66 Depth=3
	v_add_u32_e32 v12, 1, v12
	v_and_b32_e32 v12, 7, v12
	s_mov_b64 s[44:45], -1
                                        ; implicit-def: $vgpr18
; %bb.69:                               ;   in Loop: Header=BB127_66 Depth=3
	s_andn2_saveexec_b64 s[46:47], s[46:47]
	s_cbranch_execz .LBB127_73
; %bb.70:                               ;   in Loop: Header=BB127_66 Depth=3
	v_pk_mov_b32 v[14:15], s[42:43], s[42:43] op_sel:[0,1]
	ds_cmpst_rtn_b64 v[14:15], v18, v[14:15], v[10:11]
	s_mov_b64 s[50:51], -1
	s_waitcnt lgkmcnt(0)
	v_cmp_eq_u64_e32 vcc, s[42:43], v[14:15]
	s_and_saveexec_b64 s[52:53], vcc
	s_cbranch_execz .LBB127_72
; %bb.71:                               ;   in Loop: Header=BB127_66 Depth=3
	v_lshl_add_u32 v14, v12, 5, v27
	ds_add_f32 v14, v16 offset:24
	ds_add_f32 v14, v17 offset:28
	s_xor_b64 s[50:51], exec, -1
.LBB127_72:                             ;   in Loop: Header=BB127_66 Depth=3
	s_or_b64 exec, exec, s[52:53]
	s_andn2_b64 s[44:45], s[44:45], exec
	s_and_b64 s[50:51], s[50:51], exec
	s_or_b64 s[44:45], s[44:45], s[50:51]
.LBB127_73:                             ;   in Loop: Header=BB127_66 Depth=3
	s_or_b64 exec, exec, s[46:47]
	s_and_b64 s[44:45], s[44:45], exec
.LBB127_74:                             ;   in Loop: Header=BB127_66 Depth=3
	s_andn2_saveexec_b64 s[40:41], s[40:41]
	s_cbranch_execz .LBB127_65
; %bb.75:                               ;   in Loop: Header=BB127_66 Depth=3
	v_lshl_add_u32 v14, v12, 5, v27
	ds_add_f32 v14, v16 offset:24
	ds_add_f32 v14, v17 offset:28
	s_andn2_b64 s[44:45], s[44:45], exec
	s_branch .LBB127_65
.LBB127_76:
	s_or_b64 exec, exec, s[4:5]
	s_andn2_b64 vcc, exec, s[48:49]
	s_waitcnt lgkmcnt(0)
	s_cbranch_vccnz .LBB127_20
.LBB127_77:
	s_waitcnt vmcnt(0)
	v_lshlrev_b64 v[0:1], 3, v[4:5]
	v_mov_b32_e32 v2, s23
	v_add_co_u32_e32 v0, vcc, s22, v0
	v_addc_co_u32_e32 v1, vcc, v2, v1, vcc
	global_load_dwordx4 v[6:9], v[0:1], off
	v_subrev_co_u32_e32 v2, vcc, s39, v26
	v_subb_co_u32_e64 v3, s[4:5], 0, 0, vcc
	s_mov_b32 s16, 0
	s_waitcnt vmcnt(0)
	v_subrev_co_u32_e32 v0, vcc, s39, v8
	v_subbrev_co_u32_e32 v1, vcc, 0, v9, vcc
	v_add_co_u32_e32 v2, vcc, v6, v2
	v_addc_co_u32_e32 v3, vcc, v7, v3, vcc
	v_cmp_lt_i64_e32 vcc, v[2:3], v[0:1]
	s_and_saveexec_b64 s[4:5], vcc
	s_cbranch_execz .LBB127_128
; %bb.78:
	s_cmp_eq_u32 s54, 0
	s_mov_b32 s28, s39
	s_cselect_b32 s29, 1, 2
	s_cselect_b32 s30, 2, 1
	s_mov_b64 s[6:7], 0
	v_mov_b32_e32 v9, s11
	v_mov_b32_e32 v20, s9
	;; [unrolled: 1-line block ×3, first 2 shown]
	s_branch .LBB127_80
.LBB127_79:                             ;   in Loop: Header=BB127_80 Depth=1
	s_or_b64 exec, exec, s[16:17]
	v_add_co_u32_e32 v2, vcc, 16, v2
	v_addc_co_u32_e32 v3, vcc, 0, v3, vcc
	v_cmp_ge_i64_e32 vcc, v[2:3], v[0:1]
	s_or_b64 s[6:7], vcc, s[6:7]
	s_andn2_b64 exec, exec, s[6:7]
	s_cbranch_execz .LBB127_128
.LBB127_80:                             ; =>This Loop Header: Depth=1
                                        ;     Child Loop BB127_82 Depth 2
                                        ;     Child Loop BB127_94 Depth 2
	;; [unrolled: 1-line block ×4, first 2 shown]
	v_lshlrev_b64 v[10:11], 5, v[2:3]
	v_lshlrev_b64 v[6:7], 2, v[2:3]
	v_add_co_u32_e32 v16, vcc, s10, v10
	v_addc_co_u32_e32 v17, vcc, v9, v11, vcc
	v_or_b32_e32 v11, 0, v7
	v_or_b32_e32 v10, s29, v6
	v_lshlrev_b64 v[10:11], 3, v[10:11]
	v_add_co_u32_e32 v22, vcc, s10, v10
	v_addc_co_u32_e32 v23, vcc, v9, v11, vcc
	v_lshlrev_b64 v[10:11], 3, v[2:3]
	v_add_co_u32_e32 v10, vcc, s8, v10
	v_or_b32_e32 v7, 0, v7
	v_or_b32_e32 v6, s30, v6
	v_addc_co_u32_e32 v11, vcc, v20, v11, vcc
	global_load_dwordx2 v[24:25], v[10:11], off
	v_lshlrev_b64 v[6:7], 3, v[6:7]
	global_load_dwordx2 v[18:19], v[16:17], off
	v_add_co_u32_e32 v6, vcc, s10, v6
	v_addc_co_u32_e32 v7, vcc, v9, v7, vcc
	global_load_dwordx2 v[10:11], v[16:17], off offset:24
	global_load_dwordx2 v[14:15], v[22:23], off
	global_load_dwordx2 v[12:13], v[6:7], off
	s_mov_b64 s[16:17], 0
	s_waitcnt vmcnt(4)
	v_subrev_co_u32_e32 v6, vcc, s28, v24
	s_waitcnt vmcnt(3)
	v_mul_f32_e64 v22, v19, -s34
	v_mul_f32_e32 v23, s33, v19
	v_and_b32_e32 v8, 7, v6
	v_subb_co_u32_e32 v7, vcc, v25, v21, vcc
	v_fmac_f32_e32 v22, s33, v18
	v_fmac_f32_e32 v23, s34, v18
	v_pk_mov_b32 v[16:17], v[8:9], v[8:9] op_sel:[0,1]
	s_branch .LBB127_82
.LBB127_81:                             ;   in Loop: Header=BB127_82 Depth=2
	s_or_b64 exec, exec, s[18:19]
	s_xor_b64 s[18:19], s[20:21], -1
	s_and_b64 s[18:19], exec, s[18:19]
	s_or_b64 s[16:17], s[18:19], s[16:17]
	s_andn2_b64 exec, exec, s[16:17]
	s_cbranch_execz .LBB127_92
.LBB127_82:                             ;   Parent Loop BB127_80 Depth=1
                                        ; =>  This Inner Loop Header: Depth=2
	v_lshl_add_u32 v17, v16, 3, v28
	ds_read_b64 v[18:19], v17
                                        ; implicit-def: $sgpr20_sgpr21
	s_waitcnt lgkmcnt(0)
	v_cmp_ne_u64_e32 vcc, v[18:19], v[6:7]
	s_and_saveexec_b64 s[18:19], vcc
	s_xor_b64 s[18:19], exec, s[18:19]
	s_cbranch_execz .LBB127_90
; %bb.83:                               ;   in Loop: Header=BB127_82 Depth=2
	v_cmp_ne_u64_e32 vcc, s[42:43], v[18:19]
                                        ; implicit-def: $sgpr20_sgpr21
	s_and_saveexec_b64 s[22:23], vcc
	s_xor_b64 s[22:23], exec, s[22:23]
; %bb.84:                               ;   in Loop: Header=BB127_82 Depth=2
	v_add_u32_e32 v16, 1, v16
	v_and_b32_e32 v16, 7, v16
	s_mov_b64 s[20:21], -1
                                        ; implicit-def: $vgpr17
; %bb.85:                               ;   in Loop: Header=BB127_82 Depth=2
	s_andn2_saveexec_b64 s[22:23], s[22:23]
	s_cbranch_execz .LBB127_89
; %bb.86:                               ;   in Loop: Header=BB127_82 Depth=2
	v_pk_mov_b32 v[18:19], s[42:43], s[42:43] op_sel:[0,1]
	ds_cmpst_rtn_b64 v[18:19], v17, v[18:19], v[6:7]
	s_mov_b64 s[24:25], -1
	s_waitcnt lgkmcnt(0)
	v_cmp_eq_u64_e32 vcc, s[42:43], v[18:19]
	s_and_saveexec_b64 s[26:27], vcc
	s_cbranch_execz .LBB127_88
; %bb.87:                               ;   in Loop: Header=BB127_82 Depth=2
	v_lshl_add_u32 v17, v16, 5, v27
	ds_add_f32 v17, v22
	ds_add_f32 v17, v23 offset:4
	s_xor_b64 s[24:25], exec, -1
.LBB127_88:                             ;   in Loop: Header=BB127_82 Depth=2
	s_or_b64 exec, exec, s[26:27]
	s_andn2_b64 s[20:21], s[20:21], exec
	s_and_b64 s[24:25], s[24:25], exec
	s_or_b64 s[20:21], s[20:21], s[24:25]
.LBB127_89:                             ;   in Loop: Header=BB127_82 Depth=2
	s_or_b64 exec, exec, s[22:23]
	s_and_b64 s[20:21], s[20:21], exec
.LBB127_90:                             ;   in Loop: Header=BB127_82 Depth=2
	s_andn2_saveexec_b64 s[18:19], s[18:19]
	s_cbranch_execz .LBB127_81
; %bb.91:                               ;   in Loop: Header=BB127_82 Depth=2
	v_lshl_add_u32 v17, v16, 5, v27
	ds_add_f32 v17, v22
	ds_add_f32 v17, v23 offset:4
	s_andn2_b64 s[20:21], s[20:21], exec
	s_branch .LBB127_81
.LBB127_92:                             ;   in Loop: Header=BB127_80 Depth=1
	s_or_b64 exec, exec, s[16:17]
	s_waitcnt vmcnt(1)
	v_mul_f32_e64 v18, v15, -s34
	v_mul_f32_e32 v19, s33, v15
	v_fmac_f32_e32 v18, s33, v14
	v_fmac_f32_e32 v19, s34, v14
	s_mov_b64 s[16:17], 0
	v_pk_mov_b32 v[14:15], v[8:9], v[8:9] op_sel:[0,1]
	s_branch .LBB127_94
.LBB127_93:                             ;   in Loop: Header=BB127_94 Depth=2
	s_or_b64 exec, exec, s[18:19]
	s_xor_b64 s[18:19], s[20:21], -1
	s_and_b64 s[18:19], exec, s[18:19]
	s_or_b64 s[16:17], s[18:19], s[16:17]
	s_andn2_b64 exec, exec, s[16:17]
	s_cbranch_execz .LBB127_104
.LBB127_94:                             ;   Parent Loop BB127_80 Depth=1
                                        ; =>  This Inner Loop Header: Depth=2
	v_lshl_add_u32 v15, v14, 3, v28
	ds_read_b64 v[16:17], v15
                                        ; implicit-def: $sgpr20_sgpr21
	s_waitcnt lgkmcnt(0)
	v_cmp_ne_u64_e32 vcc, v[16:17], v[6:7]
	s_and_saveexec_b64 s[18:19], vcc
	s_xor_b64 s[18:19], exec, s[18:19]
	s_cbranch_execz .LBB127_102
; %bb.95:                               ;   in Loop: Header=BB127_94 Depth=2
	v_cmp_ne_u64_e32 vcc, s[42:43], v[16:17]
                                        ; implicit-def: $sgpr20_sgpr21
	s_and_saveexec_b64 s[22:23], vcc
	s_xor_b64 s[22:23], exec, s[22:23]
; %bb.96:                               ;   in Loop: Header=BB127_94 Depth=2
	v_add_u32_e32 v14, 1, v14
	v_and_b32_e32 v14, 7, v14
	s_mov_b64 s[20:21], -1
                                        ; implicit-def: $vgpr15
; %bb.97:                               ;   in Loop: Header=BB127_94 Depth=2
	s_andn2_saveexec_b64 s[22:23], s[22:23]
	s_cbranch_execz .LBB127_101
; %bb.98:                               ;   in Loop: Header=BB127_94 Depth=2
	v_pk_mov_b32 v[16:17], s[42:43], s[42:43] op_sel:[0,1]
	ds_cmpst_rtn_b64 v[16:17], v15, v[16:17], v[6:7]
	s_mov_b64 s[24:25], -1
	s_waitcnt lgkmcnt(0)
	v_cmp_eq_u64_e32 vcc, s[42:43], v[16:17]
	s_and_saveexec_b64 s[26:27], vcc
	s_cbranch_execz .LBB127_100
; %bb.99:                               ;   in Loop: Header=BB127_94 Depth=2
	v_lshl_add_u32 v15, v14, 5, v27
	ds_add_f32 v15, v18 offset:8
	ds_add_f32 v15, v19 offset:12
	s_xor_b64 s[24:25], exec, -1
.LBB127_100:                            ;   in Loop: Header=BB127_94 Depth=2
	s_or_b64 exec, exec, s[26:27]
	s_andn2_b64 s[20:21], s[20:21], exec
	s_and_b64 s[24:25], s[24:25], exec
	s_or_b64 s[20:21], s[20:21], s[24:25]
.LBB127_101:                            ;   in Loop: Header=BB127_94 Depth=2
	s_or_b64 exec, exec, s[22:23]
	s_and_b64 s[20:21], s[20:21], exec
.LBB127_102:                            ;   in Loop: Header=BB127_94 Depth=2
	s_andn2_saveexec_b64 s[18:19], s[18:19]
	s_cbranch_execz .LBB127_93
; %bb.103:                              ;   in Loop: Header=BB127_94 Depth=2
	v_lshl_add_u32 v15, v14, 5, v27
	ds_add_f32 v15, v18 offset:8
	ds_add_f32 v15, v19 offset:12
	s_andn2_b64 s[20:21], s[20:21], exec
	s_branch .LBB127_93
.LBB127_104:                            ;   in Loop: Header=BB127_80 Depth=1
	s_or_b64 exec, exec, s[16:17]
	s_waitcnt vmcnt(0)
	v_mul_f32_e64 v16, v13, -s34
	v_mul_f32_e32 v17, s33, v13
	v_fmac_f32_e32 v16, s33, v12
	v_fmac_f32_e32 v17, s34, v12
	s_mov_b64 s[16:17], 0
	v_pk_mov_b32 v[12:13], v[8:9], v[8:9] op_sel:[0,1]
	s_branch .LBB127_106
.LBB127_105:                            ;   in Loop: Header=BB127_106 Depth=2
	s_or_b64 exec, exec, s[18:19]
	s_xor_b64 s[18:19], s[20:21], -1
	s_and_b64 s[18:19], exec, s[18:19]
	s_or_b64 s[16:17], s[18:19], s[16:17]
	s_andn2_b64 exec, exec, s[16:17]
	s_cbranch_execz .LBB127_116
.LBB127_106:                            ;   Parent Loop BB127_80 Depth=1
                                        ; =>  This Inner Loop Header: Depth=2
	v_lshl_add_u32 v13, v12, 3, v28
	ds_read_b64 v[14:15], v13
                                        ; implicit-def: $sgpr20_sgpr21
	s_waitcnt lgkmcnt(0)
	v_cmp_ne_u64_e32 vcc, v[14:15], v[6:7]
	s_and_saveexec_b64 s[18:19], vcc
	s_xor_b64 s[18:19], exec, s[18:19]
	s_cbranch_execz .LBB127_114
; %bb.107:                              ;   in Loop: Header=BB127_106 Depth=2
	v_cmp_ne_u64_e32 vcc, s[42:43], v[14:15]
                                        ; implicit-def: $sgpr20_sgpr21
	s_and_saveexec_b64 s[22:23], vcc
	s_xor_b64 s[22:23], exec, s[22:23]
; %bb.108:                              ;   in Loop: Header=BB127_106 Depth=2
	v_add_u32_e32 v12, 1, v12
	v_and_b32_e32 v12, 7, v12
	s_mov_b64 s[20:21], -1
                                        ; implicit-def: $vgpr13
; %bb.109:                              ;   in Loop: Header=BB127_106 Depth=2
	s_andn2_saveexec_b64 s[22:23], s[22:23]
	s_cbranch_execz .LBB127_113
; %bb.110:                              ;   in Loop: Header=BB127_106 Depth=2
	v_pk_mov_b32 v[14:15], s[42:43], s[42:43] op_sel:[0,1]
	ds_cmpst_rtn_b64 v[14:15], v13, v[14:15], v[6:7]
	s_mov_b64 s[24:25], -1
	s_waitcnt lgkmcnt(0)
	v_cmp_eq_u64_e32 vcc, s[42:43], v[14:15]
	s_and_saveexec_b64 s[26:27], vcc
	s_cbranch_execz .LBB127_112
; %bb.111:                              ;   in Loop: Header=BB127_106 Depth=2
	v_lshl_add_u32 v13, v12, 5, v27
	ds_add_f32 v13, v16 offset:16
	ds_add_f32 v13, v17 offset:20
	s_xor_b64 s[24:25], exec, -1
.LBB127_112:                            ;   in Loop: Header=BB127_106 Depth=2
	s_or_b64 exec, exec, s[26:27]
	s_andn2_b64 s[20:21], s[20:21], exec
	s_and_b64 s[24:25], s[24:25], exec
	s_or_b64 s[20:21], s[20:21], s[24:25]
.LBB127_113:                            ;   in Loop: Header=BB127_106 Depth=2
	s_or_b64 exec, exec, s[22:23]
	s_and_b64 s[20:21], s[20:21], exec
.LBB127_114:                            ;   in Loop: Header=BB127_106 Depth=2
	s_andn2_saveexec_b64 s[18:19], s[18:19]
	s_cbranch_execz .LBB127_105
; %bb.115:                              ;   in Loop: Header=BB127_106 Depth=2
	v_lshl_add_u32 v13, v12, 5, v27
	ds_add_f32 v13, v16 offset:16
	ds_add_f32 v13, v17 offset:20
	s_andn2_b64 s[20:21], s[20:21], exec
	s_branch .LBB127_105
.LBB127_116:                            ;   in Loop: Header=BB127_80 Depth=1
	s_or_b64 exec, exec, s[16:17]
	v_mul_f32_e64 v12, v11, -s34
	v_mul_f32_e32 v13, s33, v11
	v_fmac_f32_e32 v12, s33, v10
	v_fmac_f32_e32 v13, s34, v10
	s_mov_b64 s[16:17], 0
	s_branch .LBB127_118
.LBB127_117:                            ;   in Loop: Header=BB127_118 Depth=2
	s_or_b64 exec, exec, s[18:19]
	s_xor_b64 s[18:19], s[20:21], -1
	s_and_b64 s[18:19], exec, s[18:19]
	s_or_b64 s[16:17], s[18:19], s[16:17]
	s_andn2_b64 exec, exec, s[16:17]
	s_cbranch_execz .LBB127_79
.LBB127_118:                            ;   Parent Loop BB127_80 Depth=1
                                        ; =>  This Inner Loop Header: Depth=2
	v_lshl_add_u32 v14, v8, 3, v28
	ds_read_b64 v[10:11], v14
                                        ; implicit-def: $sgpr20_sgpr21
	s_waitcnt lgkmcnt(0)
	v_cmp_ne_u64_e32 vcc, v[10:11], v[6:7]
	s_and_saveexec_b64 s[18:19], vcc
	s_xor_b64 s[18:19], exec, s[18:19]
	s_cbranch_execz .LBB127_126
; %bb.119:                              ;   in Loop: Header=BB127_118 Depth=2
	v_cmp_ne_u64_e32 vcc, s[42:43], v[10:11]
                                        ; implicit-def: $sgpr20_sgpr21
	s_and_saveexec_b64 s[22:23], vcc
	s_xor_b64 s[22:23], exec, s[22:23]
; %bb.120:                              ;   in Loop: Header=BB127_118 Depth=2
	v_add_u32_e32 v8, 1, v8
	v_and_b32_e32 v8, 7, v8
	s_mov_b64 s[20:21], -1
                                        ; implicit-def: $vgpr14
; %bb.121:                              ;   in Loop: Header=BB127_118 Depth=2
	s_andn2_saveexec_b64 s[22:23], s[22:23]
	s_cbranch_execz .LBB127_125
; %bb.122:                              ;   in Loop: Header=BB127_118 Depth=2
	v_pk_mov_b32 v[10:11], s[42:43], s[42:43] op_sel:[0,1]
	ds_cmpst_rtn_b64 v[10:11], v14, v[10:11], v[6:7]
	s_mov_b64 s[24:25], -1
	s_waitcnt lgkmcnt(0)
	v_cmp_eq_u64_e32 vcc, s[42:43], v[10:11]
	s_and_saveexec_b64 s[26:27], vcc
	s_cbranch_execz .LBB127_124
; %bb.123:                              ;   in Loop: Header=BB127_118 Depth=2
	v_lshl_add_u32 v10, v8, 5, v27
	ds_add_f32 v10, v12 offset:24
	ds_add_f32 v10, v13 offset:28
	s_xor_b64 s[24:25], exec, -1
.LBB127_124:                            ;   in Loop: Header=BB127_118 Depth=2
	s_or_b64 exec, exec, s[26:27]
	s_andn2_b64 s[20:21], s[20:21], exec
	s_and_b64 s[24:25], s[24:25], exec
	s_or_b64 s[20:21], s[20:21], s[24:25]
.LBB127_125:                            ;   in Loop: Header=BB127_118 Depth=2
	s_or_b64 exec, exec, s[22:23]
	s_and_b64 s[20:21], s[20:21], exec
.LBB127_126:                            ;   in Loop: Header=BB127_118 Depth=2
	s_andn2_saveexec_b64 s[18:19], s[18:19]
	s_cbranch_execz .LBB127_117
; %bb.127:                              ;   in Loop: Header=BB127_118 Depth=2
	v_lshl_add_u32 v10, v8, 5, v27
	ds_add_f32 v10, v12 offset:24
	ds_add_f32 v10, v13 offset:28
	s_andn2_b64 s[20:21], s[20:21], exec
	s_branch .LBB127_117
.LBB127_128:
	s_or_b64 exec, exec, s[4:5]
	s_waitcnt lgkmcnt(0)
	s_and_b64 exec, exec, s[0:1]
	s_cbranch_execz .LBB127_21
.LBB127_129:
	v_lshl_add_u32 v0, v26, 3, v28
	ds_read_b64 v[0:1], v0
	s_waitcnt lgkmcnt(0)
	v_cmp_gt_i64_e32 vcc, s[42:43], v[0:1]
	s_and_b64 exec, exec, vcc
	s_cbranch_execz .LBB127_21
; %bb.130:
	s_waitcnt vmcnt(0)
	v_lshlrev_b64 v[2:3], 3, v[4:5]
	v_mov_b32_e32 v4, s13
	v_add_co_u32_e32 v2, vcc, s12, v2
	v_addc_co_u32_e32 v3, vcc, v4, v3, vcc
	global_load_dwordx2 v[22:23], v[2:3], off
	s_cmp_eq_u32 s54, 0
	ds_read_b128 v[2:5], v28
	ds_read_b128 v[6:9], v28 offset:16
	ds_read_b128 v[10:13], v28 offset:32
	;; [unrolled: 1-line block ×3, first 2 shown]
	v_add_co_u32_e32 v24, vcc, s38, v0
	v_addc_co_u32_e32 v25, vcc, 0, v1, vcc
	v_lshlrev_b32_e32 v29, 2, v26
	s_cselect_b32 s0, 1, 2
	s_cselect_b32 s1, 2, 1
	v_or_b32_e32 v30, s0, v29
	v_or_b32_e32 v29, s1, v29
	s_waitcnt lgkmcnt(3)
	v_cmp_gt_i64_e32 vcc, v[0:1], v[2:3]
	v_lshl_add_u32 v18, v26, 5, v27
	v_lshl_add_u32 v30, v30, 3, v27
	;; [unrolled: 1-line block ×3, first 2 shown]
	v_cndmask_b32_e64 v29, 0, 1, vcc
	v_cmp_gt_i64_e32 vcc, v[0:1], v[4:5]
	v_cndmask_b32_e64 v4, 0, 1, vcc
	s_waitcnt lgkmcnt(2)
	v_cmp_gt_i64_e32 vcc, v[0:1], v[6:7]
	v_cndmask_b32_e64 v5, 0, 1, vcc
	v_cmp_gt_i64_e32 vcc, v[0:1], v[8:9]
	v_cndmask_b32_e64 v6, 0, 1, vcc
	s_waitcnt lgkmcnt(1)
	v_cmp_gt_i64_e32 vcc, v[0:1], v[10:11]
	;; [unrolled: 5-line block ×3, first 2 shown]
	v_cndmask_b32_e64 v9, 0, 1, vcc
	v_cmp_gt_i64_e32 vcc, v[0:1], v[16:17]
	v_cndmask_b32_e64 v10, 0, 1, vcc
	ds_read2_b64 v[18:21], v18 offset1:3
	v_mov_b32_e32 v28, s15
	v_mov_b32_e32 v26, s3
	s_waitcnt lgkmcnt(0)
	v_mov_b32_e32 v0, v18
	v_mov_b32_e32 v1, v19
	ds_read_b64 v[2:3], v30
	ds_read_b64 v[18:19], v27
	s_waitcnt vmcnt(0)
	v_subrev_co_u32_e32 v11, vcc, s38, v22
	v_subbrev_co_u32_e32 v12, vcc, 0, v23, vcc
	v_add_co_u32_e32 v11, vcc, v11, v29
	v_addc_co_u32_e32 v12, vcc, 0, v12, vcc
	v_add_co_u32_e32 v4, vcc, v11, v4
	v_addc_co_u32_e32 v11, vcc, 0, v12, vcc
	;; [unrolled: 2-line block ×8, first 2 shown]
	v_lshlrev_b64 v[6:7], 3, v[4:5]
	v_add_co_u32_e32 v6, vcc, s14, v6
	v_lshlrev_b64 v[4:5], 5, v[4:5]
	v_addc_co_u32_e32 v7, vcc, v28, v7, vcc
	v_add_co_u32_e32 v4, vcc, s2, v4
	v_addc_co_u32_e32 v5, vcc, v26, v5, vcc
	global_store_dwordx2 v[6:7], v[24:25], off
	s_waitcnt lgkmcnt(1)
	global_store_dwordx4 v[4:5], v[0:3], off
	s_waitcnt lgkmcnt(0)
	global_store_dwordx4 v[4:5], v[18:21], off offset:16
	s_endpgm
	.section	.rodata,"a",@progbits
	.p2align	6, 0x0
	.amdhsa_kernel _ZN9rocsparseL27bsrgemm_fill_wf_per_row_2x2ILj256ELj16ELj8ELj137Ell21rocsparse_complex_numIfEEEv20rocsparse_direction_T4_S4_PKS4_S6_NS_24const_host_device_scalarIT5_EEPKT3_S6_PKS8_SC_S6_SE_S9_SC_S6_SE_SC_PS4_PS8_21rocsparse_index_base_SH_SH_SH_bbb
		.amdhsa_group_segment_fixed_size 5120
		.amdhsa_private_segment_fixed_size 0
		.amdhsa_kernarg_size 172
		.amdhsa_user_sgpr_count 6
		.amdhsa_user_sgpr_private_segment_buffer 1
		.amdhsa_user_sgpr_dispatch_ptr 0
		.amdhsa_user_sgpr_queue_ptr 0
		.amdhsa_user_sgpr_kernarg_segment_ptr 1
		.amdhsa_user_sgpr_dispatch_id 0
		.amdhsa_user_sgpr_flat_scratch_init 0
		.amdhsa_user_sgpr_kernarg_preload_length 0
		.amdhsa_user_sgpr_kernarg_preload_offset 0
		.amdhsa_user_sgpr_private_segment_size 0
		.amdhsa_uses_dynamic_stack 0
		.amdhsa_system_sgpr_private_segment_wavefront_offset 0
		.amdhsa_system_sgpr_workgroup_id_x 1
		.amdhsa_system_sgpr_workgroup_id_y 0
		.amdhsa_system_sgpr_workgroup_id_z 0
		.amdhsa_system_sgpr_workgroup_info 0
		.amdhsa_system_vgpr_workitem_id 0
		.amdhsa_next_free_vgpr 41
		.amdhsa_next_free_sgpr 61
		.amdhsa_accum_offset 44
		.amdhsa_reserve_vcc 1
		.amdhsa_reserve_flat_scratch 0
		.amdhsa_float_round_mode_32 0
		.amdhsa_float_round_mode_16_64 0
		.amdhsa_float_denorm_mode_32 3
		.amdhsa_float_denorm_mode_16_64 3
		.amdhsa_dx10_clamp 1
		.amdhsa_ieee_mode 1
		.amdhsa_fp16_overflow 0
		.amdhsa_tg_split 0
		.amdhsa_exception_fp_ieee_invalid_op 0
		.amdhsa_exception_fp_denorm_src 0
		.amdhsa_exception_fp_ieee_div_zero 0
		.amdhsa_exception_fp_ieee_overflow 0
		.amdhsa_exception_fp_ieee_underflow 0
		.amdhsa_exception_fp_ieee_inexact 0
		.amdhsa_exception_int_div_zero 0
	.end_amdhsa_kernel
	.section	.text._ZN9rocsparseL27bsrgemm_fill_wf_per_row_2x2ILj256ELj16ELj8ELj137Ell21rocsparse_complex_numIfEEEv20rocsparse_direction_T4_S4_PKS4_S6_NS_24const_host_device_scalarIT5_EEPKT3_S6_PKS8_SC_S6_SE_S9_SC_S6_SE_SC_PS4_PS8_21rocsparse_index_base_SH_SH_SH_bbb,"axG",@progbits,_ZN9rocsparseL27bsrgemm_fill_wf_per_row_2x2ILj256ELj16ELj8ELj137Ell21rocsparse_complex_numIfEEEv20rocsparse_direction_T4_S4_PKS4_S6_NS_24const_host_device_scalarIT5_EEPKT3_S6_PKS8_SC_S6_SE_S9_SC_S6_SE_SC_PS4_PS8_21rocsparse_index_base_SH_SH_SH_bbb,comdat
.Lfunc_end127:
	.size	_ZN9rocsparseL27bsrgemm_fill_wf_per_row_2x2ILj256ELj16ELj8ELj137Ell21rocsparse_complex_numIfEEEv20rocsparse_direction_T4_S4_PKS4_S6_NS_24const_host_device_scalarIT5_EEPKT3_S6_PKS8_SC_S6_SE_S9_SC_S6_SE_SC_PS4_PS8_21rocsparse_index_base_SH_SH_SH_bbb, .Lfunc_end127-_ZN9rocsparseL27bsrgemm_fill_wf_per_row_2x2ILj256ELj16ELj8ELj137Ell21rocsparse_complex_numIfEEEv20rocsparse_direction_T4_S4_PKS4_S6_NS_24const_host_device_scalarIT5_EEPKT3_S6_PKS8_SC_S6_SE_S9_SC_S6_SE_SC_PS4_PS8_21rocsparse_index_base_SH_SH_SH_bbb
                                        ; -- End function
	.section	.AMDGPU.csdata,"",@progbits
; Kernel info:
; codeLenInByte = 4108
; NumSgprs: 65
; NumVgprs: 41
; NumAgprs: 0
; TotalNumVgprs: 41
; ScratchSize: 0
; MemoryBound: 0
; FloatMode: 240
; IeeeMode: 1
; LDSByteSize: 5120 bytes/workgroup (compile time only)
; SGPRBlocks: 8
; VGPRBlocks: 5
; NumSGPRsForWavesPerEU: 65
; NumVGPRsForWavesPerEU: 41
; AccumOffset: 44
; Occupancy: 8
; WaveLimiterHint : 1
; COMPUTE_PGM_RSRC2:SCRATCH_EN: 0
; COMPUTE_PGM_RSRC2:USER_SGPR: 6
; COMPUTE_PGM_RSRC2:TRAP_HANDLER: 0
; COMPUTE_PGM_RSRC2:TGID_X_EN: 1
; COMPUTE_PGM_RSRC2:TGID_Y_EN: 0
; COMPUTE_PGM_RSRC2:TGID_Z_EN: 0
; COMPUTE_PGM_RSRC2:TIDIG_COMP_CNT: 0
; COMPUTE_PGM_RSRC3_GFX90A:ACCUM_OFFSET: 10
; COMPUTE_PGM_RSRC3_GFX90A:TG_SPLIT: 0
	.section	.text._ZN9rocsparseL27bsrgemm_fill_wf_per_row_2x2ILj256ELj16ELj16ELj137Ell21rocsparse_complex_numIfEEEv20rocsparse_direction_T4_S4_PKS4_S6_NS_24const_host_device_scalarIT5_EEPKT3_S6_PKS8_SC_S6_SE_S9_SC_S6_SE_SC_PS4_PS8_21rocsparse_index_base_SH_SH_SH_bbb,"axG",@progbits,_ZN9rocsparseL27bsrgemm_fill_wf_per_row_2x2ILj256ELj16ELj16ELj137Ell21rocsparse_complex_numIfEEEv20rocsparse_direction_T4_S4_PKS4_S6_NS_24const_host_device_scalarIT5_EEPKT3_S6_PKS8_SC_S6_SE_S9_SC_S6_SE_SC_PS4_PS8_21rocsparse_index_base_SH_SH_SH_bbb,comdat
	.globl	_ZN9rocsparseL27bsrgemm_fill_wf_per_row_2x2ILj256ELj16ELj16ELj137Ell21rocsparse_complex_numIfEEEv20rocsparse_direction_T4_S4_PKS4_S6_NS_24const_host_device_scalarIT5_EEPKT3_S6_PKS8_SC_S6_SE_S9_SC_S6_SE_SC_PS4_PS8_21rocsparse_index_base_SH_SH_SH_bbb ; -- Begin function _ZN9rocsparseL27bsrgemm_fill_wf_per_row_2x2ILj256ELj16ELj16ELj137Ell21rocsparse_complex_numIfEEEv20rocsparse_direction_T4_S4_PKS4_S6_NS_24const_host_device_scalarIT5_EEPKT3_S6_PKS8_SC_S6_SE_S9_SC_S6_SE_SC_PS4_PS8_21rocsparse_index_base_SH_SH_SH_bbb
	.p2align	8
	.type	_ZN9rocsparseL27bsrgemm_fill_wf_per_row_2x2ILj256ELj16ELj16ELj137Ell21rocsparse_complex_numIfEEEv20rocsparse_direction_T4_S4_PKS4_S6_NS_24const_host_device_scalarIT5_EEPKT3_S6_PKS8_SC_S6_SE_S9_SC_S6_SE_SC_PS4_PS8_21rocsparse_index_base_SH_SH_SH_bbb,@function
_ZN9rocsparseL27bsrgemm_fill_wf_per_row_2x2ILj256ELj16ELj16ELj137Ell21rocsparse_complex_numIfEEEv20rocsparse_direction_T4_S4_PKS4_S6_NS_24const_host_device_scalarIT5_EEPKT3_S6_PKS8_SC_S6_SE_S9_SC_S6_SE_SC_PS4_PS8_21rocsparse_index_base_SH_SH_SH_bbb: ; @_ZN9rocsparseL27bsrgemm_fill_wf_per_row_2x2ILj256ELj16ELj16ELj137Ell21rocsparse_complex_numIfEEEv20rocsparse_direction_T4_S4_PKS4_S6_NS_24const_host_device_scalarIT5_EEPKT3_S6_PKS8_SC_S6_SE_S9_SC_S6_SE_SC_PS4_PS8_21rocsparse_index_base_SH_SH_SH_bbb
; %bb.0:
	s_load_dwordx8 s[8:15], s[4:5], 0x70
	s_load_dwordx8 s[16:23], s[4:5], 0x50
	s_load_dword s2, s[4:5], 0xa8
	s_load_dwordx4 s[40:43], s[4:5], 0x18
	s_load_dwordx8 s[24:31], s[4:5], 0x30
	s_load_dwordx2 s[34:35], s[4:5], 0x90
	s_load_dwordx4 s[36:39], s[4:5], 0x98
	s_waitcnt lgkmcnt(0)
	s_bitcmp1_b32 s2, 0
	s_cselect_b64 s[48:49], -1, 0
	s_bitcmp1_b32 s2, 16
	s_cselect_b64 s[0:1], -1, 0
	s_xor_b64 s[0:1], s[0:1], -1
	v_cndmask_b32_e64 v1, 0, 1, s[0:1]
	s_mov_b32 s45, 0
	s_bitcmp0_b32 s2, 0
	v_cmp_ne_u32_e64 s[0:1], 1, v1
	s_mov_b32 s53, 0
	s_cbranch_scc1 .LBB128_5
; %bb.1:
	s_load_dwordx2 s[44:45], s[4:5], 0x28
	s_and_b64 vcc, exec, s[0:1]
	s_waitcnt lgkmcnt(0)
	s_mov_b32 s53, s44
	s_cbranch_vccnz .LBB128_3
; %bb.2:
	s_load_dword s53, s[44:45], 0x0
.LBB128_3:
	s_and_b64 vcc, exec, s[0:1]
	s_cbranch_vccnz .LBB128_5
; %bb.4:
	s_load_dword s45, s[44:45], 0x4
.LBB128_5:
	s_bitcmp1_b32 s2, 8
	s_cselect_b64 s[46:47], -1, 0
	s_bfe_u32 s2, s2, 0x10008
	s_mov_b32 s44, 0
	s_cmp_eq_u32 s2, 0
	s_mov_b32 s33, 0
	s_cbranch_scc1 .LBB128_11
; %bb.6:
	s_and_b64 vcc, exec, s[0:1]
	s_mov_b32 s33, s20
	s_cbranch_vccnz .LBB128_8
; %bb.7:
	s_load_dword s33, s[20:21], 0x0
.LBB128_8:
	s_and_b64 vcc, exec, s[0:1]
	s_cbranch_vccnz .LBB128_10
; %bb.9:
	s_load_dword s21, s[20:21], 0x4
.LBB128_10:
	s_waitcnt lgkmcnt(0)
	s_mov_b32 s44, s21
.LBB128_11:
	s_load_dwordx4 s[0:3], s[4:5], 0x8
	v_and_b32_e32 v26, 15, v0
	v_lshrrev_b32_e32 v2, 4, v0
	v_and_b32_e32 v0, 0xf0, v0
	v_mov_b32_e32 v1, 0x2000
	v_lshl_or_b32 v28, v0, 3, v1
	v_lshlrev_b32_e32 v4, 3, v26
	v_or_b32_e32 v29, v28, v4
	s_waitcnt lgkmcnt(0)
	v_pk_mov_b32 v[0:1], s[2:3], s[2:3] op_sel:[0,1]
	ds_write_b64 v29, v[0:1]
	v_mov_b32_e32 v0, 0
	v_or_b32_e32 v3, -16, v26
	v_lshl_or_b32 v4, v2, 9, v4
	s_mov_b64 s[20:21], 0
	v_mov_b32_e32 v1, v0
.LBB128_12:                             ; =>This Inner Loop Header: Depth=1
	v_add_u32_e32 v3, 16, v3
	v_cmp_lt_u32_e32 vcc, 47, v3
	ds_write_b64 v4, v[0:1]
	s_or_b64 s[20:21], vcc, s[20:21]
	v_add_u32_e32 v4, 0x80, v4
	s_andn2_b64 exec, exec, s[20:21]
	s_cbranch_execnz .LBB128_12
; %bb.13:
	s_or_b64 exec, exec, s[20:21]
	v_lshl_or_b32 v0, s6, 4, v2
	v_mov_b32_e32 v1, 0
	v_cmp_gt_i64_e32 vcc, s[0:1], v[0:1]
	s_waitcnt lgkmcnt(0)
	s_barrier
	s_and_saveexec_b64 s[0:1], vcc
	s_cbranch_execz .LBB128_127
; %bb.14:
	s_cmp_eq_u64 s[42:43], 0
	s_cbranch_scc1 .LBB128_16
; %bb.15:
	s_load_dwordx2 s[0:1], s[40:41], 0x0
	v_lshlrev_b64 v[0:1], 3, v[0:1]
	s_waitcnt lgkmcnt(0)
	s_lshl_b64 s[0:1], s[0:1], 3
	s_add_u32 s0, s42, s0
	s_addc_u32 s1, s43, s1
	v_mov_b32_e32 v3, s1
	v_add_co_u32_e32 v0, vcc, s0, v0
	v_addc_co_u32_e32 v1, vcc, v3, v1, vcc
	global_load_dwordx2 v[0:1], v[0:1], off
.LBB128_16:
	s_load_dword s52, s[4:5], 0x0
	v_lshlrev_b32_e32 v27, 9, v2
	s_andn2_b64 vcc, exec, s[48:49]
	s_waitcnt vmcnt(0)
	v_lshlrev_b64 v[4:5], 3, v[0:1]
	s_cbranch_vccnz .LBB128_72
; %bb.17:
	v_mov_b32_e32 v1, s25
	v_add_co_u32_e32 v0, vcc, s24, v4
	v_addc_co_u32_e32 v1, vcc, v1, v5, vcc
	global_load_dwordx4 v[0:3], v[0:1], off
	v_subrev_co_u32_e32 v8, vcc, s36, v26
	v_subb_co_u32_e64 v9, s[0:1], 0, 0, vcc
	s_mov_b32 s6, 0
	s_waitcnt vmcnt(0)
	v_subrev_co_u32_e32 v6, vcc, s36, v2
	v_subbrev_co_u32_e32 v7, vcc, 0, v3, vcc
	v_add_co_u32_e32 v8, vcc, v0, v8
	v_addc_co_u32_e32 v9, vcc, v1, v9, vcc
	v_cmp_lt_i64_e32 vcc, v[8:9], v[6:7]
	s_and_saveexec_b64 s[0:1], vcc
	s_cbranch_execz .LBB128_71
; %bb.18:
	s_waitcnt lgkmcnt(0)
	s_cmp_eq_u32 s52, 0
	s_mov_b32 s54, s36
	s_mov_b32 s55, s37
	;; [unrolled: 1-line block ×3, first 2 shown]
	s_cselect_b32 s57, 2, 1
	s_cselect_b32 s58, 1, 2
	s_mov_b64 s[4:5], 0
	v_mov_b32_e32 v13, s27
	v_mov_b32_e32 v30, s6
	;; [unrolled: 1-line block ×3, first 2 shown]
	s_branch .LBB128_20
.LBB128_19:                             ;   in Loop: Header=BB128_20 Depth=1
	s_or_b64 exec, exec, s[6:7]
	v_add_co_u32_e32 v8, vcc, 16, v8
	v_addc_co_u32_e32 v9, vcc, 0, v9, vcc
	v_cmp_ge_i64_e32 vcc, v[8:9], v[6:7]
	s_or_b64 s[4:5], vcc, s[4:5]
	s_andn2_b64 exec, exec, s[4:5]
	s_cbranch_execz .LBB128_71
.LBB128_20:                             ; =>This Loop Header: Depth=1
                                        ;     Child Loop BB128_23 Depth 2
                                        ;       Child Loop BB128_25 Depth 3
                                        ;       Child Loop BB128_37 Depth 3
	;; [unrolled: 1-line block ×4, first 2 shown]
	v_lshlrev_b64 v[0:1], 3, v[8:9]
	v_add_co_u32_e32 v0, vcc, s26, v0
	v_addc_co_u32_e32 v1, vcc, v13, v1, vcc
	global_load_dwordx2 v[0:1], v[0:1], off
	s_waitcnt vmcnt(0)
	v_subrev_co_u32_e32 v0, vcc, s54, v0
	v_subb_co_u32_e32 v1, vcc, v1, v30, vcc
	v_lshlrev_b64 v[0:1], 3, v[0:1]
	v_add_co_u32_e32 v0, vcc, s30, v0
	v_addc_co_u32_e32 v1, vcc, v31, v1, vcc
	global_load_dwordx4 v[0:3], v[0:1], off
	s_waitcnt vmcnt(0)
	v_cmp_lt_i64_e32 vcc, v[0:1], v[2:3]
	s_and_saveexec_b64 s[6:7], vcc
	s_cbranch_execz .LBB128_19
; %bb.21:                               ;   in Loop: Header=BB128_20 Depth=1
	v_lshlrev_b64 v[10:11], 2, v[8:9]
	v_lshlrev_b64 v[14:15], 5, v[8:9]
	v_mov_b32_e32 v12, s29
	v_add_co_u32_e32 v14, vcc, s28, v14
	v_or_b32_e32 v19, 0, v11
	v_or_b32_e32 v18, s57, v10
	v_addc_co_u32_e32 v15, vcc, v12, v15, vcc
	v_lshlrev_b64 v[18:19], 3, v[18:19]
	v_add_co_u32_e32 v18, vcc, s28, v18
	v_or_b32_e32 v11, 0, v11
	v_or_b32_e32 v10, s58, v10
	v_addc_co_u32_e32 v19, vcc, v12, v19, vcc
	v_lshlrev_b64 v[10:11], 3, v[10:11]
	v_add_co_u32_e32 v10, vcc, s28, v10
	global_load_dwordx2 v[16:17], v[14:15], off
	v_addc_co_u32_e32 v11, vcc, v12, v11, vcc
	global_load_dwordx2 v[20:21], v[18:19], off
	global_load_dwordx2 v[22:23], v[10:11], off
	global_load_dwordx2 v[24:25], v[14:15], off offset:24
	v_mov_b32_e32 v10, s56
	v_subrev_co_u32_e32 v2, vcc, s55, v2
	v_subb_co_u32_e32 v3, vcc, v3, v10, vcc
	v_subrev_co_u32_e32 v0, vcc, s55, v0
	v_subb_co_u32_e32 v1, vcc, v1, v10, vcc
	s_mov_b64 s[20:21], 0
	s_waitcnt vmcnt(3)
	v_mul_f32_e64 v32, v17, -s45
	v_mul_f32_e32 v33, s53, v17
	s_waitcnt vmcnt(2)
	v_mul_f32_e64 v34, v21, -s45
	v_mul_f32_e32 v35, s53, v21
	s_waitcnt vmcnt(0)
	v_mul_f32_e32 v36, s53, v25
	v_mul_f32_e64 v37, v25, -s45
	v_mul_f32_e32 v38, s53, v23
	v_mul_f32_e64 v39, v23, -s45
	v_fmac_f32_e32 v32, s53, v16
	v_fmac_f32_e32 v33, s45, v16
	;; [unrolled: 1-line block ×8, first 2 shown]
	s_branch .LBB128_23
.LBB128_22:                             ;   in Loop: Header=BB128_23 Depth=2
	s_or_b64 exec, exec, s[24:25]
	v_add_co_u32_e32 v0, vcc, 1, v0
	v_addc_co_u32_e32 v1, vcc, 0, v1, vcc
	v_cmp_ge_i64_e32 vcc, v[0:1], v[2:3]
	s_or_b64 s[20:21], vcc, s[20:21]
	s_andn2_b64 exec, exec, s[20:21]
	s_cbranch_execz .LBB128_19
.LBB128_23:                             ;   Parent Loop BB128_20 Depth=1
                                        ; =>  This Loop Header: Depth=2
                                        ;       Child Loop BB128_25 Depth 3
                                        ;       Child Loop BB128_37 Depth 3
	;; [unrolled: 1-line block ×4, first 2 shown]
	v_lshlrev_b64 v[10:11], 3, v[0:1]
	v_lshlrev_b64 v[14:15], 2, v[0:1]
	v_mov_b32_e32 v12, s17
	v_add_co_u32_e32 v10, vcc, s16, v10
	v_or_b32_e32 v17, 0, v15
	v_or_b32_e32 v16, s58, v14
	;; [unrolled: 1-line block ×4, first 2 shown]
	v_addc_co_u32_e32 v11, vcc, v12, v11, vcc
	v_lshlrev_b64 v[14:15], 3, v[14:15]
	v_mov_b32_e32 v12, s19
	v_add_co_u32_e32 v14, vcc, s18, v14
	v_lshlrev_b64 v[18:19], 5, v[0:1]
	v_addc_co_u32_e32 v15, vcc, v12, v15, vcc
	v_add_co_u32_e32 v22, vcc, s18, v18
	global_load_dwordx2 v[10:11], v[10:11], off
	v_addc_co_u32_e32 v23, vcc, v12, v19, vcc
	global_load_dwordx2 v[20:21], v[14:15], off
	global_load_dwordx2 v[18:19], v[22:23], off
	v_lshlrev_b64 v[14:15], 3, v[16:17]
	v_add_co_u32_e32 v14, vcc, s18, v14
	v_addc_co_u32_e32 v15, vcc, v12, v15, vcc
	global_load_dwordx2 v[14:15], v[14:15], off
	s_nop 0
	global_load_dwordx2 v[16:17], v[22:23], off offset:24
	v_mov_b32_e32 v12, s56
	s_mov_b64 s[24:25], 0
	s_waitcnt vmcnt(4)
	v_subrev_co_u32_e32 v10, vcc, s55, v10
	v_subb_co_u32_e32 v11, vcc, v11, v12, vcc
	s_waitcnt vmcnt(3)
	v_mul_f32_e64 v22, v21, -v38
	v_mul_f32_e32 v40, v39, v21
	v_lshl_add_u32 v12, v10, 3, v10
	v_fmac_f32_e32 v22, v39, v20
	v_fmac_f32_e32 v40, v38, v20
	v_and_b32_e32 v12, 15, v12
	s_waitcnt vmcnt(2)
	v_fmac_f32_e32 v22, v32, v18
	v_fmac_f32_e32 v40, v33, v18
	v_fma_f32 v41, -v33, v19, v22
	v_fmac_f32_e32 v40, v32, v19
	v_pk_mov_b32 v[22:23], v[12:13], v[12:13] op_sel:[0,1]
	s_branch .LBB128_25
.LBB128_24:                             ;   in Loop: Header=BB128_25 Depth=3
	s_or_b64 exec, exec, s[36:37]
	s_xor_b64 s[36:37], s[40:41], -1
	s_and_b64 s[36:37], exec, s[36:37]
	s_or_b64 s[24:25], s[36:37], s[24:25]
	s_andn2_b64 exec, exec, s[24:25]
	s_cbranch_execz .LBB128_35
.LBB128_25:                             ;   Parent Loop BB128_20 Depth=1
                                        ;     Parent Loop BB128_23 Depth=2
                                        ; =>    This Inner Loop Header: Depth=3
	v_lshl_add_u32 v23, v22, 3, v28
	ds_read_b64 v[24:25], v23
                                        ; implicit-def: $sgpr40_sgpr41
	s_waitcnt lgkmcnt(0)
	v_cmp_ne_u64_e32 vcc, v[24:25], v[10:11]
	s_and_saveexec_b64 s[36:37], vcc
	s_xor_b64 s[36:37], exec, s[36:37]
	s_cbranch_execz .LBB128_33
; %bb.26:                               ;   in Loop: Header=BB128_25 Depth=3
	v_cmp_ne_u64_e32 vcc, s[2:3], v[24:25]
                                        ; implicit-def: $sgpr40_sgpr41
	s_and_saveexec_b64 s[42:43], vcc
	s_xor_b64 s[42:43], exec, s[42:43]
; %bb.27:                               ;   in Loop: Header=BB128_25 Depth=3
	v_add_u32_e32 v22, 1, v22
	v_and_b32_e32 v22, 15, v22
	s_mov_b64 s[40:41], -1
                                        ; implicit-def: $vgpr23
; %bb.28:                               ;   in Loop: Header=BB128_25 Depth=3
	s_andn2_saveexec_b64 s[42:43], s[42:43]
	s_cbranch_execz .LBB128_32
; %bb.29:                               ;   in Loop: Header=BB128_25 Depth=3
	v_pk_mov_b32 v[24:25], s[2:3], s[2:3] op_sel:[0,1]
	ds_cmpst_rtn_b64 v[24:25], v23, v[24:25], v[10:11]
	s_mov_b64 s[48:49], -1
	s_waitcnt lgkmcnt(0)
	v_cmp_eq_u64_e32 vcc, s[2:3], v[24:25]
	s_and_saveexec_b64 s[50:51], vcc
	s_cbranch_execz .LBB128_31
; %bb.30:                               ;   in Loop: Header=BB128_25 Depth=3
	v_lshl_add_u32 v23, v22, 5, v27
	ds_add_f32 v23, v41
	ds_add_f32 v23, v40 offset:4
	s_xor_b64 s[48:49], exec, -1
.LBB128_31:                             ;   in Loop: Header=BB128_25 Depth=3
	s_or_b64 exec, exec, s[50:51]
	s_andn2_b64 s[40:41], s[40:41], exec
	s_and_b64 s[48:49], s[48:49], exec
	s_or_b64 s[40:41], s[40:41], s[48:49]
.LBB128_32:                             ;   in Loop: Header=BB128_25 Depth=3
	s_or_b64 exec, exec, s[42:43]
	s_and_b64 s[40:41], s[40:41], exec
.LBB128_33:                             ;   in Loop: Header=BB128_25 Depth=3
	s_andn2_saveexec_b64 s[36:37], s[36:37]
	s_cbranch_execz .LBB128_24
; %bb.34:                               ;   in Loop: Header=BB128_25 Depth=3
	v_lshl_add_u32 v23, v22, 5, v27
	ds_add_f32 v23, v41
	ds_add_f32 v23, v40 offset:4
	s_andn2_b64 s[40:41], s[40:41], exec
	s_branch .LBB128_24
.LBB128_35:                             ;   in Loop: Header=BB128_23 Depth=2
	s_or_b64 exec, exec, s[24:25]
	s_waitcnt vmcnt(0)
	v_mul_f32_e64 v22, v17, -v38
	v_mul_f32_e32 v40, v39, v17
	v_fmac_f32_e32 v22, v39, v16
	v_fmac_f32_e32 v40, v38, v16
	;; [unrolled: 1-line block ×4, first 2 shown]
	v_fma_f32 v41, -v33, v15, v22
	v_fmac_f32_e32 v40, v32, v15
	s_mov_b64 s[24:25], 0
	v_pk_mov_b32 v[22:23], v[12:13], v[12:13] op_sel:[0,1]
	s_branch .LBB128_37
.LBB128_36:                             ;   in Loop: Header=BB128_37 Depth=3
	s_or_b64 exec, exec, s[36:37]
	s_xor_b64 s[36:37], s[40:41], -1
	s_and_b64 s[36:37], exec, s[36:37]
	s_or_b64 s[24:25], s[36:37], s[24:25]
	s_andn2_b64 exec, exec, s[24:25]
	s_cbranch_execz .LBB128_47
.LBB128_37:                             ;   Parent Loop BB128_20 Depth=1
                                        ;     Parent Loop BB128_23 Depth=2
                                        ; =>    This Inner Loop Header: Depth=3
	v_lshl_add_u32 v23, v22, 3, v28
	ds_read_b64 v[24:25], v23
                                        ; implicit-def: $sgpr40_sgpr41
	s_waitcnt lgkmcnt(0)
	v_cmp_ne_u64_e32 vcc, v[24:25], v[10:11]
	s_and_saveexec_b64 s[36:37], vcc
	s_xor_b64 s[36:37], exec, s[36:37]
	s_cbranch_execz .LBB128_45
; %bb.38:                               ;   in Loop: Header=BB128_37 Depth=3
	v_cmp_ne_u64_e32 vcc, s[2:3], v[24:25]
                                        ; implicit-def: $sgpr40_sgpr41
	s_and_saveexec_b64 s[42:43], vcc
	s_xor_b64 s[42:43], exec, s[42:43]
; %bb.39:                               ;   in Loop: Header=BB128_37 Depth=3
	v_add_u32_e32 v22, 1, v22
	v_and_b32_e32 v22, 15, v22
	s_mov_b64 s[40:41], -1
                                        ; implicit-def: $vgpr23
; %bb.40:                               ;   in Loop: Header=BB128_37 Depth=3
	s_andn2_saveexec_b64 s[42:43], s[42:43]
	s_cbranch_execz .LBB128_44
; %bb.41:                               ;   in Loop: Header=BB128_37 Depth=3
	v_pk_mov_b32 v[24:25], s[2:3], s[2:3] op_sel:[0,1]
	ds_cmpst_rtn_b64 v[24:25], v23, v[24:25], v[10:11]
	s_mov_b64 s[48:49], -1
	s_waitcnt lgkmcnt(0)
	v_cmp_eq_u64_e32 vcc, s[2:3], v[24:25]
	s_and_saveexec_b64 s[50:51], vcc
	s_cbranch_execz .LBB128_43
; %bb.42:                               ;   in Loop: Header=BB128_37 Depth=3
	v_lshl_add_u32 v23, v22, 5, v27
	ds_add_f32 v23, v41 offset:8
	ds_add_f32 v23, v40 offset:12
	s_xor_b64 s[48:49], exec, -1
.LBB128_43:                             ;   in Loop: Header=BB128_37 Depth=3
	s_or_b64 exec, exec, s[50:51]
	s_andn2_b64 s[40:41], s[40:41], exec
	s_and_b64 s[48:49], s[48:49], exec
	s_or_b64 s[40:41], s[40:41], s[48:49]
.LBB128_44:                             ;   in Loop: Header=BB128_37 Depth=3
	s_or_b64 exec, exec, s[42:43]
	s_and_b64 s[40:41], s[40:41], exec
.LBB128_45:                             ;   in Loop: Header=BB128_37 Depth=3
	s_andn2_saveexec_b64 s[36:37], s[36:37]
	s_cbranch_execz .LBB128_36
; %bb.46:                               ;   in Loop: Header=BB128_37 Depth=3
	v_lshl_add_u32 v23, v22, 5, v27
	ds_add_f32 v23, v41 offset:8
	ds_add_f32 v23, v40 offset:12
	s_andn2_b64 s[40:41], s[40:41], exec
	s_branch .LBB128_36
.LBB128_47:                             ;   in Loop: Header=BB128_23 Depth=2
	s_or_b64 exec, exec, s[24:25]
	v_mul_f32_e64 v23, v21, -v36
	v_mul_f32_e32 v22, v37, v21
	v_fmac_f32_e32 v23, v37, v20
	v_fmac_f32_e32 v22, v36, v20
	v_fmac_f32_e32 v23, v34, v18
	v_fmac_f32_e32 v22, v35, v18
	v_fma_f32 v23, -v35, v19, v23
	v_fmac_f32_e32 v22, v34, v19
	s_mov_b64 s[24:25], 0
	v_pk_mov_b32 v[18:19], v[12:13], v[12:13] op_sel:[0,1]
	s_branch .LBB128_49
.LBB128_48:                             ;   in Loop: Header=BB128_49 Depth=3
	s_or_b64 exec, exec, s[36:37]
	s_xor_b64 s[36:37], s[40:41], -1
	s_and_b64 s[36:37], exec, s[36:37]
	s_or_b64 s[24:25], s[36:37], s[24:25]
	s_andn2_b64 exec, exec, s[24:25]
	s_cbranch_execz .LBB128_59
.LBB128_49:                             ;   Parent Loop BB128_20 Depth=1
                                        ;     Parent Loop BB128_23 Depth=2
                                        ; =>    This Inner Loop Header: Depth=3
	v_lshl_add_u32 v19, v18, 3, v28
	ds_read_b64 v[20:21], v19
                                        ; implicit-def: $sgpr40_sgpr41
	s_waitcnt lgkmcnt(0)
	v_cmp_ne_u64_e32 vcc, v[20:21], v[10:11]
	s_and_saveexec_b64 s[36:37], vcc
	s_xor_b64 s[36:37], exec, s[36:37]
	s_cbranch_execz .LBB128_57
; %bb.50:                               ;   in Loop: Header=BB128_49 Depth=3
	v_cmp_ne_u64_e32 vcc, s[2:3], v[20:21]
                                        ; implicit-def: $sgpr40_sgpr41
	s_and_saveexec_b64 s[42:43], vcc
	s_xor_b64 s[42:43], exec, s[42:43]
; %bb.51:                               ;   in Loop: Header=BB128_49 Depth=3
	v_add_u32_e32 v18, 1, v18
	v_and_b32_e32 v18, 15, v18
	s_mov_b64 s[40:41], -1
                                        ; implicit-def: $vgpr19
; %bb.52:                               ;   in Loop: Header=BB128_49 Depth=3
	s_andn2_saveexec_b64 s[42:43], s[42:43]
	s_cbranch_execz .LBB128_56
; %bb.53:                               ;   in Loop: Header=BB128_49 Depth=3
	v_pk_mov_b32 v[20:21], s[2:3], s[2:3] op_sel:[0,1]
	ds_cmpst_rtn_b64 v[20:21], v19, v[20:21], v[10:11]
	s_mov_b64 s[48:49], -1
	s_waitcnt lgkmcnt(0)
	v_cmp_eq_u64_e32 vcc, s[2:3], v[20:21]
	s_and_saveexec_b64 s[50:51], vcc
	s_cbranch_execz .LBB128_55
; %bb.54:                               ;   in Loop: Header=BB128_49 Depth=3
	v_lshl_add_u32 v19, v18, 5, v27
	ds_add_f32 v19, v23 offset:16
	ds_add_f32 v19, v22 offset:20
	s_xor_b64 s[48:49], exec, -1
.LBB128_55:                             ;   in Loop: Header=BB128_49 Depth=3
	s_or_b64 exec, exec, s[50:51]
	s_andn2_b64 s[40:41], s[40:41], exec
	s_and_b64 s[48:49], s[48:49], exec
	s_or_b64 s[40:41], s[40:41], s[48:49]
.LBB128_56:                             ;   in Loop: Header=BB128_49 Depth=3
	s_or_b64 exec, exec, s[42:43]
	s_and_b64 s[40:41], s[40:41], exec
.LBB128_57:                             ;   in Loop: Header=BB128_49 Depth=3
	s_andn2_saveexec_b64 s[36:37], s[36:37]
	s_cbranch_execz .LBB128_48
; %bb.58:                               ;   in Loop: Header=BB128_49 Depth=3
	v_lshl_add_u32 v19, v18, 5, v27
	ds_add_f32 v19, v23 offset:16
	ds_add_f32 v19, v22 offset:20
	s_andn2_b64 s[40:41], s[40:41], exec
	s_branch .LBB128_48
.LBB128_59:                             ;   in Loop: Header=BB128_23 Depth=2
	s_or_b64 exec, exec, s[24:25]
	v_mul_f32_e64 v18, v17, -v36
	v_mul_f32_e32 v17, v37, v17
	v_fmac_f32_e32 v18, v37, v16
	v_fmac_f32_e32 v17, v36, v16
	;; [unrolled: 1-line block ×4, first 2 shown]
	v_fma_f32 v16, -v35, v15, v18
	v_fmac_f32_e32 v17, v34, v15
	s_mov_b64 s[24:25], 0
	s_branch .LBB128_61
.LBB128_60:                             ;   in Loop: Header=BB128_61 Depth=3
	s_or_b64 exec, exec, s[36:37]
	s_xor_b64 s[36:37], s[40:41], -1
	s_and_b64 s[36:37], exec, s[36:37]
	s_or_b64 s[24:25], s[36:37], s[24:25]
	s_andn2_b64 exec, exec, s[24:25]
	s_cbranch_execz .LBB128_22
.LBB128_61:                             ;   Parent Loop BB128_20 Depth=1
                                        ;     Parent Loop BB128_23 Depth=2
                                        ; =>    This Inner Loop Header: Depth=3
	v_lshl_add_u32 v18, v12, 3, v28
	ds_read_b64 v[14:15], v18
                                        ; implicit-def: $sgpr40_sgpr41
	s_waitcnt lgkmcnt(0)
	v_cmp_ne_u64_e32 vcc, v[14:15], v[10:11]
	s_and_saveexec_b64 s[36:37], vcc
	s_xor_b64 s[36:37], exec, s[36:37]
	s_cbranch_execz .LBB128_69
; %bb.62:                               ;   in Loop: Header=BB128_61 Depth=3
	v_cmp_ne_u64_e32 vcc, s[2:3], v[14:15]
                                        ; implicit-def: $sgpr40_sgpr41
	s_and_saveexec_b64 s[42:43], vcc
	s_xor_b64 s[42:43], exec, s[42:43]
; %bb.63:                               ;   in Loop: Header=BB128_61 Depth=3
	v_add_u32_e32 v12, 1, v12
	v_and_b32_e32 v12, 15, v12
	s_mov_b64 s[40:41], -1
                                        ; implicit-def: $vgpr18
; %bb.64:                               ;   in Loop: Header=BB128_61 Depth=3
	s_andn2_saveexec_b64 s[42:43], s[42:43]
	s_cbranch_execz .LBB128_68
; %bb.65:                               ;   in Loop: Header=BB128_61 Depth=3
	v_pk_mov_b32 v[14:15], s[2:3], s[2:3] op_sel:[0,1]
	ds_cmpst_rtn_b64 v[14:15], v18, v[14:15], v[10:11]
	s_mov_b64 s[48:49], -1
	s_waitcnt lgkmcnt(0)
	v_cmp_eq_u64_e32 vcc, s[2:3], v[14:15]
	s_and_saveexec_b64 s[50:51], vcc
	s_cbranch_execz .LBB128_67
; %bb.66:                               ;   in Loop: Header=BB128_61 Depth=3
	v_lshl_add_u32 v14, v12, 5, v27
	ds_add_f32 v14, v16 offset:24
	ds_add_f32 v14, v17 offset:28
	s_xor_b64 s[48:49], exec, -1
.LBB128_67:                             ;   in Loop: Header=BB128_61 Depth=3
	s_or_b64 exec, exec, s[50:51]
	s_andn2_b64 s[40:41], s[40:41], exec
	s_and_b64 s[48:49], s[48:49], exec
	s_or_b64 s[40:41], s[40:41], s[48:49]
.LBB128_68:                             ;   in Loop: Header=BB128_61 Depth=3
	s_or_b64 exec, exec, s[42:43]
	s_and_b64 s[40:41], s[40:41], exec
.LBB128_69:                             ;   in Loop: Header=BB128_61 Depth=3
	s_andn2_saveexec_b64 s[36:37], s[36:37]
	s_cbranch_execz .LBB128_60
; %bb.70:                               ;   in Loop: Header=BB128_61 Depth=3
	v_lshl_add_u32 v14, v12, 5, v27
	ds_add_f32 v14, v16 offset:24
	ds_add_f32 v14, v17 offset:28
	s_andn2_b64 s[40:41], s[40:41], exec
	s_branch .LBB128_60
.LBB128_71:
	s_or_b64 exec, exec, s[0:1]
.LBB128_72:
	s_andn2_b64 vcc, exec, s[46:47]
	s_waitcnt lgkmcnt(0)
	s_cbranch_vccnz .LBB128_125
; %bb.73:
	v_mov_b32_e32 v1, s23
	v_add_co_u32_e32 v0, vcc, s22, v4
	v_addc_co_u32_e32 v1, vcc, v1, v5, vcc
	global_load_dwordx4 v[6:9], v[0:1], off
	v_subrev_co_u32_e32 v2, vcc, s39, v26
	v_subb_co_u32_e64 v3, s[0:1], 0, 0, vcc
	s_mov_b32 s6, 0
	s_waitcnt vmcnt(0)
	v_subrev_co_u32_e32 v0, vcc, s39, v8
	v_subbrev_co_u32_e32 v1, vcc, 0, v9, vcc
	v_add_co_u32_e32 v2, vcc, v6, v2
	v_addc_co_u32_e32 v3, vcc, v7, v3, vcc
	v_cmp_lt_i64_e32 vcc, v[2:3], v[0:1]
	s_and_saveexec_b64 s[0:1], vcc
	s_cbranch_execz .LBB128_124
; %bb.74:
	s_cmp_eq_u32 s52, 0
	s_mov_b32 s26, s39
	s_cselect_b32 s27, 1, 2
	s_cselect_b32 s28, 2, 1
	s_mov_b64 s[4:5], 0
	v_mov_b32_e32 v9, s11
	v_mov_b32_e32 v20, s9
	;; [unrolled: 1-line block ×3, first 2 shown]
	s_branch .LBB128_76
.LBB128_75:                             ;   in Loop: Header=BB128_76 Depth=1
	s_or_b64 exec, exec, s[6:7]
	v_add_co_u32_e32 v2, vcc, 16, v2
	v_addc_co_u32_e32 v3, vcc, 0, v3, vcc
	v_cmp_ge_i64_e32 vcc, v[2:3], v[0:1]
	s_or_b64 s[4:5], vcc, s[4:5]
	s_andn2_b64 exec, exec, s[4:5]
	s_cbranch_execz .LBB128_124
.LBB128_76:                             ; =>This Loop Header: Depth=1
                                        ;     Child Loop BB128_78 Depth 2
                                        ;     Child Loop BB128_90 Depth 2
	;; [unrolled: 1-line block ×4, first 2 shown]
	v_lshlrev_b64 v[10:11], 5, v[2:3]
	v_lshlrev_b64 v[6:7], 2, v[2:3]
	v_add_co_u32_e32 v16, vcc, s10, v10
	v_addc_co_u32_e32 v17, vcc, v9, v11, vcc
	v_or_b32_e32 v11, 0, v7
	v_or_b32_e32 v10, s27, v6
	v_lshlrev_b64 v[10:11], 3, v[10:11]
	v_add_co_u32_e32 v22, vcc, s10, v10
	v_addc_co_u32_e32 v23, vcc, v9, v11, vcc
	v_lshlrev_b64 v[10:11], 3, v[2:3]
	v_add_co_u32_e32 v10, vcc, s8, v10
	v_addc_co_u32_e32 v11, vcc, v20, v11, vcc
	v_or_b32_e32 v7, 0, v7
	global_load_dwordx2 v[24:25], v[10:11], off
	v_or_b32_e32 v6, s28, v6
	v_lshlrev_b64 v[6:7], 3, v[6:7]
	global_load_dwordx2 v[18:19], v[16:17], off
	v_add_co_u32_e32 v6, vcc, s10, v6
	v_addc_co_u32_e32 v7, vcc, v9, v7, vcc
	global_load_dwordx2 v[10:11], v[16:17], off offset:24
	global_load_dwordx2 v[14:15], v[22:23], off
	global_load_dwordx2 v[12:13], v[6:7], off
	s_mov_b64 s[6:7], 0
	s_waitcnt vmcnt(4)
	v_subrev_co_u32_e32 v6, vcc, s26, v24
	v_lshl_add_u32 v8, v6, 3, v6
	s_waitcnt vmcnt(3)
	v_mul_f32_e64 v22, v19, -s44
	v_mul_f32_e32 v23, s33, v19
	v_and_b32_e32 v8, 15, v8
	v_subb_co_u32_e32 v7, vcc, v25, v21, vcc
	v_fmac_f32_e32 v22, s33, v18
	v_fmac_f32_e32 v23, s44, v18
	v_pk_mov_b32 v[16:17], v[8:9], v[8:9] op_sel:[0,1]
	s_branch .LBB128_78
.LBB128_77:                             ;   in Loop: Header=BB128_78 Depth=2
	s_or_b64 exec, exec, s[16:17]
	s_xor_b64 s[16:17], s[18:19], -1
	s_and_b64 s[16:17], exec, s[16:17]
	s_or_b64 s[6:7], s[16:17], s[6:7]
	s_andn2_b64 exec, exec, s[6:7]
	s_cbranch_execz .LBB128_88
.LBB128_78:                             ;   Parent Loop BB128_76 Depth=1
                                        ; =>  This Inner Loop Header: Depth=2
	v_lshl_add_u32 v17, v16, 3, v28
	ds_read_b64 v[18:19], v17
                                        ; implicit-def: $sgpr18_sgpr19
	s_waitcnt lgkmcnt(0)
	v_cmp_ne_u64_e32 vcc, v[18:19], v[6:7]
	s_and_saveexec_b64 s[16:17], vcc
	s_xor_b64 s[16:17], exec, s[16:17]
	s_cbranch_execz .LBB128_86
; %bb.79:                               ;   in Loop: Header=BB128_78 Depth=2
	v_cmp_ne_u64_e32 vcc, s[2:3], v[18:19]
                                        ; implicit-def: $sgpr18_sgpr19
	s_and_saveexec_b64 s[20:21], vcc
	s_xor_b64 s[20:21], exec, s[20:21]
; %bb.80:                               ;   in Loop: Header=BB128_78 Depth=2
	v_add_u32_e32 v16, 1, v16
	v_and_b32_e32 v16, 15, v16
	s_mov_b64 s[18:19], -1
                                        ; implicit-def: $vgpr17
; %bb.81:                               ;   in Loop: Header=BB128_78 Depth=2
	s_andn2_saveexec_b64 s[20:21], s[20:21]
	s_cbranch_execz .LBB128_85
; %bb.82:                               ;   in Loop: Header=BB128_78 Depth=2
	v_pk_mov_b32 v[18:19], s[2:3], s[2:3] op_sel:[0,1]
	ds_cmpst_rtn_b64 v[18:19], v17, v[18:19], v[6:7]
	s_mov_b64 s[22:23], -1
	s_waitcnt lgkmcnt(0)
	v_cmp_eq_u64_e32 vcc, s[2:3], v[18:19]
	s_and_saveexec_b64 s[24:25], vcc
	s_cbranch_execz .LBB128_84
; %bb.83:                               ;   in Loop: Header=BB128_78 Depth=2
	v_lshl_add_u32 v17, v16, 5, v27
	ds_add_f32 v17, v22
	ds_add_f32 v17, v23 offset:4
	s_xor_b64 s[22:23], exec, -1
.LBB128_84:                             ;   in Loop: Header=BB128_78 Depth=2
	s_or_b64 exec, exec, s[24:25]
	s_andn2_b64 s[18:19], s[18:19], exec
	s_and_b64 s[22:23], s[22:23], exec
	s_or_b64 s[18:19], s[18:19], s[22:23]
.LBB128_85:                             ;   in Loop: Header=BB128_78 Depth=2
	s_or_b64 exec, exec, s[20:21]
	s_and_b64 s[18:19], s[18:19], exec
.LBB128_86:                             ;   in Loop: Header=BB128_78 Depth=2
	s_andn2_saveexec_b64 s[16:17], s[16:17]
	s_cbranch_execz .LBB128_77
; %bb.87:                               ;   in Loop: Header=BB128_78 Depth=2
	v_lshl_add_u32 v17, v16, 5, v27
	ds_add_f32 v17, v22
	ds_add_f32 v17, v23 offset:4
	s_andn2_b64 s[18:19], s[18:19], exec
	s_branch .LBB128_77
.LBB128_88:                             ;   in Loop: Header=BB128_76 Depth=1
	s_or_b64 exec, exec, s[6:7]
	s_waitcnt vmcnt(1)
	v_mul_f32_e64 v18, v15, -s44
	v_mul_f32_e32 v19, s33, v15
	v_fmac_f32_e32 v18, s33, v14
	v_fmac_f32_e32 v19, s44, v14
	s_mov_b64 s[6:7], 0
	v_pk_mov_b32 v[14:15], v[8:9], v[8:9] op_sel:[0,1]
	s_branch .LBB128_90
.LBB128_89:                             ;   in Loop: Header=BB128_90 Depth=2
	s_or_b64 exec, exec, s[16:17]
	s_xor_b64 s[16:17], s[18:19], -1
	s_and_b64 s[16:17], exec, s[16:17]
	s_or_b64 s[6:7], s[16:17], s[6:7]
	s_andn2_b64 exec, exec, s[6:7]
	s_cbranch_execz .LBB128_100
.LBB128_90:                             ;   Parent Loop BB128_76 Depth=1
                                        ; =>  This Inner Loop Header: Depth=2
	v_lshl_add_u32 v15, v14, 3, v28
	ds_read_b64 v[16:17], v15
                                        ; implicit-def: $sgpr18_sgpr19
	s_waitcnt lgkmcnt(0)
	v_cmp_ne_u64_e32 vcc, v[16:17], v[6:7]
	s_and_saveexec_b64 s[16:17], vcc
	s_xor_b64 s[16:17], exec, s[16:17]
	s_cbranch_execz .LBB128_98
; %bb.91:                               ;   in Loop: Header=BB128_90 Depth=2
	v_cmp_ne_u64_e32 vcc, s[2:3], v[16:17]
                                        ; implicit-def: $sgpr18_sgpr19
	s_and_saveexec_b64 s[20:21], vcc
	s_xor_b64 s[20:21], exec, s[20:21]
; %bb.92:                               ;   in Loop: Header=BB128_90 Depth=2
	v_add_u32_e32 v14, 1, v14
	v_and_b32_e32 v14, 15, v14
	s_mov_b64 s[18:19], -1
                                        ; implicit-def: $vgpr15
; %bb.93:                               ;   in Loop: Header=BB128_90 Depth=2
	s_andn2_saveexec_b64 s[20:21], s[20:21]
	s_cbranch_execz .LBB128_97
; %bb.94:                               ;   in Loop: Header=BB128_90 Depth=2
	v_pk_mov_b32 v[16:17], s[2:3], s[2:3] op_sel:[0,1]
	ds_cmpst_rtn_b64 v[16:17], v15, v[16:17], v[6:7]
	s_mov_b64 s[22:23], -1
	s_waitcnt lgkmcnt(0)
	v_cmp_eq_u64_e32 vcc, s[2:3], v[16:17]
	s_and_saveexec_b64 s[24:25], vcc
	s_cbranch_execz .LBB128_96
; %bb.95:                               ;   in Loop: Header=BB128_90 Depth=2
	v_lshl_add_u32 v15, v14, 5, v27
	ds_add_f32 v15, v18 offset:8
	ds_add_f32 v15, v19 offset:12
	s_xor_b64 s[22:23], exec, -1
.LBB128_96:                             ;   in Loop: Header=BB128_90 Depth=2
	s_or_b64 exec, exec, s[24:25]
	s_andn2_b64 s[18:19], s[18:19], exec
	s_and_b64 s[22:23], s[22:23], exec
	s_or_b64 s[18:19], s[18:19], s[22:23]
.LBB128_97:                             ;   in Loop: Header=BB128_90 Depth=2
	s_or_b64 exec, exec, s[20:21]
	s_and_b64 s[18:19], s[18:19], exec
.LBB128_98:                             ;   in Loop: Header=BB128_90 Depth=2
	s_andn2_saveexec_b64 s[16:17], s[16:17]
	s_cbranch_execz .LBB128_89
; %bb.99:                               ;   in Loop: Header=BB128_90 Depth=2
	v_lshl_add_u32 v15, v14, 5, v27
	ds_add_f32 v15, v18 offset:8
	ds_add_f32 v15, v19 offset:12
	s_andn2_b64 s[18:19], s[18:19], exec
	s_branch .LBB128_89
.LBB128_100:                            ;   in Loop: Header=BB128_76 Depth=1
	s_or_b64 exec, exec, s[6:7]
	s_waitcnt vmcnt(0)
	v_mul_f32_e64 v16, v13, -s44
	v_mul_f32_e32 v17, s33, v13
	v_fmac_f32_e32 v16, s33, v12
	v_fmac_f32_e32 v17, s44, v12
	s_mov_b64 s[6:7], 0
	v_pk_mov_b32 v[12:13], v[8:9], v[8:9] op_sel:[0,1]
	s_branch .LBB128_102
.LBB128_101:                            ;   in Loop: Header=BB128_102 Depth=2
	s_or_b64 exec, exec, s[16:17]
	s_xor_b64 s[16:17], s[18:19], -1
	s_and_b64 s[16:17], exec, s[16:17]
	s_or_b64 s[6:7], s[16:17], s[6:7]
	s_andn2_b64 exec, exec, s[6:7]
	s_cbranch_execz .LBB128_112
.LBB128_102:                            ;   Parent Loop BB128_76 Depth=1
                                        ; =>  This Inner Loop Header: Depth=2
	v_lshl_add_u32 v13, v12, 3, v28
	ds_read_b64 v[14:15], v13
                                        ; implicit-def: $sgpr18_sgpr19
	s_waitcnt lgkmcnt(0)
	v_cmp_ne_u64_e32 vcc, v[14:15], v[6:7]
	s_and_saveexec_b64 s[16:17], vcc
	s_xor_b64 s[16:17], exec, s[16:17]
	s_cbranch_execz .LBB128_110
; %bb.103:                              ;   in Loop: Header=BB128_102 Depth=2
	v_cmp_ne_u64_e32 vcc, s[2:3], v[14:15]
                                        ; implicit-def: $sgpr18_sgpr19
	s_and_saveexec_b64 s[20:21], vcc
	s_xor_b64 s[20:21], exec, s[20:21]
; %bb.104:                              ;   in Loop: Header=BB128_102 Depth=2
	v_add_u32_e32 v12, 1, v12
	v_and_b32_e32 v12, 15, v12
	s_mov_b64 s[18:19], -1
                                        ; implicit-def: $vgpr13
; %bb.105:                              ;   in Loop: Header=BB128_102 Depth=2
	s_andn2_saveexec_b64 s[20:21], s[20:21]
	s_cbranch_execz .LBB128_109
; %bb.106:                              ;   in Loop: Header=BB128_102 Depth=2
	v_pk_mov_b32 v[14:15], s[2:3], s[2:3] op_sel:[0,1]
	ds_cmpst_rtn_b64 v[14:15], v13, v[14:15], v[6:7]
	s_mov_b64 s[22:23], -1
	s_waitcnt lgkmcnt(0)
	v_cmp_eq_u64_e32 vcc, s[2:3], v[14:15]
	s_and_saveexec_b64 s[24:25], vcc
	s_cbranch_execz .LBB128_108
; %bb.107:                              ;   in Loop: Header=BB128_102 Depth=2
	v_lshl_add_u32 v13, v12, 5, v27
	ds_add_f32 v13, v16 offset:16
	ds_add_f32 v13, v17 offset:20
	s_xor_b64 s[22:23], exec, -1
.LBB128_108:                            ;   in Loop: Header=BB128_102 Depth=2
	s_or_b64 exec, exec, s[24:25]
	s_andn2_b64 s[18:19], s[18:19], exec
	s_and_b64 s[22:23], s[22:23], exec
	s_or_b64 s[18:19], s[18:19], s[22:23]
.LBB128_109:                            ;   in Loop: Header=BB128_102 Depth=2
	s_or_b64 exec, exec, s[20:21]
	s_and_b64 s[18:19], s[18:19], exec
.LBB128_110:                            ;   in Loop: Header=BB128_102 Depth=2
	s_andn2_saveexec_b64 s[16:17], s[16:17]
	s_cbranch_execz .LBB128_101
; %bb.111:                              ;   in Loop: Header=BB128_102 Depth=2
	v_lshl_add_u32 v13, v12, 5, v27
	ds_add_f32 v13, v16 offset:16
	ds_add_f32 v13, v17 offset:20
	s_andn2_b64 s[18:19], s[18:19], exec
	s_branch .LBB128_101
.LBB128_112:                            ;   in Loop: Header=BB128_76 Depth=1
	s_or_b64 exec, exec, s[6:7]
	v_mul_f32_e64 v12, v11, -s44
	v_mul_f32_e32 v13, s33, v11
	v_fmac_f32_e32 v12, s33, v10
	v_fmac_f32_e32 v13, s44, v10
	s_mov_b64 s[6:7], 0
	s_branch .LBB128_114
.LBB128_113:                            ;   in Loop: Header=BB128_114 Depth=2
	s_or_b64 exec, exec, s[16:17]
	s_xor_b64 s[16:17], s[18:19], -1
	s_and_b64 s[16:17], exec, s[16:17]
	s_or_b64 s[6:7], s[16:17], s[6:7]
	s_andn2_b64 exec, exec, s[6:7]
	s_cbranch_execz .LBB128_75
.LBB128_114:                            ;   Parent Loop BB128_76 Depth=1
                                        ; =>  This Inner Loop Header: Depth=2
	v_lshl_add_u32 v14, v8, 3, v28
	ds_read_b64 v[10:11], v14
                                        ; implicit-def: $sgpr18_sgpr19
	s_waitcnt lgkmcnt(0)
	v_cmp_ne_u64_e32 vcc, v[10:11], v[6:7]
	s_and_saveexec_b64 s[16:17], vcc
	s_xor_b64 s[16:17], exec, s[16:17]
	s_cbranch_execz .LBB128_122
; %bb.115:                              ;   in Loop: Header=BB128_114 Depth=2
	v_cmp_ne_u64_e32 vcc, s[2:3], v[10:11]
                                        ; implicit-def: $sgpr18_sgpr19
	s_and_saveexec_b64 s[20:21], vcc
	s_xor_b64 s[20:21], exec, s[20:21]
; %bb.116:                              ;   in Loop: Header=BB128_114 Depth=2
	v_add_u32_e32 v8, 1, v8
	v_and_b32_e32 v8, 15, v8
	s_mov_b64 s[18:19], -1
                                        ; implicit-def: $vgpr14
; %bb.117:                              ;   in Loop: Header=BB128_114 Depth=2
	s_andn2_saveexec_b64 s[20:21], s[20:21]
	s_cbranch_execz .LBB128_121
; %bb.118:                              ;   in Loop: Header=BB128_114 Depth=2
	v_pk_mov_b32 v[10:11], s[2:3], s[2:3] op_sel:[0,1]
	ds_cmpst_rtn_b64 v[10:11], v14, v[10:11], v[6:7]
	s_mov_b64 s[22:23], -1
	s_waitcnt lgkmcnt(0)
	v_cmp_eq_u64_e32 vcc, s[2:3], v[10:11]
	s_and_saveexec_b64 s[24:25], vcc
	s_cbranch_execz .LBB128_120
; %bb.119:                              ;   in Loop: Header=BB128_114 Depth=2
	v_lshl_add_u32 v10, v8, 5, v27
	ds_add_f32 v10, v12 offset:24
	ds_add_f32 v10, v13 offset:28
	s_xor_b64 s[22:23], exec, -1
.LBB128_120:                            ;   in Loop: Header=BB128_114 Depth=2
	s_or_b64 exec, exec, s[24:25]
	s_andn2_b64 s[18:19], s[18:19], exec
	s_and_b64 s[22:23], s[22:23], exec
	s_or_b64 s[18:19], s[18:19], s[22:23]
.LBB128_121:                            ;   in Loop: Header=BB128_114 Depth=2
	s_or_b64 exec, exec, s[20:21]
	s_and_b64 s[18:19], s[18:19], exec
.LBB128_122:                            ;   in Loop: Header=BB128_114 Depth=2
	s_andn2_saveexec_b64 s[16:17], s[16:17]
	s_cbranch_execz .LBB128_113
; %bb.123:                              ;   in Loop: Header=BB128_114 Depth=2
	v_lshl_add_u32 v10, v8, 5, v27
	ds_add_f32 v10, v12 offset:24
	ds_add_f32 v10, v13 offset:28
	s_andn2_b64 s[18:19], s[18:19], exec
	s_branch .LBB128_113
.LBB128_124:
	s_or_b64 exec, exec, s[0:1]
.LBB128_125:
	s_waitcnt lgkmcnt(0)
	ds_read_b64 v[0:1], v29
	s_waitcnt lgkmcnt(0)
	v_cmp_gt_i64_e32 vcc, s[2:3], v[0:1]
	s_and_b64 exec, exec, vcc
	s_cbranch_execz .LBB128_127
; %bb.126:
	v_mov_b32_e32 v3, s13
	v_add_co_u32_e32 v2, vcc, s12, v4
	v_addc_co_u32_e32 v3, vcc, v3, v5, vcc
	global_load_dwordx2 v[38:39], v[2:3], off
	ds_read_b128 v[2:5], v28
	ds_read_b128 v[6:9], v28 offset:16
	ds_read_b128 v[10:13], v28 offset:32
	;; [unrolled: 1-line block ×7, first 2 shown]
	s_waitcnt lgkmcnt(7)
	v_cmp_gt_i64_e32 vcc, v[0:1], v[2:3]
	v_cndmask_b32_e64 v2, 0, 1, vcc
	v_cmp_gt_i64_e32 vcc, v[0:1], v[4:5]
	v_cndmask_b32_e64 v3, 0, 1, vcc
	s_waitcnt lgkmcnt(6)
	v_cmp_gt_i64_e32 vcc, v[0:1], v[6:7]
	v_cndmask_b32_e64 v4, 0, 1, vcc
	v_cmp_gt_i64_e32 vcc, v[0:1], v[8:9]
	v_cndmask_b32_e64 v5, 0, 1, vcc
	s_waitcnt lgkmcnt(5)
	v_cmp_gt_i64_e32 vcc, v[0:1], v[10:11]
	v_cndmask_b32_e64 v6, 0, 1, vcc
	v_cmp_gt_i64_e32 vcc, v[0:1], v[12:13]
	v_cndmask_b32_e64 v7, 0, 1, vcc
	s_waitcnt lgkmcnt(4)
	v_cmp_gt_i64_e32 vcc, v[0:1], v[14:15]
	v_cndmask_b32_e64 v8, 0, 1, vcc
	v_cmp_gt_i64_e32 vcc, v[0:1], v[16:17]
	v_cndmask_b32_e64 v9, 0, 1, vcc
	s_waitcnt lgkmcnt(3)
	v_cmp_gt_i64_e32 vcc, v[0:1], v[18:19]
	v_cndmask_b32_e64 v10, 0, 1, vcc
	v_cmp_gt_i64_e32 vcc, v[0:1], v[20:21]
	v_cndmask_b32_e64 v11, 0, 1, vcc
	s_waitcnt lgkmcnt(2)
	v_cmp_gt_i64_e32 vcc, v[0:1], v[22:23]
	v_cndmask_b32_e64 v12, 0, 1, vcc
	v_cmp_gt_i64_e32 vcc, v[0:1], v[24:25]
	v_cndmask_b32_e64 v13, 0, 1, vcc
	s_waitcnt lgkmcnt(1)
	v_cmp_gt_i64_e32 vcc, v[0:1], v[30:31]
	v_cndmask_b32_e64 v14, 0, 1, vcc
	s_cmp_eq_u32 s52, 0
	s_cselect_b32 s0, 1, 2
	s_cselect_b32 s1, 2, 1
	s_waitcnt vmcnt(0)
	v_subrev_co_u32_e32 v15, vcc, s38, v38
	v_subbrev_co_u32_e32 v16, vcc, 0, v39, vcc
	v_add_co_u32_e32 v2, vcc, v15, v2
	v_addc_co_u32_e32 v15, vcc, 0, v16, vcc
	v_add_co_u32_e32 v2, vcc, v2, v3
	v_addc_co_u32_e32 v3, vcc, 0, v15, vcc
	;; [unrolled: 2-line block ×13, first 2 shown]
	v_cmp_gt_i64_e32 vcc, v[0:1], v[32:33]
	v_cndmask_b32_e64 v4, 0, 1, vcc
	v_add_co_u32_e32 v2, vcc, v2, v4
	v_addc_co_u32_e32 v3, vcc, 0, v3, vcc
	s_waitcnt lgkmcnt(0)
	v_cmp_gt_i64_e32 vcc, v[0:1], v[34:35]
	v_cndmask_b32_e64 v4, 0, 1, vcc
	v_add_co_u32_e32 v2, vcc, v2, v4
	v_addc_co_u32_e32 v3, vcc, 0, v3, vcc
	v_cmp_gt_i64_e32 vcc, v[0:1], v[36:37]
	v_cndmask_b32_e64 v4, 0, 1, vcc
	v_add_co_u32_e32 v2, vcc, v2, v4
	v_addc_co_u32_e32 v3, vcc, 0, v3, vcc
	v_add_co_u32_e32 v0, vcc, s38, v0
	v_addc_co_u32_e32 v1, vcc, 0, v1, vcc
	v_lshlrev_b64 v[4:5], 3, v[2:3]
	v_mov_b32_e32 v6, s15
	v_add_co_u32_e32 v4, vcc, s14, v4
	v_addc_co_u32_e32 v5, vcc, v6, v5, vcc
	global_store_dwordx2 v[4:5], v[0:1], off
	v_lshl_add_u32 v0, v26, 5, v27
	v_lshlrev_b64 v[8:9], 5, v[2:3]
	ds_read2_b64 v[0:3], v0 offset1:3
	v_lshlrev_b32_e32 v6, 2, v26
	v_or_b32_e32 v4, s0, v6
	v_lshl_add_u32 v7, v4, 3, v27
	v_mov_b32_e32 v10, s35
	s_waitcnt lgkmcnt(0)
	v_mov_b32_e32 v4, v0
	v_or_b32_e32 v0, s1, v6
	v_lshl_add_u32 v0, v0, 3, v27
	v_mov_b32_e32 v5, v1
	ds_read_b64 v[6:7], v7
	ds_read_b64 v[0:1], v0
	v_add_co_u32_e32 v8, vcc, s34, v8
	v_addc_co_u32_e32 v9, vcc, v10, v9, vcc
	s_waitcnt lgkmcnt(1)
	global_store_dwordx4 v[8:9], v[4:7], off
	s_waitcnt lgkmcnt(0)
	global_store_dwordx4 v[8:9], v[0:3], off offset:16
.LBB128_127:
	s_endpgm
	.section	.rodata,"a",@progbits
	.p2align	6, 0x0
	.amdhsa_kernel _ZN9rocsparseL27bsrgemm_fill_wf_per_row_2x2ILj256ELj16ELj16ELj137Ell21rocsparse_complex_numIfEEEv20rocsparse_direction_T4_S4_PKS4_S6_NS_24const_host_device_scalarIT5_EEPKT3_S6_PKS8_SC_S6_SE_S9_SC_S6_SE_SC_PS4_PS8_21rocsparse_index_base_SH_SH_SH_bbb
		.amdhsa_group_segment_fixed_size 10240
		.amdhsa_private_segment_fixed_size 0
		.amdhsa_kernarg_size 172
		.amdhsa_user_sgpr_count 6
		.amdhsa_user_sgpr_private_segment_buffer 1
		.amdhsa_user_sgpr_dispatch_ptr 0
		.amdhsa_user_sgpr_queue_ptr 0
		.amdhsa_user_sgpr_kernarg_segment_ptr 1
		.amdhsa_user_sgpr_dispatch_id 0
		.amdhsa_user_sgpr_flat_scratch_init 0
		.amdhsa_user_sgpr_kernarg_preload_length 0
		.amdhsa_user_sgpr_kernarg_preload_offset 0
		.amdhsa_user_sgpr_private_segment_size 0
		.amdhsa_uses_dynamic_stack 0
		.amdhsa_system_sgpr_private_segment_wavefront_offset 0
		.amdhsa_system_sgpr_workgroup_id_x 1
		.amdhsa_system_sgpr_workgroup_id_y 0
		.amdhsa_system_sgpr_workgroup_id_z 0
		.amdhsa_system_sgpr_workgroup_info 0
		.amdhsa_system_vgpr_workitem_id 0
		.amdhsa_next_free_vgpr 42
		.amdhsa_next_free_sgpr 59
		.amdhsa_accum_offset 44
		.amdhsa_reserve_vcc 1
		.amdhsa_reserve_flat_scratch 0
		.amdhsa_float_round_mode_32 0
		.amdhsa_float_round_mode_16_64 0
		.amdhsa_float_denorm_mode_32 3
		.amdhsa_float_denorm_mode_16_64 3
		.amdhsa_dx10_clamp 1
		.amdhsa_ieee_mode 1
		.amdhsa_fp16_overflow 0
		.amdhsa_tg_split 0
		.amdhsa_exception_fp_ieee_invalid_op 0
		.amdhsa_exception_fp_denorm_src 0
		.amdhsa_exception_fp_ieee_div_zero 0
		.amdhsa_exception_fp_ieee_overflow 0
		.amdhsa_exception_fp_ieee_underflow 0
		.amdhsa_exception_fp_ieee_inexact 0
		.amdhsa_exception_int_div_zero 0
	.end_amdhsa_kernel
	.section	.text._ZN9rocsparseL27bsrgemm_fill_wf_per_row_2x2ILj256ELj16ELj16ELj137Ell21rocsparse_complex_numIfEEEv20rocsparse_direction_T4_S4_PKS4_S6_NS_24const_host_device_scalarIT5_EEPKT3_S6_PKS8_SC_S6_SE_S9_SC_S6_SE_SC_PS4_PS8_21rocsparse_index_base_SH_SH_SH_bbb,"axG",@progbits,_ZN9rocsparseL27bsrgemm_fill_wf_per_row_2x2ILj256ELj16ELj16ELj137Ell21rocsparse_complex_numIfEEEv20rocsparse_direction_T4_S4_PKS4_S6_NS_24const_host_device_scalarIT5_EEPKT3_S6_PKS8_SC_S6_SE_S9_SC_S6_SE_SC_PS4_PS8_21rocsparse_index_base_SH_SH_SH_bbb,comdat
.Lfunc_end128:
	.size	_ZN9rocsparseL27bsrgemm_fill_wf_per_row_2x2ILj256ELj16ELj16ELj137Ell21rocsparse_complex_numIfEEEv20rocsparse_direction_T4_S4_PKS4_S6_NS_24const_host_device_scalarIT5_EEPKT3_S6_PKS8_SC_S6_SE_S9_SC_S6_SE_SC_PS4_PS8_21rocsparse_index_base_SH_SH_SH_bbb, .Lfunc_end128-_ZN9rocsparseL27bsrgemm_fill_wf_per_row_2x2ILj256ELj16ELj16ELj137Ell21rocsparse_complex_numIfEEEv20rocsparse_direction_T4_S4_PKS4_S6_NS_24const_host_device_scalarIT5_EEPKT3_S6_PKS8_SC_S6_SE_S9_SC_S6_SE_SC_PS4_PS8_21rocsparse_index_base_SH_SH_SH_bbb
                                        ; -- End function
	.section	.AMDGPU.csdata,"",@progbits
; Kernel info:
; codeLenInByte = 4244
; NumSgprs: 63
; NumVgprs: 42
; NumAgprs: 0
; TotalNumVgprs: 42
; ScratchSize: 0
; MemoryBound: 0
; FloatMode: 240
; IeeeMode: 1
; LDSByteSize: 10240 bytes/workgroup (compile time only)
; SGPRBlocks: 7
; VGPRBlocks: 5
; NumSGPRsForWavesPerEU: 63
; NumVGPRsForWavesPerEU: 42
; AccumOffset: 44
; Occupancy: 6
; WaveLimiterHint : 1
; COMPUTE_PGM_RSRC2:SCRATCH_EN: 0
; COMPUTE_PGM_RSRC2:USER_SGPR: 6
; COMPUTE_PGM_RSRC2:TRAP_HANDLER: 0
; COMPUTE_PGM_RSRC2:TGID_X_EN: 1
; COMPUTE_PGM_RSRC2:TGID_Y_EN: 0
; COMPUTE_PGM_RSRC2:TGID_Z_EN: 0
; COMPUTE_PGM_RSRC2:TIDIG_COMP_CNT: 0
; COMPUTE_PGM_RSRC3_GFX90A:ACCUM_OFFSET: 10
; COMPUTE_PGM_RSRC3_GFX90A:TG_SPLIT: 0
	.section	.text._ZN9rocsparseL27bsrgemm_fill_wf_per_row_2x2ILj256ELj16ELj32ELj137Ell21rocsparse_complex_numIfEEEv20rocsparse_direction_T4_S4_PKS4_S6_NS_24const_host_device_scalarIT5_EEPKT3_S6_PKS8_SC_S6_SE_S9_SC_S6_SE_SC_PS4_PS8_21rocsparse_index_base_SH_SH_SH_bbb,"axG",@progbits,_ZN9rocsparseL27bsrgemm_fill_wf_per_row_2x2ILj256ELj16ELj32ELj137Ell21rocsparse_complex_numIfEEEv20rocsparse_direction_T4_S4_PKS4_S6_NS_24const_host_device_scalarIT5_EEPKT3_S6_PKS8_SC_S6_SE_S9_SC_S6_SE_SC_PS4_PS8_21rocsparse_index_base_SH_SH_SH_bbb,comdat
	.globl	_ZN9rocsparseL27bsrgemm_fill_wf_per_row_2x2ILj256ELj16ELj32ELj137Ell21rocsparse_complex_numIfEEEv20rocsparse_direction_T4_S4_PKS4_S6_NS_24const_host_device_scalarIT5_EEPKT3_S6_PKS8_SC_S6_SE_S9_SC_S6_SE_SC_PS4_PS8_21rocsparse_index_base_SH_SH_SH_bbb ; -- Begin function _ZN9rocsparseL27bsrgemm_fill_wf_per_row_2x2ILj256ELj16ELj32ELj137Ell21rocsparse_complex_numIfEEEv20rocsparse_direction_T4_S4_PKS4_S6_NS_24const_host_device_scalarIT5_EEPKT3_S6_PKS8_SC_S6_SE_S9_SC_S6_SE_SC_PS4_PS8_21rocsparse_index_base_SH_SH_SH_bbb
	.p2align	8
	.type	_ZN9rocsparseL27bsrgemm_fill_wf_per_row_2x2ILj256ELj16ELj32ELj137Ell21rocsparse_complex_numIfEEEv20rocsparse_direction_T4_S4_PKS4_S6_NS_24const_host_device_scalarIT5_EEPKT3_S6_PKS8_SC_S6_SE_S9_SC_S6_SE_SC_PS4_PS8_21rocsparse_index_base_SH_SH_SH_bbb,@function
_ZN9rocsparseL27bsrgemm_fill_wf_per_row_2x2ILj256ELj16ELj32ELj137Ell21rocsparse_complex_numIfEEEv20rocsparse_direction_T4_S4_PKS4_S6_NS_24const_host_device_scalarIT5_EEPKT3_S6_PKS8_SC_S6_SE_S9_SC_S6_SE_SC_PS4_PS8_21rocsparse_index_base_SH_SH_SH_bbb: ; @_ZN9rocsparseL27bsrgemm_fill_wf_per_row_2x2ILj256ELj16ELj32ELj137Ell21rocsparse_complex_numIfEEEv20rocsparse_direction_T4_S4_PKS4_S6_NS_24const_host_device_scalarIT5_EEPKT3_S6_PKS8_SC_S6_SE_S9_SC_S6_SE_SC_PS4_PS8_21rocsparse_index_base_SH_SH_SH_bbb
; %bb.0:
	s_load_dwordx8 s[8:15], s[4:5], 0x70
	s_load_dwordx8 s[16:23], s[4:5], 0x50
	s_load_dword s2, s[4:5], 0xa8
	s_load_dwordx4 s[40:43], s[4:5], 0x18
	s_load_dwordx8 s[24:31], s[4:5], 0x30
	s_load_dwordx2 s[34:35], s[4:5], 0x90
	s_load_dwordx4 s[36:39], s[4:5], 0x98
	s_waitcnt lgkmcnt(0)
	s_bitcmp1_b32 s2, 0
	s_cselect_b64 s[48:49], -1, 0
	s_bitcmp1_b32 s2, 16
	s_cselect_b64 s[0:1], -1, 0
	s_xor_b64 s[0:1], s[0:1], -1
	v_cndmask_b32_e64 v1, 0, 1, s[0:1]
	s_mov_b32 s45, 0
	s_bitcmp0_b32 s2, 0
	v_cmp_ne_u32_e64 s[0:1], 1, v1
	s_mov_b32 s53, 0
	s_cbranch_scc1 .LBB129_5
; %bb.1:
	s_load_dwordx2 s[44:45], s[4:5], 0x28
	s_and_b64 vcc, exec, s[0:1]
	s_waitcnt lgkmcnt(0)
	s_mov_b32 s53, s44
	s_cbranch_vccnz .LBB129_3
; %bb.2:
	s_load_dword s53, s[44:45], 0x0
.LBB129_3:
	s_and_b64 vcc, exec, s[0:1]
	s_cbranch_vccnz .LBB129_5
; %bb.4:
	s_load_dword s45, s[44:45], 0x4
.LBB129_5:
	s_bitcmp1_b32 s2, 8
	s_cselect_b64 s[46:47], -1, 0
	s_bfe_u32 s2, s2, 0x10008
	s_mov_b32 s44, 0
	s_cmp_eq_u32 s2, 0
	s_mov_b32 s33, 0
	s_cbranch_scc1 .LBB129_11
; %bb.6:
	s_and_b64 vcc, exec, s[0:1]
	s_mov_b32 s33, s20
	s_cbranch_vccnz .LBB129_8
; %bb.7:
	s_load_dword s33, s[20:21], 0x0
.LBB129_8:
	s_and_b64 vcc, exec, s[0:1]
	s_cbranch_vccnz .LBB129_10
; %bb.9:
	s_load_dword s21, s[20:21], 0x4
.LBB129_10:
	s_waitcnt lgkmcnt(0)
	s_mov_b32 s44, s21
.LBB129_11:
	s_load_dwordx4 s[0:3], s[4:5], 0x8
	v_and_b32_e32 v29, 15, v0
	v_lshrrev_b32_e32 v2, 4, v0
	v_lshlrev_b32_e32 v0, 8, v2
	v_lshlrev_b32_e32 v3, 3, v29
	s_movk_i32 s7, 0x4000
	v_or_b32_e32 v26, -16, v29
	v_or3_b32 v27, v0, v3, s7
	s_mov_b64 s[20:21], 0
	s_waitcnt lgkmcnt(0)
	v_pk_mov_b32 v[0:1], s[2:3], s[2:3] op_sel:[0,1]
	v_mov_b32_e32 v4, v27
	v_mov_b32_e32 v5, v26
.LBB129_12:                             ; =>This Inner Loop Header: Depth=1
	v_add_co_u32_e32 v5, vcc, 16, v5
	s_xor_b64 s[50:51], vcc, -1
	s_and_b64 s[50:51], exec, s[50:51]
	ds_write_b64 v4, v[0:1]
	s_or_b64 s[20:21], s[50:51], s[20:21]
	v_add_u32_e32 v4, 0x80, v4
	s_andn2_b64 exec, exec, s[20:21]
	s_cbranch_execnz .LBB129_12
; %bb.13:
	s_or_b64 exec, exec, s[20:21]
	v_lshlrev_b32_e32 v30, 10, v2
	v_mov_b32_e32 v0, 0
	v_or_b32_e32 v3, v30, v3
	s_mov_b64 s[20:21], 0
	v_mov_b32_e32 v1, v0
	s_movk_i32 s7, 0x6f
	v_mov_b32_e32 v4, v26
.LBB129_14:                             ; =>This Inner Loop Header: Depth=1
	v_add_u32_e32 v4, 16, v4
	v_cmp_lt_u32_e32 vcc, s7, v4
	ds_write_b64 v3, v[0:1]
	s_or_b64 s[20:21], vcc, s[20:21]
	v_add_u32_e32 v3, 0x80, v3
	s_andn2_b64 exec, exec, s[20:21]
	s_cbranch_execnz .LBB129_14
; %bb.15:
	s_or_b64 exec, exec, s[20:21]
	v_lshl_or_b32 v0, s6, 4, v2
	v_mov_b32_e32 v1, 0
	v_cmp_gt_i64_e32 vcc, s[0:1], v[0:1]
	s_waitcnt lgkmcnt(0)
	s_barrier
	s_and_saveexec_b64 s[0:1], vcc
	s_cbranch_execz .LBB129_131
; %bb.16:
	s_cmp_eq_u64 s[42:43], 0
	s_cbranch_scc1 .LBB129_18
; %bb.17:
	s_load_dwordx2 s[0:1], s[40:41], 0x0
	v_lshlrev_b64 v[0:1], 3, v[0:1]
	s_waitcnt lgkmcnt(0)
	s_lshl_b64 s[0:1], s[0:1], 3
	s_add_u32 s0, s42, s0
	s_addc_u32 s1, s43, s1
	v_mov_b32_e32 v3, s1
	v_add_co_u32_e32 v0, vcc, s0, v0
	v_addc_co_u32_e32 v1, vcc, v3, v1, vcc
	global_load_dwordx2 v[0:1], v[0:1], off
.LBB129_18:
	s_load_dword s52, s[4:5], 0x0
	v_mov_b32_e32 v3, 0x4000
	v_lshl_or_b32 v28, v2, 8, v3
	s_andn2_b64 vcc, exec, s[48:49]
	s_waitcnt vmcnt(0)
	v_lshlrev_b64 v[4:5], 3, v[0:1]
	s_cbranch_vccnz .LBB129_74
; %bb.19:
	v_mov_b32_e32 v1, s25
	v_add_co_u32_e32 v0, vcc, s24, v4
	v_addc_co_u32_e32 v1, vcc, v1, v5, vcc
	global_load_dwordx4 v[0:3], v[0:1], off
	v_subrev_co_u32_e32 v8, vcc, s36, v29
	v_subb_co_u32_e64 v9, s[0:1], 0, 0, vcc
	s_mov_b32 s6, 0
	s_waitcnt vmcnt(0)
	v_subrev_co_u32_e32 v6, vcc, s36, v2
	v_subbrev_co_u32_e32 v7, vcc, 0, v3, vcc
	v_add_co_u32_e32 v8, vcc, v0, v8
	v_addc_co_u32_e32 v9, vcc, v1, v9, vcc
	v_cmp_lt_i64_e32 vcc, v[8:9], v[6:7]
	s_and_saveexec_b64 s[0:1], vcc
	s_cbranch_execz .LBB129_73
; %bb.20:
	s_waitcnt lgkmcnt(0)
	s_cmp_eq_u32 s52, 0
	s_mov_b32 s54, s36
	s_mov_b32 s55, s37
	;; [unrolled: 1-line block ×3, first 2 shown]
	s_cselect_b32 s57, 2, 1
	s_cselect_b32 s58, 1, 2
	s_mov_b64 s[4:5], 0
	v_mov_b32_e32 v13, s27
	v_mov_b32_e32 v31, s6
	;; [unrolled: 1-line block ×3, first 2 shown]
	s_branch .LBB129_22
.LBB129_21:                             ;   in Loop: Header=BB129_22 Depth=1
	s_or_b64 exec, exec, s[6:7]
	v_add_co_u32_e32 v8, vcc, 16, v8
	v_addc_co_u32_e32 v9, vcc, 0, v9, vcc
	v_cmp_ge_i64_e32 vcc, v[8:9], v[6:7]
	s_or_b64 s[4:5], vcc, s[4:5]
	s_andn2_b64 exec, exec, s[4:5]
	s_cbranch_execz .LBB129_73
.LBB129_22:                             ; =>This Loop Header: Depth=1
                                        ;     Child Loop BB129_25 Depth 2
                                        ;       Child Loop BB129_27 Depth 3
                                        ;       Child Loop BB129_39 Depth 3
	;; [unrolled: 1-line block ×4, first 2 shown]
	v_lshlrev_b64 v[0:1], 3, v[8:9]
	v_add_co_u32_e32 v0, vcc, s26, v0
	v_addc_co_u32_e32 v1, vcc, v13, v1, vcc
	global_load_dwordx2 v[0:1], v[0:1], off
	s_waitcnt vmcnt(0)
	v_subrev_co_u32_e32 v0, vcc, s54, v0
	v_subb_co_u32_e32 v1, vcc, v1, v31, vcc
	v_lshlrev_b64 v[0:1], 3, v[0:1]
	v_add_co_u32_e32 v0, vcc, s30, v0
	v_addc_co_u32_e32 v1, vcc, v32, v1, vcc
	global_load_dwordx4 v[0:3], v[0:1], off
	s_waitcnt vmcnt(0)
	v_cmp_lt_i64_e32 vcc, v[0:1], v[2:3]
	s_and_saveexec_b64 s[6:7], vcc
	s_cbranch_execz .LBB129_21
; %bb.23:                               ;   in Loop: Header=BB129_22 Depth=1
	v_lshlrev_b64 v[10:11], 2, v[8:9]
	v_lshlrev_b64 v[14:15], 5, v[8:9]
	v_mov_b32_e32 v12, s29
	v_add_co_u32_e32 v14, vcc, s28, v14
	v_or_b32_e32 v19, 0, v11
	v_or_b32_e32 v18, s57, v10
	v_addc_co_u32_e32 v15, vcc, v12, v15, vcc
	v_lshlrev_b64 v[18:19], 3, v[18:19]
	v_add_co_u32_e32 v18, vcc, s28, v18
	v_or_b32_e32 v11, 0, v11
	v_or_b32_e32 v10, s58, v10
	v_addc_co_u32_e32 v19, vcc, v12, v19, vcc
	v_lshlrev_b64 v[10:11], 3, v[10:11]
	v_add_co_u32_e32 v10, vcc, s28, v10
	global_load_dwordx2 v[16:17], v[14:15], off
	v_addc_co_u32_e32 v11, vcc, v12, v11, vcc
	global_load_dwordx2 v[20:21], v[18:19], off
	global_load_dwordx2 v[22:23], v[10:11], off
	global_load_dwordx2 v[24:25], v[14:15], off offset:24
	v_mov_b32_e32 v10, s56
	v_subrev_co_u32_e32 v2, vcc, s55, v2
	v_subb_co_u32_e32 v3, vcc, v3, v10, vcc
	v_subrev_co_u32_e32 v0, vcc, s55, v0
	v_subb_co_u32_e32 v1, vcc, v1, v10, vcc
	s_mov_b64 s[20:21], 0
	s_waitcnt vmcnt(3)
	v_mul_f32_e64 v33, v17, -s45
	v_mul_f32_e32 v34, s53, v17
	s_waitcnt vmcnt(2)
	v_mul_f32_e64 v35, v21, -s45
	v_mul_f32_e32 v36, s53, v21
	s_waitcnt vmcnt(0)
	v_mul_f32_e32 v37, s53, v25
	v_mul_f32_e64 v38, v25, -s45
	v_mul_f32_e32 v39, s53, v23
	v_mul_f32_e64 v40, v23, -s45
	v_fmac_f32_e32 v33, s53, v16
	v_fmac_f32_e32 v34, s45, v16
	;; [unrolled: 1-line block ×8, first 2 shown]
	s_branch .LBB129_25
.LBB129_24:                             ;   in Loop: Header=BB129_25 Depth=2
	s_or_b64 exec, exec, s[24:25]
	v_add_co_u32_e32 v0, vcc, 1, v0
	v_addc_co_u32_e32 v1, vcc, 0, v1, vcc
	v_cmp_ge_i64_e32 vcc, v[0:1], v[2:3]
	s_or_b64 s[20:21], vcc, s[20:21]
	s_andn2_b64 exec, exec, s[20:21]
	s_cbranch_execz .LBB129_21
.LBB129_25:                             ;   Parent Loop BB129_22 Depth=1
                                        ; =>  This Loop Header: Depth=2
                                        ;       Child Loop BB129_27 Depth 3
                                        ;       Child Loop BB129_39 Depth 3
	;; [unrolled: 1-line block ×4, first 2 shown]
	v_lshlrev_b64 v[10:11], 3, v[0:1]
	v_lshlrev_b64 v[14:15], 2, v[0:1]
	v_mov_b32_e32 v12, s17
	v_add_co_u32_e32 v10, vcc, s16, v10
	v_or_b32_e32 v17, 0, v15
	v_or_b32_e32 v16, s58, v14
	;; [unrolled: 1-line block ×4, first 2 shown]
	v_addc_co_u32_e32 v11, vcc, v12, v11, vcc
	v_lshlrev_b64 v[14:15], 3, v[14:15]
	v_mov_b32_e32 v12, s19
	v_add_co_u32_e32 v14, vcc, s18, v14
	v_lshlrev_b64 v[18:19], 5, v[0:1]
	v_addc_co_u32_e32 v15, vcc, v12, v15, vcc
	v_add_co_u32_e32 v22, vcc, s18, v18
	global_load_dwordx2 v[10:11], v[10:11], off
	v_addc_co_u32_e32 v23, vcc, v12, v19, vcc
	global_load_dwordx2 v[20:21], v[14:15], off
	global_load_dwordx2 v[18:19], v[22:23], off
	v_lshlrev_b64 v[14:15], 3, v[16:17]
	v_add_co_u32_e32 v14, vcc, s18, v14
	v_addc_co_u32_e32 v15, vcc, v12, v15, vcc
	global_load_dwordx2 v[14:15], v[14:15], off
	s_nop 0
	global_load_dwordx2 v[16:17], v[22:23], off offset:24
	v_mov_b32_e32 v12, s56
	s_mov_b64 s[24:25], 0
	s_waitcnt vmcnt(4)
	v_subrev_co_u32_e32 v10, vcc, s55, v10
	v_subb_co_u32_e32 v11, vcc, v11, v12, vcc
	s_waitcnt vmcnt(3)
	v_mul_f32_e64 v22, v21, -v39
	v_mul_f32_e32 v41, v40, v21
	v_lshl_add_u32 v12, v10, 3, v10
	v_fmac_f32_e32 v22, v40, v20
	v_fmac_f32_e32 v41, v39, v20
	v_and_b32_e32 v12, 31, v12
	s_waitcnt vmcnt(2)
	v_fmac_f32_e32 v22, v33, v18
	v_fmac_f32_e32 v41, v34, v18
	v_fma_f32 v42, -v34, v19, v22
	v_fmac_f32_e32 v41, v33, v19
	v_pk_mov_b32 v[22:23], v[12:13], v[12:13] op_sel:[0,1]
	s_branch .LBB129_27
.LBB129_26:                             ;   in Loop: Header=BB129_27 Depth=3
	s_or_b64 exec, exec, s[36:37]
	s_xor_b64 s[36:37], s[40:41], -1
	s_and_b64 s[36:37], exec, s[36:37]
	s_or_b64 s[24:25], s[36:37], s[24:25]
	s_andn2_b64 exec, exec, s[24:25]
	s_cbranch_execz .LBB129_37
.LBB129_27:                             ;   Parent Loop BB129_22 Depth=1
                                        ;     Parent Loop BB129_25 Depth=2
                                        ; =>    This Inner Loop Header: Depth=3
	v_lshl_add_u32 v23, v22, 3, v28
	ds_read_b64 v[24:25], v23
                                        ; implicit-def: $sgpr40_sgpr41
	s_waitcnt lgkmcnt(0)
	v_cmp_ne_u64_e32 vcc, v[24:25], v[10:11]
	s_and_saveexec_b64 s[36:37], vcc
	s_xor_b64 s[36:37], exec, s[36:37]
	s_cbranch_execz .LBB129_35
; %bb.28:                               ;   in Loop: Header=BB129_27 Depth=3
	v_cmp_ne_u64_e32 vcc, s[2:3], v[24:25]
                                        ; implicit-def: $sgpr40_sgpr41
	s_and_saveexec_b64 s[42:43], vcc
	s_xor_b64 s[42:43], exec, s[42:43]
; %bb.29:                               ;   in Loop: Header=BB129_27 Depth=3
	v_add_u32_e32 v22, 1, v22
	v_and_b32_e32 v22, 31, v22
	s_mov_b64 s[40:41], -1
                                        ; implicit-def: $vgpr23
; %bb.30:                               ;   in Loop: Header=BB129_27 Depth=3
	s_andn2_saveexec_b64 s[42:43], s[42:43]
	s_cbranch_execz .LBB129_34
; %bb.31:                               ;   in Loop: Header=BB129_27 Depth=3
	v_pk_mov_b32 v[24:25], s[2:3], s[2:3] op_sel:[0,1]
	ds_cmpst_rtn_b64 v[24:25], v23, v[24:25], v[10:11]
	s_mov_b64 s[48:49], -1
	s_waitcnt lgkmcnt(0)
	v_cmp_eq_u64_e32 vcc, s[2:3], v[24:25]
	s_and_saveexec_b64 s[50:51], vcc
	s_cbranch_execz .LBB129_33
; %bb.32:                               ;   in Loop: Header=BB129_27 Depth=3
	v_lshl_add_u32 v23, v22, 5, v30
	ds_add_f32 v23, v42
	ds_add_f32 v23, v41 offset:4
	s_xor_b64 s[48:49], exec, -1
.LBB129_33:                             ;   in Loop: Header=BB129_27 Depth=3
	s_or_b64 exec, exec, s[50:51]
	s_andn2_b64 s[40:41], s[40:41], exec
	s_and_b64 s[48:49], s[48:49], exec
	s_or_b64 s[40:41], s[40:41], s[48:49]
.LBB129_34:                             ;   in Loop: Header=BB129_27 Depth=3
	s_or_b64 exec, exec, s[42:43]
	s_and_b64 s[40:41], s[40:41], exec
.LBB129_35:                             ;   in Loop: Header=BB129_27 Depth=3
	s_andn2_saveexec_b64 s[36:37], s[36:37]
	s_cbranch_execz .LBB129_26
; %bb.36:                               ;   in Loop: Header=BB129_27 Depth=3
	v_lshl_add_u32 v23, v22, 5, v30
	ds_add_f32 v23, v42
	ds_add_f32 v23, v41 offset:4
	s_andn2_b64 s[40:41], s[40:41], exec
	s_branch .LBB129_26
.LBB129_37:                             ;   in Loop: Header=BB129_25 Depth=2
	s_or_b64 exec, exec, s[24:25]
	s_waitcnt vmcnt(0)
	v_mul_f32_e64 v22, v17, -v39
	v_mul_f32_e32 v41, v40, v17
	v_fmac_f32_e32 v22, v40, v16
	v_fmac_f32_e32 v41, v39, v16
	;; [unrolled: 1-line block ×4, first 2 shown]
	v_fma_f32 v42, -v34, v15, v22
	v_fmac_f32_e32 v41, v33, v15
	s_mov_b64 s[24:25], 0
	v_pk_mov_b32 v[22:23], v[12:13], v[12:13] op_sel:[0,1]
	s_branch .LBB129_39
.LBB129_38:                             ;   in Loop: Header=BB129_39 Depth=3
	s_or_b64 exec, exec, s[36:37]
	s_xor_b64 s[36:37], s[40:41], -1
	s_and_b64 s[36:37], exec, s[36:37]
	s_or_b64 s[24:25], s[36:37], s[24:25]
	s_andn2_b64 exec, exec, s[24:25]
	s_cbranch_execz .LBB129_49
.LBB129_39:                             ;   Parent Loop BB129_22 Depth=1
                                        ;     Parent Loop BB129_25 Depth=2
                                        ; =>    This Inner Loop Header: Depth=3
	v_lshl_add_u32 v23, v22, 3, v28
	ds_read_b64 v[24:25], v23
                                        ; implicit-def: $sgpr40_sgpr41
	s_waitcnt lgkmcnt(0)
	v_cmp_ne_u64_e32 vcc, v[24:25], v[10:11]
	s_and_saveexec_b64 s[36:37], vcc
	s_xor_b64 s[36:37], exec, s[36:37]
	s_cbranch_execz .LBB129_47
; %bb.40:                               ;   in Loop: Header=BB129_39 Depth=3
	v_cmp_ne_u64_e32 vcc, s[2:3], v[24:25]
                                        ; implicit-def: $sgpr40_sgpr41
	s_and_saveexec_b64 s[42:43], vcc
	s_xor_b64 s[42:43], exec, s[42:43]
; %bb.41:                               ;   in Loop: Header=BB129_39 Depth=3
	v_add_u32_e32 v22, 1, v22
	v_and_b32_e32 v22, 31, v22
	s_mov_b64 s[40:41], -1
                                        ; implicit-def: $vgpr23
; %bb.42:                               ;   in Loop: Header=BB129_39 Depth=3
	s_andn2_saveexec_b64 s[42:43], s[42:43]
	s_cbranch_execz .LBB129_46
; %bb.43:                               ;   in Loop: Header=BB129_39 Depth=3
	v_pk_mov_b32 v[24:25], s[2:3], s[2:3] op_sel:[0,1]
	ds_cmpst_rtn_b64 v[24:25], v23, v[24:25], v[10:11]
	s_mov_b64 s[48:49], -1
	s_waitcnt lgkmcnt(0)
	v_cmp_eq_u64_e32 vcc, s[2:3], v[24:25]
	s_and_saveexec_b64 s[50:51], vcc
	s_cbranch_execz .LBB129_45
; %bb.44:                               ;   in Loop: Header=BB129_39 Depth=3
	v_lshl_add_u32 v23, v22, 5, v30
	ds_add_f32 v23, v42 offset:8
	ds_add_f32 v23, v41 offset:12
	s_xor_b64 s[48:49], exec, -1
.LBB129_45:                             ;   in Loop: Header=BB129_39 Depth=3
	s_or_b64 exec, exec, s[50:51]
	s_andn2_b64 s[40:41], s[40:41], exec
	s_and_b64 s[48:49], s[48:49], exec
	s_or_b64 s[40:41], s[40:41], s[48:49]
.LBB129_46:                             ;   in Loop: Header=BB129_39 Depth=3
	s_or_b64 exec, exec, s[42:43]
	s_and_b64 s[40:41], s[40:41], exec
.LBB129_47:                             ;   in Loop: Header=BB129_39 Depth=3
	s_andn2_saveexec_b64 s[36:37], s[36:37]
	s_cbranch_execz .LBB129_38
; %bb.48:                               ;   in Loop: Header=BB129_39 Depth=3
	v_lshl_add_u32 v23, v22, 5, v30
	ds_add_f32 v23, v42 offset:8
	ds_add_f32 v23, v41 offset:12
	s_andn2_b64 s[40:41], s[40:41], exec
	s_branch .LBB129_38
.LBB129_49:                             ;   in Loop: Header=BB129_25 Depth=2
	s_or_b64 exec, exec, s[24:25]
	v_mul_f32_e64 v23, v21, -v37
	v_mul_f32_e32 v22, v38, v21
	v_fmac_f32_e32 v23, v38, v20
	v_fmac_f32_e32 v22, v37, v20
	;; [unrolled: 1-line block ×4, first 2 shown]
	v_fma_f32 v23, -v36, v19, v23
	v_fmac_f32_e32 v22, v35, v19
	s_mov_b64 s[24:25], 0
	v_pk_mov_b32 v[18:19], v[12:13], v[12:13] op_sel:[0,1]
	s_branch .LBB129_51
.LBB129_50:                             ;   in Loop: Header=BB129_51 Depth=3
	s_or_b64 exec, exec, s[36:37]
	s_xor_b64 s[36:37], s[40:41], -1
	s_and_b64 s[36:37], exec, s[36:37]
	s_or_b64 s[24:25], s[36:37], s[24:25]
	s_andn2_b64 exec, exec, s[24:25]
	s_cbranch_execz .LBB129_61
.LBB129_51:                             ;   Parent Loop BB129_22 Depth=1
                                        ;     Parent Loop BB129_25 Depth=2
                                        ; =>    This Inner Loop Header: Depth=3
	v_lshl_add_u32 v19, v18, 3, v28
	ds_read_b64 v[20:21], v19
                                        ; implicit-def: $sgpr40_sgpr41
	s_waitcnt lgkmcnt(0)
	v_cmp_ne_u64_e32 vcc, v[20:21], v[10:11]
	s_and_saveexec_b64 s[36:37], vcc
	s_xor_b64 s[36:37], exec, s[36:37]
	s_cbranch_execz .LBB129_59
; %bb.52:                               ;   in Loop: Header=BB129_51 Depth=3
	v_cmp_ne_u64_e32 vcc, s[2:3], v[20:21]
                                        ; implicit-def: $sgpr40_sgpr41
	s_and_saveexec_b64 s[42:43], vcc
	s_xor_b64 s[42:43], exec, s[42:43]
; %bb.53:                               ;   in Loop: Header=BB129_51 Depth=3
	v_add_u32_e32 v18, 1, v18
	v_and_b32_e32 v18, 31, v18
	s_mov_b64 s[40:41], -1
                                        ; implicit-def: $vgpr19
; %bb.54:                               ;   in Loop: Header=BB129_51 Depth=3
	s_andn2_saveexec_b64 s[42:43], s[42:43]
	s_cbranch_execz .LBB129_58
; %bb.55:                               ;   in Loop: Header=BB129_51 Depth=3
	v_pk_mov_b32 v[20:21], s[2:3], s[2:3] op_sel:[0,1]
	ds_cmpst_rtn_b64 v[20:21], v19, v[20:21], v[10:11]
	s_mov_b64 s[48:49], -1
	s_waitcnt lgkmcnt(0)
	v_cmp_eq_u64_e32 vcc, s[2:3], v[20:21]
	s_and_saveexec_b64 s[50:51], vcc
	s_cbranch_execz .LBB129_57
; %bb.56:                               ;   in Loop: Header=BB129_51 Depth=3
	v_lshl_add_u32 v19, v18, 5, v30
	ds_add_f32 v19, v23 offset:16
	ds_add_f32 v19, v22 offset:20
	s_xor_b64 s[48:49], exec, -1
.LBB129_57:                             ;   in Loop: Header=BB129_51 Depth=3
	s_or_b64 exec, exec, s[50:51]
	s_andn2_b64 s[40:41], s[40:41], exec
	s_and_b64 s[48:49], s[48:49], exec
	s_or_b64 s[40:41], s[40:41], s[48:49]
.LBB129_58:                             ;   in Loop: Header=BB129_51 Depth=3
	s_or_b64 exec, exec, s[42:43]
	s_and_b64 s[40:41], s[40:41], exec
.LBB129_59:                             ;   in Loop: Header=BB129_51 Depth=3
	s_andn2_saveexec_b64 s[36:37], s[36:37]
	s_cbranch_execz .LBB129_50
; %bb.60:                               ;   in Loop: Header=BB129_51 Depth=3
	v_lshl_add_u32 v19, v18, 5, v30
	ds_add_f32 v19, v23 offset:16
	ds_add_f32 v19, v22 offset:20
	s_andn2_b64 s[40:41], s[40:41], exec
	s_branch .LBB129_50
.LBB129_61:                             ;   in Loop: Header=BB129_25 Depth=2
	s_or_b64 exec, exec, s[24:25]
	v_mul_f32_e64 v18, v17, -v37
	v_mul_f32_e32 v17, v38, v17
	v_fmac_f32_e32 v18, v38, v16
	v_fmac_f32_e32 v17, v37, v16
	;; [unrolled: 1-line block ×4, first 2 shown]
	v_fma_f32 v16, -v36, v15, v18
	v_fmac_f32_e32 v17, v35, v15
	s_mov_b64 s[24:25], 0
	s_branch .LBB129_63
.LBB129_62:                             ;   in Loop: Header=BB129_63 Depth=3
	s_or_b64 exec, exec, s[36:37]
	s_xor_b64 s[36:37], s[40:41], -1
	s_and_b64 s[36:37], exec, s[36:37]
	s_or_b64 s[24:25], s[36:37], s[24:25]
	s_andn2_b64 exec, exec, s[24:25]
	s_cbranch_execz .LBB129_24
.LBB129_63:                             ;   Parent Loop BB129_22 Depth=1
                                        ;     Parent Loop BB129_25 Depth=2
                                        ; =>    This Inner Loop Header: Depth=3
	v_lshl_add_u32 v18, v12, 3, v28
	ds_read_b64 v[14:15], v18
                                        ; implicit-def: $sgpr40_sgpr41
	s_waitcnt lgkmcnt(0)
	v_cmp_ne_u64_e32 vcc, v[14:15], v[10:11]
	s_and_saveexec_b64 s[36:37], vcc
	s_xor_b64 s[36:37], exec, s[36:37]
	s_cbranch_execz .LBB129_71
; %bb.64:                               ;   in Loop: Header=BB129_63 Depth=3
	v_cmp_ne_u64_e32 vcc, s[2:3], v[14:15]
                                        ; implicit-def: $sgpr40_sgpr41
	s_and_saveexec_b64 s[42:43], vcc
	s_xor_b64 s[42:43], exec, s[42:43]
; %bb.65:                               ;   in Loop: Header=BB129_63 Depth=3
	v_add_u32_e32 v12, 1, v12
	v_and_b32_e32 v12, 31, v12
	s_mov_b64 s[40:41], -1
                                        ; implicit-def: $vgpr18
; %bb.66:                               ;   in Loop: Header=BB129_63 Depth=3
	s_andn2_saveexec_b64 s[42:43], s[42:43]
	s_cbranch_execz .LBB129_70
; %bb.67:                               ;   in Loop: Header=BB129_63 Depth=3
	v_pk_mov_b32 v[14:15], s[2:3], s[2:3] op_sel:[0,1]
	ds_cmpst_rtn_b64 v[14:15], v18, v[14:15], v[10:11]
	s_mov_b64 s[48:49], -1
	s_waitcnt lgkmcnt(0)
	v_cmp_eq_u64_e32 vcc, s[2:3], v[14:15]
	s_and_saveexec_b64 s[50:51], vcc
	s_cbranch_execz .LBB129_69
; %bb.68:                               ;   in Loop: Header=BB129_63 Depth=3
	v_lshl_add_u32 v14, v12, 5, v30
	ds_add_f32 v14, v16 offset:24
	ds_add_f32 v14, v17 offset:28
	s_xor_b64 s[48:49], exec, -1
.LBB129_69:                             ;   in Loop: Header=BB129_63 Depth=3
	s_or_b64 exec, exec, s[50:51]
	s_andn2_b64 s[40:41], s[40:41], exec
	s_and_b64 s[48:49], s[48:49], exec
	s_or_b64 s[40:41], s[40:41], s[48:49]
.LBB129_70:                             ;   in Loop: Header=BB129_63 Depth=3
	s_or_b64 exec, exec, s[42:43]
	s_and_b64 s[40:41], s[40:41], exec
.LBB129_71:                             ;   in Loop: Header=BB129_63 Depth=3
	s_andn2_saveexec_b64 s[36:37], s[36:37]
	s_cbranch_execz .LBB129_62
; %bb.72:                               ;   in Loop: Header=BB129_63 Depth=3
	v_lshl_add_u32 v14, v12, 5, v30
	ds_add_f32 v14, v16 offset:24
	ds_add_f32 v14, v17 offset:28
	s_andn2_b64 s[40:41], s[40:41], exec
	s_branch .LBB129_62
.LBB129_73:
	s_or_b64 exec, exec, s[0:1]
.LBB129_74:
	s_andn2_b64 vcc, exec, s[46:47]
	s_waitcnt lgkmcnt(0)
	s_cbranch_vccnz .LBB129_127
; %bb.75:
	v_mov_b32_e32 v1, s23
	v_add_co_u32_e32 v0, vcc, s22, v4
	v_addc_co_u32_e32 v1, vcc, v1, v5, vcc
	global_load_dwordx4 v[6:9], v[0:1], off
	v_subrev_co_u32_e32 v2, vcc, s39, v29
	v_subb_co_u32_e64 v3, s[0:1], 0, 0, vcc
	s_mov_b32 s6, 0
	s_waitcnt vmcnt(0)
	v_subrev_co_u32_e32 v0, vcc, s39, v8
	v_subbrev_co_u32_e32 v1, vcc, 0, v9, vcc
	v_add_co_u32_e32 v2, vcc, v6, v2
	v_addc_co_u32_e32 v3, vcc, v7, v3, vcc
	v_cmp_lt_i64_e32 vcc, v[2:3], v[0:1]
	s_and_saveexec_b64 s[0:1], vcc
	s_cbranch_execz .LBB129_126
; %bb.76:
	s_cmp_eq_u32 s52, 0
	s_mov_b32 s26, s39
	s_cselect_b32 s27, 1, 2
	s_cselect_b32 s28, 2, 1
	s_mov_b64 s[4:5], 0
	v_mov_b32_e32 v9, s11
	v_mov_b32_e32 v20, s9
	;; [unrolled: 1-line block ×3, first 2 shown]
	s_branch .LBB129_78
.LBB129_77:                             ;   in Loop: Header=BB129_78 Depth=1
	s_or_b64 exec, exec, s[6:7]
	v_add_co_u32_e32 v2, vcc, 16, v2
	v_addc_co_u32_e32 v3, vcc, 0, v3, vcc
	v_cmp_ge_i64_e32 vcc, v[2:3], v[0:1]
	s_or_b64 s[4:5], vcc, s[4:5]
	s_andn2_b64 exec, exec, s[4:5]
	s_cbranch_execz .LBB129_126
.LBB129_78:                             ; =>This Loop Header: Depth=1
                                        ;     Child Loop BB129_80 Depth 2
                                        ;     Child Loop BB129_92 Depth 2
                                        ;     Child Loop BB129_104 Depth 2
                                        ;     Child Loop BB129_116 Depth 2
	v_lshlrev_b64 v[10:11], 5, v[2:3]
	v_lshlrev_b64 v[6:7], 2, v[2:3]
	v_add_co_u32_e32 v16, vcc, s10, v10
	v_addc_co_u32_e32 v17, vcc, v9, v11, vcc
	v_or_b32_e32 v11, 0, v7
	v_or_b32_e32 v10, s27, v6
	v_lshlrev_b64 v[10:11], 3, v[10:11]
	v_add_co_u32_e32 v22, vcc, s10, v10
	v_addc_co_u32_e32 v23, vcc, v9, v11, vcc
	v_lshlrev_b64 v[10:11], 3, v[2:3]
	v_add_co_u32_e32 v10, vcc, s8, v10
	v_addc_co_u32_e32 v11, vcc, v20, v11, vcc
	v_or_b32_e32 v7, 0, v7
	global_load_dwordx2 v[24:25], v[10:11], off
	v_or_b32_e32 v6, s28, v6
	v_lshlrev_b64 v[6:7], 3, v[6:7]
	global_load_dwordx2 v[18:19], v[16:17], off
	v_add_co_u32_e32 v6, vcc, s10, v6
	v_addc_co_u32_e32 v7, vcc, v9, v7, vcc
	global_load_dwordx2 v[10:11], v[16:17], off offset:24
	global_load_dwordx2 v[14:15], v[22:23], off
	global_load_dwordx2 v[12:13], v[6:7], off
	s_mov_b64 s[6:7], 0
	s_waitcnt vmcnt(4)
	v_subrev_co_u32_e32 v6, vcc, s26, v24
	v_lshl_add_u32 v8, v6, 3, v6
	s_waitcnt vmcnt(3)
	v_mul_f32_e64 v22, v19, -s44
	v_mul_f32_e32 v23, s33, v19
	v_and_b32_e32 v8, 31, v8
	v_subb_co_u32_e32 v7, vcc, v25, v21, vcc
	v_fmac_f32_e32 v22, s33, v18
	v_fmac_f32_e32 v23, s44, v18
	v_pk_mov_b32 v[16:17], v[8:9], v[8:9] op_sel:[0,1]
	s_branch .LBB129_80
.LBB129_79:                             ;   in Loop: Header=BB129_80 Depth=2
	s_or_b64 exec, exec, s[16:17]
	s_xor_b64 s[16:17], s[18:19], -1
	s_and_b64 s[16:17], exec, s[16:17]
	s_or_b64 s[6:7], s[16:17], s[6:7]
	s_andn2_b64 exec, exec, s[6:7]
	s_cbranch_execz .LBB129_90
.LBB129_80:                             ;   Parent Loop BB129_78 Depth=1
                                        ; =>  This Inner Loop Header: Depth=2
	v_lshl_add_u32 v17, v16, 3, v28
	ds_read_b64 v[18:19], v17
                                        ; implicit-def: $sgpr18_sgpr19
	s_waitcnt lgkmcnt(0)
	v_cmp_ne_u64_e32 vcc, v[18:19], v[6:7]
	s_and_saveexec_b64 s[16:17], vcc
	s_xor_b64 s[16:17], exec, s[16:17]
	s_cbranch_execz .LBB129_88
; %bb.81:                               ;   in Loop: Header=BB129_80 Depth=2
	v_cmp_ne_u64_e32 vcc, s[2:3], v[18:19]
                                        ; implicit-def: $sgpr18_sgpr19
	s_and_saveexec_b64 s[20:21], vcc
	s_xor_b64 s[20:21], exec, s[20:21]
; %bb.82:                               ;   in Loop: Header=BB129_80 Depth=2
	v_add_u32_e32 v16, 1, v16
	v_and_b32_e32 v16, 31, v16
	s_mov_b64 s[18:19], -1
                                        ; implicit-def: $vgpr17
; %bb.83:                               ;   in Loop: Header=BB129_80 Depth=2
	s_andn2_saveexec_b64 s[20:21], s[20:21]
	s_cbranch_execz .LBB129_87
; %bb.84:                               ;   in Loop: Header=BB129_80 Depth=2
	v_pk_mov_b32 v[18:19], s[2:3], s[2:3] op_sel:[0,1]
	ds_cmpst_rtn_b64 v[18:19], v17, v[18:19], v[6:7]
	s_mov_b64 s[22:23], -1
	s_waitcnt lgkmcnt(0)
	v_cmp_eq_u64_e32 vcc, s[2:3], v[18:19]
	s_and_saveexec_b64 s[24:25], vcc
	s_cbranch_execz .LBB129_86
; %bb.85:                               ;   in Loop: Header=BB129_80 Depth=2
	v_lshl_add_u32 v17, v16, 5, v30
	ds_add_f32 v17, v22
	ds_add_f32 v17, v23 offset:4
	s_xor_b64 s[22:23], exec, -1
.LBB129_86:                             ;   in Loop: Header=BB129_80 Depth=2
	s_or_b64 exec, exec, s[24:25]
	s_andn2_b64 s[18:19], s[18:19], exec
	s_and_b64 s[22:23], s[22:23], exec
	s_or_b64 s[18:19], s[18:19], s[22:23]
.LBB129_87:                             ;   in Loop: Header=BB129_80 Depth=2
	s_or_b64 exec, exec, s[20:21]
	s_and_b64 s[18:19], s[18:19], exec
.LBB129_88:                             ;   in Loop: Header=BB129_80 Depth=2
	s_andn2_saveexec_b64 s[16:17], s[16:17]
	s_cbranch_execz .LBB129_79
; %bb.89:                               ;   in Loop: Header=BB129_80 Depth=2
	v_lshl_add_u32 v17, v16, 5, v30
	ds_add_f32 v17, v22
	ds_add_f32 v17, v23 offset:4
	s_andn2_b64 s[18:19], s[18:19], exec
	s_branch .LBB129_79
.LBB129_90:                             ;   in Loop: Header=BB129_78 Depth=1
	s_or_b64 exec, exec, s[6:7]
	s_waitcnt vmcnt(1)
	v_mul_f32_e64 v18, v15, -s44
	v_mul_f32_e32 v19, s33, v15
	v_fmac_f32_e32 v18, s33, v14
	v_fmac_f32_e32 v19, s44, v14
	s_mov_b64 s[6:7], 0
	v_pk_mov_b32 v[14:15], v[8:9], v[8:9] op_sel:[0,1]
	s_branch .LBB129_92
.LBB129_91:                             ;   in Loop: Header=BB129_92 Depth=2
	s_or_b64 exec, exec, s[16:17]
	s_xor_b64 s[16:17], s[18:19], -1
	s_and_b64 s[16:17], exec, s[16:17]
	s_or_b64 s[6:7], s[16:17], s[6:7]
	s_andn2_b64 exec, exec, s[6:7]
	s_cbranch_execz .LBB129_102
.LBB129_92:                             ;   Parent Loop BB129_78 Depth=1
                                        ; =>  This Inner Loop Header: Depth=2
	v_lshl_add_u32 v15, v14, 3, v28
	ds_read_b64 v[16:17], v15
                                        ; implicit-def: $sgpr18_sgpr19
	s_waitcnt lgkmcnt(0)
	v_cmp_ne_u64_e32 vcc, v[16:17], v[6:7]
	s_and_saveexec_b64 s[16:17], vcc
	s_xor_b64 s[16:17], exec, s[16:17]
	s_cbranch_execz .LBB129_100
; %bb.93:                               ;   in Loop: Header=BB129_92 Depth=2
	v_cmp_ne_u64_e32 vcc, s[2:3], v[16:17]
                                        ; implicit-def: $sgpr18_sgpr19
	s_and_saveexec_b64 s[20:21], vcc
	s_xor_b64 s[20:21], exec, s[20:21]
; %bb.94:                               ;   in Loop: Header=BB129_92 Depth=2
	v_add_u32_e32 v14, 1, v14
	v_and_b32_e32 v14, 31, v14
	s_mov_b64 s[18:19], -1
                                        ; implicit-def: $vgpr15
; %bb.95:                               ;   in Loop: Header=BB129_92 Depth=2
	s_andn2_saveexec_b64 s[20:21], s[20:21]
	s_cbranch_execz .LBB129_99
; %bb.96:                               ;   in Loop: Header=BB129_92 Depth=2
	v_pk_mov_b32 v[16:17], s[2:3], s[2:3] op_sel:[0,1]
	ds_cmpst_rtn_b64 v[16:17], v15, v[16:17], v[6:7]
	s_mov_b64 s[22:23], -1
	s_waitcnt lgkmcnt(0)
	v_cmp_eq_u64_e32 vcc, s[2:3], v[16:17]
	s_and_saveexec_b64 s[24:25], vcc
	s_cbranch_execz .LBB129_98
; %bb.97:                               ;   in Loop: Header=BB129_92 Depth=2
	v_lshl_add_u32 v15, v14, 5, v30
	ds_add_f32 v15, v18 offset:8
	ds_add_f32 v15, v19 offset:12
	s_xor_b64 s[22:23], exec, -1
.LBB129_98:                             ;   in Loop: Header=BB129_92 Depth=2
	s_or_b64 exec, exec, s[24:25]
	s_andn2_b64 s[18:19], s[18:19], exec
	s_and_b64 s[22:23], s[22:23], exec
	s_or_b64 s[18:19], s[18:19], s[22:23]
.LBB129_99:                             ;   in Loop: Header=BB129_92 Depth=2
	s_or_b64 exec, exec, s[20:21]
	s_and_b64 s[18:19], s[18:19], exec
.LBB129_100:                            ;   in Loop: Header=BB129_92 Depth=2
	s_andn2_saveexec_b64 s[16:17], s[16:17]
	s_cbranch_execz .LBB129_91
; %bb.101:                              ;   in Loop: Header=BB129_92 Depth=2
	v_lshl_add_u32 v15, v14, 5, v30
	ds_add_f32 v15, v18 offset:8
	ds_add_f32 v15, v19 offset:12
	s_andn2_b64 s[18:19], s[18:19], exec
	s_branch .LBB129_91
.LBB129_102:                            ;   in Loop: Header=BB129_78 Depth=1
	s_or_b64 exec, exec, s[6:7]
	s_waitcnt vmcnt(0)
	v_mul_f32_e64 v16, v13, -s44
	v_mul_f32_e32 v17, s33, v13
	v_fmac_f32_e32 v16, s33, v12
	v_fmac_f32_e32 v17, s44, v12
	s_mov_b64 s[6:7], 0
	v_pk_mov_b32 v[12:13], v[8:9], v[8:9] op_sel:[0,1]
	s_branch .LBB129_104
.LBB129_103:                            ;   in Loop: Header=BB129_104 Depth=2
	s_or_b64 exec, exec, s[16:17]
	s_xor_b64 s[16:17], s[18:19], -1
	s_and_b64 s[16:17], exec, s[16:17]
	s_or_b64 s[6:7], s[16:17], s[6:7]
	s_andn2_b64 exec, exec, s[6:7]
	s_cbranch_execz .LBB129_114
.LBB129_104:                            ;   Parent Loop BB129_78 Depth=1
                                        ; =>  This Inner Loop Header: Depth=2
	v_lshl_add_u32 v13, v12, 3, v28
	ds_read_b64 v[14:15], v13
                                        ; implicit-def: $sgpr18_sgpr19
	s_waitcnt lgkmcnt(0)
	v_cmp_ne_u64_e32 vcc, v[14:15], v[6:7]
	s_and_saveexec_b64 s[16:17], vcc
	s_xor_b64 s[16:17], exec, s[16:17]
	s_cbranch_execz .LBB129_112
; %bb.105:                              ;   in Loop: Header=BB129_104 Depth=2
	v_cmp_ne_u64_e32 vcc, s[2:3], v[14:15]
                                        ; implicit-def: $sgpr18_sgpr19
	s_and_saveexec_b64 s[20:21], vcc
	s_xor_b64 s[20:21], exec, s[20:21]
; %bb.106:                              ;   in Loop: Header=BB129_104 Depth=2
	v_add_u32_e32 v12, 1, v12
	v_and_b32_e32 v12, 31, v12
	s_mov_b64 s[18:19], -1
                                        ; implicit-def: $vgpr13
; %bb.107:                              ;   in Loop: Header=BB129_104 Depth=2
	s_andn2_saveexec_b64 s[20:21], s[20:21]
	s_cbranch_execz .LBB129_111
; %bb.108:                              ;   in Loop: Header=BB129_104 Depth=2
	v_pk_mov_b32 v[14:15], s[2:3], s[2:3] op_sel:[0,1]
	ds_cmpst_rtn_b64 v[14:15], v13, v[14:15], v[6:7]
	s_mov_b64 s[22:23], -1
	s_waitcnt lgkmcnt(0)
	v_cmp_eq_u64_e32 vcc, s[2:3], v[14:15]
	s_and_saveexec_b64 s[24:25], vcc
	s_cbranch_execz .LBB129_110
; %bb.109:                              ;   in Loop: Header=BB129_104 Depth=2
	v_lshl_add_u32 v13, v12, 5, v30
	ds_add_f32 v13, v16 offset:16
	ds_add_f32 v13, v17 offset:20
	s_xor_b64 s[22:23], exec, -1
.LBB129_110:                            ;   in Loop: Header=BB129_104 Depth=2
	s_or_b64 exec, exec, s[24:25]
	s_andn2_b64 s[18:19], s[18:19], exec
	s_and_b64 s[22:23], s[22:23], exec
	s_or_b64 s[18:19], s[18:19], s[22:23]
.LBB129_111:                            ;   in Loop: Header=BB129_104 Depth=2
	s_or_b64 exec, exec, s[20:21]
	s_and_b64 s[18:19], s[18:19], exec
.LBB129_112:                            ;   in Loop: Header=BB129_104 Depth=2
	s_andn2_saveexec_b64 s[16:17], s[16:17]
	s_cbranch_execz .LBB129_103
; %bb.113:                              ;   in Loop: Header=BB129_104 Depth=2
	v_lshl_add_u32 v13, v12, 5, v30
	ds_add_f32 v13, v16 offset:16
	ds_add_f32 v13, v17 offset:20
	s_andn2_b64 s[18:19], s[18:19], exec
	s_branch .LBB129_103
.LBB129_114:                            ;   in Loop: Header=BB129_78 Depth=1
	s_or_b64 exec, exec, s[6:7]
	v_mul_f32_e64 v12, v11, -s44
	v_mul_f32_e32 v13, s33, v11
	v_fmac_f32_e32 v12, s33, v10
	v_fmac_f32_e32 v13, s44, v10
	s_mov_b64 s[6:7], 0
	s_branch .LBB129_116
.LBB129_115:                            ;   in Loop: Header=BB129_116 Depth=2
	s_or_b64 exec, exec, s[16:17]
	s_xor_b64 s[16:17], s[18:19], -1
	s_and_b64 s[16:17], exec, s[16:17]
	s_or_b64 s[6:7], s[16:17], s[6:7]
	s_andn2_b64 exec, exec, s[6:7]
	s_cbranch_execz .LBB129_77
.LBB129_116:                            ;   Parent Loop BB129_78 Depth=1
                                        ; =>  This Inner Loop Header: Depth=2
	v_lshl_add_u32 v14, v8, 3, v28
	ds_read_b64 v[10:11], v14
                                        ; implicit-def: $sgpr18_sgpr19
	s_waitcnt lgkmcnt(0)
	v_cmp_ne_u64_e32 vcc, v[10:11], v[6:7]
	s_and_saveexec_b64 s[16:17], vcc
	s_xor_b64 s[16:17], exec, s[16:17]
	s_cbranch_execz .LBB129_124
; %bb.117:                              ;   in Loop: Header=BB129_116 Depth=2
	v_cmp_ne_u64_e32 vcc, s[2:3], v[10:11]
                                        ; implicit-def: $sgpr18_sgpr19
	s_and_saveexec_b64 s[20:21], vcc
	s_xor_b64 s[20:21], exec, s[20:21]
; %bb.118:                              ;   in Loop: Header=BB129_116 Depth=2
	v_add_u32_e32 v8, 1, v8
	v_and_b32_e32 v8, 31, v8
	s_mov_b64 s[18:19], -1
                                        ; implicit-def: $vgpr14
; %bb.119:                              ;   in Loop: Header=BB129_116 Depth=2
	s_andn2_saveexec_b64 s[20:21], s[20:21]
	s_cbranch_execz .LBB129_123
; %bb.120:                              ;   in Loop: Header=BB129_116 Depth=2
	v_pk_mov_b32 v[10:11], s[2:3], s[2:3] op_sel:[0,1]
	ds_cmpst_rtn_b64 v[10:11], v14, v[10:11], v[6:7]
	s_mov_b64 s[22:23], -1
	s_waitcnt lgkmcnt(0)
	v_cmp_eq_u64_e32 vcc, s[2:3], v[10:11]
	s_and_saveexec_b64 s[24:25], vcc
	s_cbranch_execz .LBB129_122
; %bb.121:                              ;   in Loop: Header=BB129_116 Depth=2
	v_lshl_add_u32 v10, v8, 5, v30
	ds_add_f32 v10, v12 offset:24
	ds_add_f32 v10, v13 offset:28
	s_xor_b64 s[22:23], exec, -1
.LBB129_122:                            ;   in Loop: Header=BB129_116 Depth=2
	s_or_b64 exec, exec, s[24:25]
	s_andn2_b64 s[18:19], s[18:19], exec
	s_and_b64 s[22:23], s[22:23], exec
	s_or_b64 s[18:19], s[18:19], s[22:23]
.LBB129_123:                            ;   in Loop: Header=BB129_116 Depth=2
	s_or_b64 exec, exec, s[20:21]
	s_and_b64 s[18:19], s[18:19], exec
.LBB129_124:                            ;   in Loop: Header=BB129_116 Depth=2
	s_andn2_saveexec_b64 s[16:17], s[16:17]
	s_cbranch_execz .LBB129_115
; %bb.125:                              ;   in Loop: Header=BB129_116 Depth=2
	v_lshl_add_u32 v10, v8, 5, v30
	ds_add_f32 v10, v12 offset:24
	ds_add_f32 v10, v13 offset:28
	s_andn2_b64 s[18:19], s[18:19], exec
	s_branch .LBB129_115
.LBB129_126:
	s_or_b64 exec, exec, s[0:1]
.LBB129_127:
	v_mov_b32_e32 v1, s13
	v_add_co_u32_e32 v0, vcc, s12, v4
	v_addc_co_u32_e32 v1, vcc, v1, v5, vcc
	s_waitcnt lgkmcnt(0)
	global_load_dwordx2 v[0:1], v[0:1], off
	s_cmp_eq_u32 s52, 0
	s_mov_b32 s6, 0
	v_lshl_add_u32 v2, v29, 5, v30
	s_cselect_b32 s7, 8, 16
	s_cselect_b32 s8, 16, 8
	s_mov_b64 s[0:1], 0
	s_waitcnt vmcnt(0)
	v_subrev_co_u32_e32 v3, vcc, s38, v0
	v_subbrev_co_u32_e32 v4, vcc, 0, v1, vcc
	s_branch .LBB129_129
.LBB129_128:                            ;   in Loop: Header=BB129_129 Depth=1
	s_or_b64 exec, exec, s[4:5]
	v_add_co_u32_e32 v26, vcc, 16, v26
	s_xor_b64 s[4:5], vcc, -1
	s_and_b64 s[4:5], exec, s[4:5]
	v_add_u32_e32 v2, 0x200, v2
	s_or_b64 s[0:1], s[4:5], s[0:1]
	v_add_u32_e32 v27, 0x80, v27
	s_andn2_b64 exec, exec, s[0:1]
	s_cbranch_execz .LBB129_131
.LBB129_129:                            ; =>This Inner Loop Header: Depth=1
	ds_read_b64 v[0:1], v27
	s_waitcnt lgkmcnt(0)
	v_cmp_gt_i64_e32 vcc, s[2:3], v[0:1]
	s_and_saveexec_b64 s[4:5], vcc
	s_cbranch_execz .LBB129_128
; %bb.130:                              ;   in Loop: Header=BB129_129 Depth=1
	ds_read_b128 v[6:9], v28
	ds_read_b128 v[10:13], v28 offset:16
	ds_read_b128 v[14:17], v28 offset:32
	;; [unrolled: 1-line block ×3, first 2 shown]
	s_waitcnt lgkmcnt(3)
	v_cmp_gt_i64_e32 vcc, v[0:1], v[6:7]
	v_cndmask_b32_e64 v5, 0, 1, vcc
	v_add_co_u32_e32 v5, vcc, v3, v5
	v_addc_co_u32_e32 v6, vcc, 0, v4, vcc
	v_cmp_gt_i64_e32 vcc, v[0:1], v[8:9]
	v_cndmask_b32_e64 v7, 0, 1, vcc
	v_add_co_u32_e32 v5, vcc, v5, v7
	v_addc_co_u32_e32 v6, vcc, 0, v6, vcc
	s_waitcnt lgkmcnt(2)
	v_cmp_gt_i64_e32 vcc, v[0:1], v[10:11]
	v_cndmask_b32_e64 v7, 0, 1, vcc
	v_add_co_u32_e32 v5, vcc, v5, v7
	v_addc_co_u32_e32 v6, vcc, 0, v6, vcc
	v_cmp_gt_i64_e32 vcc, v[0:1], v[12:13]
	v_cndmask_b32_e64 v7, 0, 1, vcc
	v_add_co_u32_e32 v5, vcc, v5, v7
	v_addc_co_u32_e32 v6, vcc, 0, v6, vcc
	;; [unrolled: 9-line block ×3, first 2 shown]
	s_waitcnt lgkmcnt(0)
	v_cmp_gt_i64_e32 vcc, v[0:1], v[18:19]
	v_cndmask_b32_e64 v7, 0, 1, vcc
	v_add_co_u32_e32 v5, vcc, v5, v7
	v_addc_co_u32_e32 v10, vcc, 0, v6, vcc
	ds_read_b128 v[6:9], v28 offset:64
	v_cmp_gt_i64_e32 vcc, v[0:1], v[20:21]
	v_cndmask_b32_e64 v11, 0, 1, vcc
	v_add_co_u32_e32 v5, vcc, v5, v11
	v_addc_co_u32_e32 v14, vcc, 0, v10, vcc
	ds_read_b128 v[10:13], v28 offset:80
	s_waitcnt lgkmcnt(1)
	v_cmp_gt_i64_e32 vcc, v[0:1], v[6:7]
	v_cndmask_b32_e64 v6, 0, 1, vcc
	v_add_co_u32_e32 v5, vcc, v5, v6
	v_addc_co_u32_e32 v6, vcc, 0, v14, vcc
	v_cmp_gt_i64_e32 vcc, v[0:1], v[8:9]
	v_cndmask_b32_e64 v7, 0, 1, vcc
	v_add_co_u32_e32 v5, vcc, v5, v7
	v_addc_co_u32_e32 v6, vcc, 0, v6, vcc
	s_waitcnt lgkmcnt(0)
	v_cmp_gt_i64_e32 vcc, v[0:1], v[10:11]
	v_cndmask_b32_e64 v7, 0, 1, vcc
	v_add_co_u32_e32 v5, vcc, v5, v7
	v_addc_co_u32_e32 v10, vcc, 0, v6, vcc
	ds_read_b128 v[6:9], v28 offset:96
	v_cmp_gt_i64_e32 vcc, v[0:1], v[12:13]
	v_cndmask_b32_e64 v11, 0, 1, vcc
	v_add_co_u32_e32 v5, vcc, v5, v11
	v_addc_co_u32_e32 v14, vcc, 0, v10, vcc
	ds_read_b128 v[10:13], v28 offset:112
	s_waitcnt lgkmcnt(1)
	v_cmp_gt_i64_e32 vcc, v[0:1], v[6:7]
	v_cndmask_b32_e64 v6, 0, 1, vcc
	v_add_co_u32_e32 v5, vcc, v5, v6
	v_addc_co_u32_e32 v6, vcc, 0, v14, vcc
	v_cmp_gt_i64_e32 vcc, v[0:1], v[8:9]
	v_cndmask_b32_e64 v7, 0, 1, vcc
	v_add_co_u32_e32 v5, vcc, v5, v7
	v_addc_co_u32_e32 v6, vcc, 0, v6, vcc
	;; [unrolled: 20-line block ×6, first 2 shown]
	s_waitcnt lgkmcnt(0)
	v_cmp_gt_i64_e32 vcc, v[0:1], v[10:11]
	v_cndmask_b32_e64 v7, 0, 1, vcc
	v_add_co_u32_e32 v5, vcc, v5, v7
	v_addc_co_u32_e32 v6, vcc, 0, v6, vcc
	v_cmp_gt_i64_e32 vcc, v[0:1], v[12:13]
	v_cndmask_b32_e64 v7, 0, 1, vcc
	v_add_co_u32_e32 v10, vcc, v5, v7
	v_addc_co_u32_e32 v11, vcc, 0, v6, vcc
	v_mov_b32_e32 v5, s6
	v_add_co_u32_e32 v0, vcc, s38, v0
	v_addc_co_u32_e32 v1, vcc, v1, v5, vcc
	v_lshlrev_b64 v[6:7], 3, v[10:11]
	v_mov_b32_e32 v5, s15
	v_add_co_u32_e32 v12, vcc, s14, v6
	v_addc_co_u32_e32 v13, vcc, v5, v7, vcc
	ds_read2_b64 v[6:9], v2 offset1:3
	global_store_dwordx2 v[12:13], v[0:1], off
	v_lshlrev_b64 v[0:1], 5, v[10:11]
	v_add_u32_e32 v12, s7, v2
	v_mov_b32_e32 v5, s35
	s_waitcnt lgkmcnt(0)
	v_mov_b32_e32 v10, v6
	v_add_u32_e32 v6, s8, v2
	v_mov_b32_e32 v11, v7
	ds_read_b64 v[12:13], v12
	ds_read_b64 v[6:7], v6
	v_add_co_u32_e32 v0, vcc, s34, v0
	v_addc_co_u32_e32 v1, vcc, v5, v1, vcc
	s_waitcnt lgkmcnt(1)
	global_store_dwordx4 v[0:1], v[10:13], off
	s_waitcnt lgkmcnt(0)
	global_store_dwordx4 v[0:1], v[6:9], off offset:16
	s_branch .LBB129_128
.LBB129_131:
	s_endpgm
	.section	.rodata,"a",@progbits
	.p2align	6, 0x0
	.amdhsa_kernel _ZN9rocsparseL27bsrgemm_fill_wf_per_row_2x2ILj256ELj16ELj32ELj137Ell21rocsparse_complex_numIfEEEv20rocsparse_direction_T4_S4_PKS4_S6_NS_24const_host_device_scalarIT5_EEPKT3_S6_PKS8_SC_S6_SE_S9_SC_S6_SE_SC_PS4_PS8_21rocsparse_index_base_SH_SH_SH_bbb
		.amdhsa_group_segment_fixed_size 20480
		.amdhsa_private_segment_fixed_size 0
		.amdhsa_kernarg_size 172
		.amdhsa_user_sgpr_count 6
		.amdhsa_user_sgpr_private_segment_buffer 1
		.amdhsa_user_sgpr_dispatch_ptr 0
		.amdhsa_user_sgpr_queue_ptr 0
		.amdhsa_user_sgpr_kernarg_segment_ptr 1
		.amdhsa_user_sgpr_dispatch_id 0
		.amdhsa_user_sgpr_flat_scratch_init 0
		.amdhsa_user_sgpr_kernarg_preload_length 0
		.amdhsa_user_sgpr_kernarg_preload_offset 0
		.amdhsa_user_sgpr_private_segment_size 0
		.amdhsa_uses_dynamic_stack 0
		.amdhsa_system_sgpr_private_segment_wavefront_offset 0
		.amdhsa_system_sgpr_workgroup_id_x 1
		.amdhsa_system_sgpr_workgroup_id_y 0
		.amdhsa_system_sgpr_workgroup_id_z 0
		.amdhsa_system_sgpr_workgroup_info 0
		.amdhsa_system_vgpr_workitem_id 0
		.amdhsa_next_free_vgpr 43
		.amdhsa_next_free_sgpr 59
		.amdhsa_accum_offset 44
		.amdhsa_reserve_vcc 1
		.amdhsa_reserve_flat_scratch 0
		.amdhsa_float_round_mode_32 0
		.amdhsa_float_round_mode_16_64 0
		.amdhsa_float_denorm_mode_32 3
		.amdhsa_float_denorm_mode_16_64 3
		.amdhsa_dx10_clamp 1
		.amdhsa_ieee_mode 1
		.amdhsa_fp16_overflow 0
		.amdhsa_tg_split 0
		.amdhsa_exception_fp_ieee_invalid_op 0
		.amdhsa_exception_fp_denorm_src 0
		.amdhsa_exception_fp_ieee_div_zero 0
		.amdhsa_exception_fp_ieee_overflow 0
		.amdhsa_exception_fp_ieee_underflow 0
		.amdhsa_exception_fp_ieee_inexact 0
		.amdhsa_exception_int_div_zero 0
	.end_amdhsa_kernel
	.section	.text._ZN9rocsparseL27bsrgemm_fill_wf_per_row_2x2ILj256ELj16ELj32ELj137Ell21rocsparse_complex_numIfEEEv20rocsparse_direction_T4_S4_PKS4_S6_NS_24const_host_device_scalarIT5_EEPKT3_S6_PKS8_SC_S6_SE_S9_SC_S6_SE_SC_PS4_PS8_21rocsparse_index_base_SH_SH_SH_bbb,"axG",@progbits,_ZN9rocsparseL27bsrgemm_fill_wf_per_row_2x2ILj256ELj16ELj32ELj137Ell21rocsparse_complex_numIfEEEv20rocsparse_direction_T4_S4_PKS4_S6_NS_24const_host_device_scalarIT5_EEPKT3_S6_PKS8_SC_S6_SE_S9_SC_S6_SE_SC_PS4_PS8_21rocsparse_index_base_SH_SH_SH_bbb,comdat
.Lfunc_end129:
	.size	_ZN9rocsparseL27bsrgemm_fill_wf_per_row_2x2ILj256ELj16ELj32ELj137Ell21rocsparse_complex_numIfEEEv20rocsparse_direction_T4_S4_PKS4_S6_NS_24const_host_device_scalarIT5_EEPKT3_S6_PKS8_SC_S6_SE_S9_SC_S6_SE_SC_PS4_PS8_21rocsparse_index_base_SH_SH_SH_bbb, .Lfunc_end129-_ZN9rocsparseL27bsrgemm_fill_wf_per_row_2x2ILj256ELj16ELj32ELj137Ell21rocsparse_complex_numIfEEEv20rocsparse_direction_T4_S4_PKS4_S6_NS_24const_host_device_scalarIT5_EEPKT3_S6_PKS8_SC_S6_SE_S9_SC_S6_SE_SC_PS4_PS8_21rocsparse_index_base_SH_SH_SH_bbb
                                        ; -- End function
	.section	.AMDGPU.csdata,"",@progbits
; Kernel info:
; codeLenInByte = 4760
; NumSgprs: 63
; NumVgprs: 43
; NumAgprs: 0
; TotalNumVgprs: 43
; ScratchSize: 0
; MemoryBound: 0
; FloatMode: 240
; IeeeMode: 1
; LDSByteSize: 20480 bytes/workgroup (compile time only)
; SGPRBlocks: 7
; VGPRBlocks: 5
; NumSGPRsForWavesPerEU: 63
; NumVGPRsForWavesPerEU: 43
; AccumOffset: 44
; Occupancy: 3
; WaveLimiterHint : 1
; COMPUTE_PGM_RSRC2:SCRATCH_EN: 0
; COMPUTE_PGM_RSRC2:USER_SGPR: 6
; COMPUTE_PGM_RSRC2:TRAP_HANDLER: 0
; COMPUTE_PGM_RSRC2:TGID_X_EN: 1
; COMPUTE_PGM_RSRC2:TGID_Y_EN: 0
; COMPUTE_PGM_RSRC2:TGID_Z_EN: 0
; COMPUTE_PGM_RSRC2:TIDIG_COMP_CNT: 0
; COMPUTE_PGM_RSRC3_GFX90A:ACCUM_OFFSET: 10
; COMPUTE_PGM_RSRC3_GFX90A:TG_SPLIT: 0
	.section	.text._ZN9rocsparseL30bsrgemm_fill_block_per_row_2x2ILj256ELj16ELj64ELj137Ell21rocsparse_complex_numIfEEEv20rocsparse_direction_T4_S4_PKS4_S6_NS_24const_host_device_scalarIT5_EEPKT3_S6_PKS8_SC_S6_SE_S9_SC_S6_SE_SC_PS4_PS8_21rocsparse_index_base_SH_SH_SH_bbb,"axG",@progbits,_ZN9rocsparseL30bsrgemm_fill_block_per_row_2x2ILj256ELj16ELj64ELj137Ell21rocsparse_complex_numIfEEEv20rocsparse_direction_T4_S4_PKS4_S6_NS_24const_host_device_scalarIT5_EEPKT3_S6_PKS8_SC_S6_SE_S9_SC_S6_SE_SC_PS4_PS8_21rocsparse_index_base_SH_SH_SH_bbb,comdat
	.globl	_ZN9rocsparseL30bsrgemm_fill_block_per_row_2x2ILj256ELj16ELj64ELj137Ell21rocsparse_complex_numIfEEEv20rocsparse_direction_T4_S4_PKS4_S6_NS_24const_host_device_scalarIT5_EEPKT3_S6_PKS8_SC_S6_SE_S9_SC_S6_SE_SC_PS4_PS8_21rocsparse_index_base_SH_SH_SH_bbb ; -- Begin function _ZN9rocsparseL30bsrgemm_fill_block_per_row_2x2ILj256ELj16ELj64ELj137Ell21rocsparse_complex_numIfEEEv20rocsparse_direction_T4_S4_PKS4_S6_NS_24const_host_device_scalarIT5_EEPKT3_S6_PKS8_SC_S6_SE_S9_SC_S6_SE_SC_PS4_PS8_21rocsparse_index_base_SH_SH_SH_bbb
	.p2align	8
	.type	_ZN9rocsparseL30bsrgemm_fill_block_per_row_2x2ILj256ELj16ELj64ELj137Ell21rocsparse_complex_numIfEEEv20rocsparse_direction_T4_S4_PKS4_S6_NS_24const_host_device_scalarIT5_EEPKT3_S6_PKS8_SC_S6_SE_S9_SC_S6_SE_SC_PS4_PS8_21rocsparse_index_base_SH_SH_SH_bbb,@function
_ZN9rocsparseL30bsrgemm_fill_block_per_row_2x2ILj256ELj16ELj64ELj137Ell21rocsparse_complex_numIfEEEv20rocsparse_direction_T4_S4_PKS4_S6_NS_24const_host_device_scalarIT5_EEPKT3_S6_PKS8_SC_S6_SE_S9_SC_S6_SE_SC_PS4_PS8_21rocsparse_index_base_SH_SH_SH_bbb: ; @_ZN9rocsparseL30bsrgemm_fill_block_per_row_2x2ILj256ELj16ELj64ELj137Ell21rocsparse_complex_numIfEEEv20rocsparse_direction_T4_S4_PKS4_S6_NS_24const_host_device_scalarIT5_EEPKT3_S6_PKS8_SC_S6_SE_S9_SC_S6_SE_SC_PS4_PS8_21rocsparse_index_base_SH_SH_SH_bbb
; %bb.0:
	s_load_dwordx8 s[8:15], s[4:5], 0x70
	s_load_dwordx8 s[16:23], s[4:5], 0x50
	s_load_dword s7, s[4:5], 0xa8
	s_load_dwordx4 s[40:43], s[4:5], 0x18
	s_load_dwordx8 s[24:31], s[4:5], 0x30
	s_load_dwordx2 s[2:3], s[4:5], 0x90
	s_load_dwordx4 s[36:39], s[4:5], 0x98
	s_waitcnt lgkmcnt(0)
	s_bitcmp1_b32 s7, 0
	s_cselect_b64 s[46:47], -1, 0
	s_bitcmp1_b32 s7, 16
	s_cselect_b64 s[0:1], -1, 0
	s_xor_b64 s[0:1], s[0:1], -1
	v_cndmask_b32_e64 v1, 0, 1, s[0:1]
	s_mov_b32 s35, 0
	s_bitcmp0_b32 s7, 0
	v_cmp_ne_u32_e64 s[0:1], 1, v1
	s_mov_b32 s60, 0
	s_cbranch_scc1 .LBB130_5
; %bb.1:
	s_load_dwordx2 s[34:35], s[4:5], 0x28
	s_and_b64 vcc, exec, s[0:1]
	s_waitcnt lgkmcnt(0)
	s_mov_b32 s60, s34
	s_cbranch_vccnz .LBB130_3
; %bb.2:
	s_load_dword s60, s[34:35], 0x0
.LBB130_3:
	s_and_b64 vcc, exec, s[0:1]
	s_cbranch_vccnz .LBB130_5
; %bb.4:
	s_load_dword s35, s[34:35], 0x4
.LBB130_5:
	s_bitcmp1_b32 s7, 8
	s_cselect_b64 s[44:45], -1, 0
	s_bfe_u32 s7, s7, 0x10008
	s_mov_b32 s58, 0
	s_cmp_eq_u32 s7, 0
	s_mov_b32 s33, 0
	s_cbranch_scc1 .LBB130_11
; %bb.6:
	s_and_b64 vcc, exec, s[0:1]
	s_mov_b32 s33, s20
	s_cbranch_vccnz .LBB130_8
; %bb.7:
	s_load_dword s33, s[20:21], 0x0
.LBB130_8:
	s_and_b64 vcc, exec, s[0:1]
	s_cbranch_vccnz .LBB130_10
; %bb.9:
	s_load_dword s21, s[20:21], 0x4
.LBB130_10:
	s_waitcnt lgkmcnt(0)
	s_mov_b32 s58, s21
.LBB130_11:
	s_load_dwordx2 s[20:21], s[4:5], 0x10
	v_cmp_gt_u32_e64 s[0:1], 64, v0
	v_lshl_add_u32 v1, v0, 3, 0
	s_and_saveexec_b64 s[48:49], s[0:1]
	s_cbranch_execz .LBB130_13
; %bb.12:
	s_waitcnt lgkmcnt(0)
	v_pk_mov_b32 v[2:3], s[20:21], s[20:21] op_sel:[0,1]
	ds_write_b64 v1, v[2:3]
.LBB130_13:
	s_or_b64 exec, exec, s[48:49]
	s_movk_i32 s7, 0x100
	v_cmp_gt_u32_e32 vcc, s7, v0
	s_and_saveexec_b64 s[48:49], vcc
	s_cbranch_execz .LBB130_15
; %bb.14:
	v_mov_b32_e32 v2, 0
	ds_write2_b32 v1, v2, v2 offset0:128 offset1:129
.LBB130_15:
	s_or_b64 exec, exec, s[48:49]
	s_cmp_eq_u64 s[42:43], 0
	s_mov_b32 s7, 0
	s_waitcnt lgkmcnt(0)
	s_barrier
	s_cbranch_scc1 .LBB130_17
; %bb.16:
	s_load_dwordx2 s[40:41], s[40:41], 0x0
	s_waitcnt lgkmcnt(0)
	s_lshl_b64 s[40:41], s[40:41], 3
	s_add_u32 s34, s42, s40
	s_addc_u32 s40, s43, s41
	s_lshl_b64 s[6:7], s[6:7], 3
	s_add_u32 s6, s34, s6
	s_addc_u32 s7, s40, s7
	s_load_dwordx2 s[6:7], s[6:7], 0x0
.LBB130_17:
	s_nop 0
	s_load_dword s59, s[4:5], 0x0
	s_andn2_b64 vcc, exec, s[46:47]
	s_cbranch_vccnz .LBB130_73
; %bb.18:
	s_waitcnt lgkmcnt(0)
	s_lshl_b64 s[4:5], s[6:7], 3
	s_add_u32 s4, s24, s4
	s_addc_u32 s5, s25, s5
	s_load_dwordx4 s[48:51], s[4:5], 0x0
	v_lshrrev_b32_e32 v2, 4, v0
	v_subrev_co_u32_e32 v2, vcc, s36, v2
	v_subb_co_u32_e64 v3, s[24:25], 0, 0, vcc
	s_waitcnt lgkmcnt(0)
	s_sub_u32 s4, s50, s36
	v_mov_b32_e32 v4, s49
	v_add_co_u32_e32 v2, vcc, s48, v2
	s_subb_u32 s5, s51, 0
	v_addc_co_u32_e32 v3, vcc, v4, v3, vcc
	s_mov_b32 s40, 0
	v_cmp_gt_i64_e32 vcc, s[4:5], v[2:3]
	s_and_saveexec_b64 s[24:25], vcc
	s_cbranch_execz .LBB130_72
; %bb.19:
	v_and_b32_e32 v4, 15, v0
	v_subrev_co_u32_e32 v11, vcc, s37, v4
	s_mov_b32 s34, s36
	s_cmp_eq_u32 s59, 0
	s_mov_b32 s61, s37
	v_subb_co_u32_e64 v23, s[36:37], 0, 0, vcc
	s_mov_b32 s62, s40
	s_cselect_b32 s63, 2, 1
	s_cselect_b32 s64, 1, 2
	s_mov_b64 s[36:37], 0
	v_mov_b32_e32 v26, s27
	v_mov_b32_e32 v27, s40
	;; [unrolled: 1-line block ×4, first 2 shown]
	s_branch .LBB130_21
.LBB130_20:                             ;   in Loop: Header=BB130_21 Depth=1
	s_or_b64 exec, exec, s[40:41]
	v_add_co_u32_e32 v2, vcc, 16, v2
	v_addc_co_u32_e32 v3, vcc, 0, v3, vcc
	v_cmp_le_i64_e32 vcc, s[4:5], v[2:3]
	s_or_b64 s[36:37], vcc, s[36:37]
	s_andn2_b64 exec, exec, s[36:37]
	s_cbranch_execz .LBB130_72
.LBB130_21:                             ; =>This Loop Header: Depth=1
                                        ;     Child Loop BB130_24 Depth 2
                                        ;       Child Loop BB130_26 Depth 3
                                        ;       Child Loop BB130_38 Depth 3
	;; [unrolled: 1-line block ×4, first 2 shown]
	v_lshlrev_b64 v[4:5], 3, v[2:3]
	v_add_co_u32_e32 v4, vcc, s26, v4
	v_addc_co_u32_e32 v5, vcc, v26, v5, vcc
	global_load_dwordx2 v[4:5], v[4:5], off
	s_waitcnt vmcnt(0)
	v_subrev_co_u32_e32 v4, vcc, s34, v4
	v_subb_co_u32_e32 v5, vcc, v5, v27, vcc
	v_lshlrev_b64 v[4:5], 3, v[4:5]
	v_add_co_u32_e32 v4, vcc, s30, v4
	v_addc_co_u32_e32 v5, vcc, v28, v5, vcc
	global_load_dwordx4 v[6:9], v[4:5], off
	s_waitcnt vmcnt(0)
	v_subrev_co_u32_e32 v4, vcc, s61, v8
	v_subb_co_u32_e32 v5, vcc, v9, v29, vcc
	v_add_co_u32_e32 v6, vcc, v6, v11
	v_addc_co_u32_e32 v7, vcc, v7, v23, vcc
	v_cmp_lt_i64_e32 vcc, v[6:7], v[4:5]
	s_and_saveexec_b64 s[40:41], vcc
	s_cbranch_execz .LBB130_20
; %bb.22:                               ;   in Loop: Header=BB130_21 Depth=1
	v_lshlrev_b64 v[8:9], 2, v[2:3]
	v_lshlrev_b64 v[12:13], 5, v[2:3]
	v_mov_b32_e32 v10, s29
	v_add_co_u32_e32 v12, vcc, s28, v12
	v_or_b32_e32 v17, 0, v9
	v_or_b32_e32 v16, s63, v8
	v_addc_co_u32_e32 v13, vcc, v10, v13, vcc
	v_lshlrev_b64 v[16:17], 3, v[16:17]
	v_add_co_u32_e32 v16, vcc, s28, v16
	v_or_b32_e32 v9, 0, v9
	v_or_b32_e32 v8, s64, v8
	v_addc_co_u32_e32 v17, vcc, v10, v17, vcc
	v_lshlrev_b64 v[8:9], 3, v[8:9]
	v_add_co_u32_e32 v8, vcc, s28, v8
	v_addc_co_u32_e32 v9, vcc, v10, v9, vcc
	global_load_dwordx2 v[14:15], v[12:13], off
	s_nop 0
	global_load_dwordx2 v[16:17], v[16:17], off
	s_nop 0
	;; [unrolled: 2-line block ×3, first 2 shown]
	global_load_dwordx2 v[12:13], v[12:13], off offset:24
	s_mov_b64 s[42:43], 0
	s_waitcnt vmcnt(2)
	v_mul_f32_e64 v32, v17, -s35
	v_mul_f32_e64 v30, v15, -s35
	v_mul_f32_e32 v31, s60, v15
	v_mul_f32_e32 v33, s60, v17
	s_waitcnt vmcnt(0)
	v_mul_f32_e32 v34, s60, v13
	v_mul_f32_e64 v35, v13, -s35
	v_mul_f32_e32 v36, s60, v9
	v_mul_f32_e64 v37, v9, -s35
	v_fmac_f32_e32 v30, s60, v14
	v_fmac_f32_e32 v31, s35, v14
	;; [unrolled: 1-line block ×8, first 2 shown]
	s_branch .LBB130_24
.LBB130_23:                             ;   in Loop: Header=BB130_24 Depth=2
	s_or_b64 exec, exec, s[46:47]
	v_add_co_u32_e32 v6, vcc, 16, v6
	v_addc_co_u32_e32 v7, vcc, 0, v7, vcc
	v_cmp_ge_i64_e32 vcc, v[6:7], v[4:5]
	s_or_b64 s[42:43], vcc, s[42:43]
	s_andn2_b64 exec, exec, s[42:43]
	s_cbranch_execz .LBB130_20
.LBB130_24:                             ;   Parent Loop BB130_21 Depth=1
                                        ; =>  This Loop Header: Depth=2
                                        ;       Child Loop BB130_26 Depth 3
                                        ;       Child Loop BB130_38 Depth 3
	;; [unrolled: 1-line block ×4, first 2 shown]
	v_lshlrev_b64 v[8:9], 3, v[6:7]
	v_lshlrev_b64 v[12:13], 2, v[6:7]
	v_mov_b32_e32 v10, s17
	v_add_co_u32_e32 v8, vcc, s16, v8
	v_or_b32_e32 v15, 0, v13
	v_or_b32_e32 v14, s64, v12
	v_or_b32_e32 v13, 0, v13
	v_or_b32_e32 v12, s63, v12
	v_addc_co_u32_e32 v9, vcc, v10, v9, vcc
	v_lshlrev_b64 v[12:13], 3, v[12:13]
	v_mov_b32_e32 v10, s19
	v_add_co_u32_e32 v12, vcc, s18, v12
	v_lshlrev_b64 v[16:17], 5, v[6:7]
	v_addc_co_u32_e32 v13, vcc, v10, v13, vcc
	v_add_co_u32_e32 v20, vcc, s18, v16
	global_load_dwordx2 v[8:9], v[8:9], off
	v_addc_co_u32_e32 v21, vcc, v10, v17, vcc
	global_load_dwordx2 v[18:19], v[12:13], off
	global_load_dwordx2 v[16:17], v[20:21], off
	v_lshlrev_b64 v[12:13], 3, v[14:15]
	v_add_co_u32_e32 v12, vcc, s18, v12
	v_addc_co_u32_e32 v13, vcc, v10, v13, vcc
	global_load_dwordx2 v[12:13], v[12:13], off
	s_nop 0
	global_load_dwordx2 v[14:15], v[20:21], off offset:24
	v_mov_b32_e32 v10, s62
	s_mov_b64 s[46:47], 0
	s_waitcnt vmcnt(4)
	v_subrev_co_u32_e32 v8, vcc, s61, v8
	v_subb_co_u32_e32 v9, vcc, v9, v10, vcc
	s_waitcnt vmcnt(3)
	v_mul_f32_e64 v20, v19, -v36
	v_mul_f32_e32 v38, v37, v19
	v_lshl_add_u32 v10, v8, 3, v8
	v_fmac_f32_e32 v20, v37, v18
	v_fmac_f32_e32 v38, v36, v18
	v_and_b32_e32 v10, 63, v10
	s_waitcnt vmcnt(2)
	v_fmac_f32_e32 v20, v30, v16
	v_fmac_f32_e32 v38, v31, v16
	v_fma_f32 v39, -v31, v17, v20
	v_fmac_f32_e32 v38, v30, v17
	v_pk_mov_b32 v[20:21], v[10:11], v[10:11] op_sel:[0,1]
	s_branch .LBB130_26
.LBB130_25:                             ;   in Loop: Header=BB130_26 Depth=3
	s_or_b64 exec, exec, s[48:49]
	s_xor_b64 s[48:49], s[50:51], -1
	s_and_b64 s[48:49], exec, s[48:49]
	s_or_b64 s[46:47], s[48:49], s[46:47]
	s_andn2_b64 exec, exec, s[46:47]
	s_cbranch_execz .LBB130_36
.LBB130_26:                             ;   Parent Loop BB130_21 Depth=1
                                        ;     Parent Loop BB130_24 Depth=2
                                        ; =>    This Inner Loop Header: Depth=3
	v_lshl_add_u32 v22, v20, 3, 0
	ds_read_b64 v[24:25], v22
                                        ; implicit-def: $sgpr50_sgpr51
	s_waitcnt lgkmcnt(0)
	v_cmp_ne_u64_e32 vcc, v[24:25], v[8:9]
	s_and_saveexec_b64 s[48:49], vcc
	s_xor_b64 s[48:49], exec, s[48:49]
	s_cbranch_execz .LBB130_34
; %bb.27:                               ;   in Loop: Header=BB130_26 Depth=3
	v_cmp_ne_u64_e32 vcc, s[20:21], v[24:25]
                                        ; implicit-def: $sgpr50_sgpr51
	s_and_saveexec_b64 s[52:53], vcc
	s_xor_b64 s[52:53], exec, s[52:53]
; %bb.28:                               ;   in Loop: Header=BB130_26 Depth=3
	v_add_u32_e32 v20, 1, v20
	v_and_b32_e32 v20, 63, v20
	s_mov_b64 s[50:51], -1
                                        ; implicit-def: $vgpr22
; %bb.29:                               ;   in Loop: Header=BB130_26 Depth=3
	s_andn2_saveexec_b64 s[52:53], s[52:53]
	s_cbranch_execz .LBB130_33
; %bb.30:                               ;   in Loop: Header=BB130_26 Depth=3
	v_pk_mov_b32 v[24:25], s[20:21], s[20:21] op_sel:[0,1]
	ds_cmpst_rtn_b64 v[24:25], v22, v[24:25], v[8:9]
	s_mov_b64 s[56:57], -1
	s_waitcnt lgkmcnt(0)
	v_cmp_eq_u64_e32 vcc, s[20:21], v[24:25]
	s_and_saveexec_b64 s[54:55], vcc
	s_cbranch_execz .LBB130_32
; %bb.31:                               ;   in Loop: Header=BB130_26 Depth=3
	v_mad_u64_u32 v[24:25], s[56:57], v20, 24, v[22:23]
	ds_add_f32 v24, v39 offset:512
	ds_add_f32 v24, v38 offset:516
	s_xor_b64 s[56:57], exec, -1
.LBB130_32:                             ;   in Loop: Header=BB130_26 Depth=3
	s_or_b64 exec, exec, s[54:55]
	s_andn2_b64 s[50:51], s[50:51], exec
	s_and_b64 s[54:55], s[56:57], exec
	s_or_b64 s[50:51], s[50:51], s[54:55]
.LBB130_33:                             ;   in Loop: Header=BB130_26 Depth=3
	s_or_b64 exec, exec, s[52:53]
	s_and_b64 s[50:51], s[50:51], exec
                                        ; implicit-def: $vgpr22
.LBB130_34:                             ;   in Loop: Header=BB130_26 Depth=3
	s_andn2_saveexec_b64 s[48:49], s[48:49]
	s_cbranch_execz .LBB130_25
; %bb.35:                               ;   in Loop: Header=BB130_26 Depth=3
	v_mad_u64_u32 v[24:25], s[52:53], v20, 24, v[22:23]
	ds_add_f32 v24, v39 offset:512
	ds_add_f32 v24, v38 offset:516
	s_andn2_b64 s[50:51], s[50:51], exec
	s_branch .LBB130_25
.LBB130_36:                             ;   in Loop: Header=BB130_24 Depth=2
	s_or_b64 exec, exec, s[46:47]
	s_waitcnt vmcnt(0)
	v_mul_f32_e64 v20, v15, -v36
	v_mul_f32_e32 v38, v37, v15
	v_fmac_f32_e32 v20, v37, v14
	v_fmac_f32_e32 v38, v36, v14
	;; [unrolled: 1-line block ×4, first 2 shown]
	v_fma_f32 v39, -v31, v13, v20
	v_fmac_f32_e32 v38, v30, v13
	s_mov_b64 s[46:47], 0
	v_pk_mov_b32 v[20:21], v[10:11], v[10:11] op_sel:[0,1]
	s_branch .LBB130_38
.LBB130_37:                             ;   in Loop: Header=BB130_38 Depth=3
	s_or_b64 exec, exec, s[48:49]
	s_xor_b64 s[48:49], s[50:51], -1
	s_and_b64 s[48:49], exec, s[48:49]
	s_or_b64 s[46:47], s[48:49], s[46:47]
	s_andn2_b64 exec, exec, s[46:47]
	s_cbranch_execz .LBB130_48
.LBB130_38:                             ;   Parent Loop BB130_21 Depth=1
                                        ;     Parent Loop BB130_24 Depth=2
                                        ; =>    This Inner Loop Header: Depth=3
	v_lshl_add_u32 v22, v20, 3, 0
	ds_read_b64 v[24:25], v22
                                        ; implicit-def: $sgpr50_sgpr51
	s_waitcnt lgkmcnt(0)
	v_cmp_ne_u64_e32 vcc, v[24:25], v[8:9]
	s_and_saveexec_b64 s[48:49], vcc
	s_xor_b64 s[48:49], exec, s[48:49]
	s_cbranch_execz .LBB130_46
; %bb.39:                               ;   in Loop: Header=BB130_38 Depth=3
	v_cmp_ne_u64_e32 vcc, s[20:21], v[24:25]
                                        ; implicit-def: $sgpr50_sgpr51
	s_and_saveexec_b64 s[52:53], vcc
	s_xor_b64 s[52:53], exec, s[52:53]
; %bb.40:                               ;   in Loop: Header=BB130_38 Depth=3
	v_add_u32_e32 v20, 1, v20
	v_and_b32_e32 v20, 63, v20
	s_mov_b64 s[50:51], -1
                                        ; implicit-def: $vgpr22
; %bb.41:                               ;   in Loop: Header=BB130_38 Depth=3
	s_andn2_saveexec_b64 s[52:53], s[52:53]
	s_cbranch_execz .LBB130_45
; %bb.42:                               ;   in Loop: Header=BB130_38 Depth=3
	v_pk_mov_b32 v[24:25], s[20:21], s[20:21] op_sel:[0,1]
	ds_cmpst_rtn_b64 v[24:25], v22, v[24:25], v[8:9]
	s_mov_b64 s[56:57], -1
	s_waitcnt lgkmcnt(0)
	v_cmp_eq_u64_e32 vcc, s[20:21], v[24:25]
	s_and_saveexec_b64 s[54:55], vcc
	s_cbranch_execz .LBB130_44
; %bb.43:                               ;   in Loop: Header=BB130_38 Depth=3
	v_mad_u64_u32 v[24:25], s[56:57], v20, 24, v[22:23]
	ds_add_f32 v24, v39 offset:520
	ds_add_f32 v24, v38 offset:524
	s_xor_b64 s[56:57], exec, -1
.LBB130_44:                             ;   in Loop: Header=BB130_38 Depth=3
	s_or_b64 exec, exec, s[54:55]
	s_andn2_b64 s[50:51], s[50:51], exec
	s_and_b64 s[54:55], s[56:57], exec
	s_or_b64 s[50:51], s[50:51], s[54:55]
.LBB130_45:                             ;   in Loop: Header=BB130_38 Depth=3
	s_or_b64 exec, exec, s[52:53]
	s_and_b64 s[50:51], s[50:51], exec
                                        ; implicit-def: $vgpr22
.LBB130_46:                             ;   in Loop: Header=BB130_38 Depth=3
	s_andn2_saveexec_b64 s[48:49], s[48:49]
	s_cbranch_execz .LBB130_37
; %bb.47:                               ;   in Loop: Header=BB130_38 Depth=3
	v_mad_u64_u32 v[24:25], s[52:53], v20, 24, v[22:23]
	ds_add_f32 v24, v39 offset:520
	ds_add_f32 v24, v38 offset:524
	s_andn2_b64 s[50:51], s[50:51], exec
	s_branch .LBB130_37
.LBB130_48:                             ;   in Loop: Header=BB130_24 Depth=2
	s_or_b64 exec, exec, s[46:47]
	v_mul_f32_e64 v20, v19, -v34
	v_mul_f32_e32 v19, v35, v19
	v_fmac_f32_e32 v20, v35, v18
	v_fmac_f32_e32 v19, v34, v18
	;; [unrolled: 1-line block ×4, first 2 shown]
	v_fma_f32 v22, -v33, v17, v20
	v_fmac_f32_e32 v19, v32, v17
	s_mov_b64 s[46:47], 0
	v_pk_mov_b32 v[16:17], v[10:11], v[10:11] op_sel:[0,1]
	s_branch .LBB130_50
.LBB130_49:                             ;   in Loop: Header=BB130_50 Depth=3
	s_or_b64 exec, exec, s[48:49]
	s_xor_b64 s[48:49], s[50:51], -1
	s_and_b64 s[48:49], exec, s[48:49]
	s_or_b64 s[46:47], s[48:49], s[46:47]
	s_andn2_b64 exec, exec, s[46:47]
	s_cbranch_execz .LBB130_60
.LBB130_50:                             ;   Parent Loop BB130_21 Depth=1
                                        ;     Parent Loop BB130_24 Depth=2
                                        ; =>    This Inner Loop Header: Depth=3
	v_lshl_add_u32 v18, v16, 3, 0
	ds_read_b64 v[20:21], v18
                                        ; implicit-def: $sgpr50_sgpr51
	s_waitcnt lgkmcnt(0)
	v_cmp_ne_u64_e32 vcc, v[20:21], v[8:9]
	s_and_saveexec_b64 s[48:49], vcc
	s_xor_b64 s[48:49], exec, s[48:49]
	s_cbranch_execz .LBB130_58
; %bb.51:                               ;   in Loop: Header=BB130_50 Depth=3
	v_cmp_ne_u64_e32 vcc, s[20:21], v[20:21]
                                        ; implicit-def: $sgpr50_sgpr51
	s_and_saveexec_b64 s[52:53], vcc
	s_xor_b64 s[52:53], exec, s[52:53]
; %bb.52:                               ;   in Loop: Header=BB130_50 Depth=3
	v_add_u32_e32 v16, 1, v16
	v_and_b32_e32 v16, 63, v16
	s_mov_b64 s[50:51], -1
                                        ; implicit-def: $vgpr18
; %bb.53:                               ;   in Loop: Header=BB130_50 Depth=3
	s_andn2_saveexec_b64 s[52:53], s[52:53]
	s_cbranch_execz .LBB130_57
; %bb.54:                               ;   in Loop: Header=BB130_50 Depth=3
	v_pk_mov_b32 v[20:21], s[20:21], s[20:21] op_sel:[0,1]
	ds_cmpst_rtn_b64 v[20:21], v18, v[20:21], v[8:9]
	s_mov_b64 s[56:57], -1
	s_waitcnt lgkmcnt(0)
	v_cmp_eq_u64_e32 vcc, s[20:21], v[20:21]
	s_and_saveexec_b64 s[54:55], vcc
	s_cbranch_execz .LBB130_56
; %bb.55:                               ;   in Loop: Header=BB130_50 Depth=3
	v_mad_u64_u32 v[20:21], s[56:57], v16, 24, v[18:19]
	ds_add_f32 v20, v22 offset:528
	ds_add_f32 v20, v19 offset:532
	s_xor_b64 s[56:57], exec, -1
.LBB130_56:                             ;   in Loop: Header=BB130_50 Depth=3
	s_or_b64 exec, exec, s[54:55]
	s_andn2_b64 s[50:51], s[50:51], exec
	s_and_b64 s[54:55], s[56:57], exec
	s_or_b64 s[50:51], s[50:51], s[54:55]
.LBB130_57:                             ;   in Loop: Header=BB130_50 Depth=3
	s_or_b64 exec, exec, s[52:53]
	s_and_b64 s[50:51], s[50:51], exec
                                        ; implicit-def: $vgpr18
.LBB130_58:                             ;   in Loop: Header=BB130_50 Depth=3
	s_andn2_saveexec_b64 s[48:49], s[48:49]
	s_cbranch_execz .LBB130_49
; %bb.59:                               ;   in Loop: Header=BB130_50 Depth=3
	v_mad_u64_u32 v[20:21], s[52:53], v16, 24, v[18:19]
	ds_add_f32 v20, v22 offset:528
	ds_add_f32 v20, v19 offset:532
	s_andn2_b64 s[50:51], s[50:51], exec
	s_branch .LBB130_49
.LBB130_60:                             ;   in Loop: Header=BB130_24 Depth=2
	s_or_b64 exec, exec, s[46:47]
	v_mul_f32_e64 v17, v15, -v34
	v_mul_f32_e32 v16, v35, v15
	v_fmac_f32_e32 v17, v35, v14
	v_fmac_f32_e32 v16, v34, v14
	;; [unrolled: 1-line block ×4, first 2 shown]
	v_fma_f32 v17, -v33, v13, v17
	v_fmac_f32_e32 v16, v32, v13
	s_mov_b64 s[46:47], 0
	s_branch .LBB130_62
.LBB130_61:                             ;   in Loop: Header=BB130_62 Depth=3
	s_or_b64 exec, exec, s[48:49]
	s_xor_b64 s[48:49], s[50:51], -1
	s_and_b64 s[48:49], exec, s[48:49]
	s_or_b64 s[46:47], s[48:49], s[46:47]
	s_andn2_b64 exec, exec, s[46:47]
	s_cbranch_execz .LBB130_23
.LBB130_62:                             ;   Parent Loop BB130_21 Depth=1
                                        ;     Parent Loop BB130_24 Depth=2
                                        ; =>    This Inner Loop Header: Depth=3
	v_lshl_add_u32 v12, v10, 3, 0
	ds_read_b64 v[14:15], v12
                                        ; implicit-def: $sgpr50_sgpr51
	s_waitcnt lgkmcnt(0)
	v_cmp_ne_u64_e32 vcc, v[14:15], v[8:9]
	s_and_saveexec_b64 s[48:49], vcc
	s_xor_b64 s[48:49], exec, s[48:49]
	s_cbranch_execz .LBB130_70
; %bb.63:                               ;   in Loop: Header=BB130_62 Depth=3
	v_cmp_ne_u64_e32 vcc, s[20:21], v[14:15]
                                        ; implicit-def: $sgpr50_sgpr51
	s_and_saveexec_b64 s[52:53], vcc
	s_xor_b64 s[52:53], exec, s[52:53]
; %bb.64:                               ;   in Loop: Header=BB130_62 Depth=3
	v_add_u32_e32 v10, 1, v10
	v_and_b32_e32 v10, 63, v10
	s_mov_b64 s[50:51], -1
                                        ; implicit-def: $vgpr12
; %bb.65:                               ;   in Loop: Header=BB130_62 Depth=3
	s_andn2_saveexec_b64 s[52:53], s[52:53]
	s_cbranch_execz .LBB130_69
; %bb.66:                               ;   in Loop: Header=BB130_62 Depth=3
	v_pk_mov_b32 v[14:15], s[20:21], s[20:21] op_sel:[0,1]
	ds_cmpst_rtn_b64 v[14:15], v12, v[14:15], v[8:9]
	s_mov_b64 s[56:57], -1
	s_waitcnt lgkmcnt(0)
	v_cmp_eq_u64_e32 vcc, s[20:21], v[14:15]
	s_and_saveexec_b64 s[54:55], vcc
	s_cbranch_execz .LBB130_68
; %bb.67:                               ;   in Loop: Header=BB130_62 Depth=3
	v_mad_u64_u32 v[12:13], s[56:57], v10, 24, v[12:13]
	ds_add_f32 v12, v17 offset:536
	ds_add_f32 v12, v16 offset:540
	s_xor_b64 s[56:57], exec, -1
.LBB130_68:                             ;   in Loop: Header=BB130_62 Depth=3
	s_or_b64 exec, exec, s[54:55]
	s_andn2_b64 s[50:51], s[50:51], exec
	s_and_b64 s[54:55], s[56:57], exec
	s_or_b64 s[50:51], s[50:51], s[54:55]
.LBB130_69:                             ;   in Loop: Header=BB130_62 Depth=3
	s_or_b64 exec, exec, s[52:53]
	s_and_b64 s[50:51], s[50:51], exec
                                        ; implicit-def: $vgpr12
.LBB130_70:                             ;   in Loop: Header=BB130_62 Depth=3
	s_andn2_saveexec_b64 s[48:49], s[48:49]
	s_cbranch_execz .LBB130_61
; %bb.71:                               ;   in Loop: Header=BB130_62 Depth=3
	v_mad_u64_u32 v[12:13], s[52:53], v10, 24, v[12:13]
	ds_add_f32 v12, v17 offset:536
	ds_add_f32 v12, v16 offset:540
	s_andn2_b64 s[50:51], s[50:51], exec
	s_branch .LBB130_61
.LBB130_72:
	s_or_b64 exec, exec, s[24:25]
.LBB130_73:
	s_andn2_b64 vcc, exec, s[44:45]
	s_waitcnt lgkmcnt(0)
	s_barrier
	s_cbranch_vccnz .LBB130_126
; %bb.74:
	s_lshl_b64 s[4:5], s[6:7], 3
	s_add_u32 s4, s22, s4
	s_addc_u32 s5, s23, s5
	s_load_dwordx4 s[16:19], s[4:5], 0x0
	v_subrev_co_u32_e32 v2, vcc, s39, v0
	s_mov_b32 s22, 0
	s_waitcnt lgkmcnt(0)
	s_sub_u32 s4, s18, s39
	s_subb_u32 s5, s19, 0
	v_subb_co_u32_e64 v3, s[18:19], 0, 0, vcc
	v_mov_b32_e32 v4, s17
	v_add_co_u32_e32 v2, vcc, s16, v2
	v_addc_co_u32_e32 v3, vcc, v4, v3, vcc
	v_cmp_gt_i64_e32 vcc, s[4:5], v[2:3]
	s_and_saveexec_b64 s[16:17], vcc
	s_cbranch_execz .LBB130_125
; %bb.75:
	s_cmp_eq_u32 s59, 0
	s_mov_b32 s36, s39
	s_cselect_b32 s37, 1, 2
	s_cselect_b32 s39, 2, 1
	s_mov_b64 s[18:19], 0
	v_mov_b32_e32 v7, s11
	v_mov_b32_e32 v20, s9
	v_mov_b32_e32 v21, s22
	s_branch .LBB130_77
.LBB130_76:                             ;   in Loop: Header=BB130_77 Depth=1
	s_or_b64 exec, exec, s[22:23]
	v_add_co_u32_e32 v2, vcc, 0x100, v2
	v_addc_co_u32_e32 v3, vcc, 0, v3, vcc
	v_cmp_le_i64_e32 vcc, s[4:5], v[2:3]
	s_or_b64 s[18:19], vcc, s[18:19]
	s_andn2_b64 exec, exec, s[18:19]
	s_cbranch_execz .LBB130_125
.LBB130_77:                             ; =>This Loop Header: Depth=1
                                        ;     Child Loop BB130_79 Depth 2
                                        ;     Child Loop BB130_91 Depth 2
	;; [unrolled: 1-line block ×4, first 2 shown]
	v_lshlrev_b64 v[8:9], 5, v[2:3]
	v_lshlrev_b64 v[4:5], 2, v[2:3]
	v_add_co_u32_e32 v14, vcc, s10, v8
	v_addc_co_u32_e32 v15, vcc, v7, v9, vcc
	v_or_b32_e32 v9, 0, v5
	v_or_b32_e32 v8, s37, v4
	v_lshlrev_b64 v[8:9], 3, v[8:9]
	v_add_co_u32_e32 v16, vcc, s10, v8
	v_addc_co_u32_e32 v17, vcc, v7, v9, vcc
	v_lshlrev_b64 v[8:9], 3, v[2:3]
	v_add_co_u32_e32 v8, vcc, s8, v8
	v_addc_co_u32_e32 v9, vcc, v20, v9, vcc
	v_or_b32_e32 v5, 0, v5
	global_load_dwordx2 v[24:25], v[8:9], off
	v_or_b32_e32 v4, s39, v4
	v_lshlrev_b64 v[4:5], 3, v[4:5]
	global_load_dwordx2 v[18:19], v[14:15], off
	v_add_co_u32_e32 v4, vcc, s10, v4
	v_addc_co_u32_e32 v5, vcc, v7, v5, vcc
	global_load_dwordx2 v[8:9], v[14:15], off offset:24
	global_load_dwordx2 v[12:13], v[16:17], off
	global_load_dwordx2 v[10:11], v[4:5], off
	s_mov_b64 s[22:23], 0
	s_waitcnt vmcnt(4)
	v_subrev_co_u32_e32 v4, vcc, s36, v24
	v_lshl_add_u32 v6, v4, 3, v4
	s_waitcnt vmcnt(3)
	v_mul_f32_e64 v17, v19, -s58
	v_mul_f32_e32 v22, s33, v19
	v_and_b32_e32 v6, 63, v6
	v_subb_co_u32_e32 v5, vcc, v25, v21, vcc
	v_fmac_f32_e32 v17, s33, v18
	v_fmac_f32_e32 v22, s58, v18
	v_pk_mov_b32 v[14:15], v[6:7], v[6:7] op_sel:[0,1]
	s_branch .LBB130_79
.LBB130_78:                             ;   in Loop: Header=BB130_79 Depth=2
	s_or_b64 exec, exec, s[24:25]
	s_xor_b64 s[24:25], s[26:27], -1
	s_and_b64 s[24:25], exec, s[24:25]
	s_or_b64 s[22:23], s[24:25], s[22:23]
	s_andn2_b64 exec, exec, s[22:23]
	s_cbranch_execz .LBB130_89
.LBB130_79:                             ;   Parent Loop BB130_77 Depth=1
                                        ; =>  This Inner Loop Header: Depth=2
	v_lshl_add_u32 v16, v14, 3, 0
	ds_read_b64 v[18:19], v16
                                        ; implicit-def: $sgpr26_sgpr27
	s_waitcnt lgkmcnt(0)
	v_cmp_ne_u64_e32 vcc, v[18:19], v[4:5]
	s_and_saveexec_b64 s[24:25], vcc
	s_xor_b64 s[24:25], exec, s[24:25]
	s_cbranch_execz .LBB130_87
; %bb.80:                               ;   in Loop: Header=BB130_79 Depth=2
	v_cmp_ne_u64_e32 vcc, s[20:21], v[18:19]
                                        ; implicit-def: $sgpr26_sgpr27
	s_and_saveexec_b64 s[28:29], vcc
	s_xor_b64 s[28:29], exec, s[28:29]
; %bb.81:                               ;   in Loop: Header=BB130_79 Depth=2
	v_add_u32_e32 v14, 1, v14
	v_and_b32_e32 v14, 63, v14
	s_mov_b64 s[26:27], -1
                                        ; implicit-def: $vgpr16
; %bb.82:                               ;   in Loop: Header=BB130_79 Depth=2
	s_andn2_saveexec_b64 s[28:29], s[28:29]
	s_cbranch_execz .LBB130_86
; %bb.83:                               ;   in Loop: Header=BB130_79 Depth=2
	v_pk_mov_b32 v[18:19], s[20:21], s[20:21] op_sel:[0,1]
	ds_cmpst_rtn_b64 v[18:19], v16, v[18:19], v[4:5]
	s_mov_b64 s[34:35], -1
	s_waitcnt lgkmcnt(0)
	v_cmp_eq_u64_e32 vcc, s[20:21], v[18:19]
	s_and_saveexec_b64 s[30:31], vcc
	s_cbranch_execz .LBB130_85
; %bb.84:                               ;   in Loop: Header=BB130_79 Depth=2
	v_mad_u64_u32 v[18:19], s[34:35], v14, 24, v[16:17]
	ds_add_f32 v18, v17 offset:512
	ds_add_f32 v18, v22 offset:516
	s_xor_b64 s[34:35], exec, -1
.LBB130_85:                             ;   in Loop: Header=BB130_79 Depth=2
	s_or_b64 exec, exec, s[30:31]
	s_andn2_b64 s[26:27], s[26:27], exec
	s_and_b64 s[30:31], s[34:35], exec
	s_or_b64 s[26:27], s[26:27], s[30:31]
.LBB130_86:                             ;   in Loop: Header=BB130_79 Depth=2
	s_or_b64 exec, exec, s[28:29]
	s_and_b64 s[26:27], s[26:27], exec
                                        ; implicit-def: $vgpr16
.LBB130_87:                             ;   in Loop: Header=BB130_79 Depth=2
	s_andn2_saveexec_b64 s[24:25], s[24:25]
	s_cbranch_execz .LBB130_78
; %bb.88:                               ;   in Loop: Header=BB130_79 Depth=2
	v_mad_u64_u32 v[18:19], s[28:29], v14, 24, v[16:17]
	ds_add_f32 v18, v17 offset:512
	ds_add_f32 v18, v22 offset:516
	s_andn2_b64 s[26:27], s[26:27], exec
	s_branch .LBB130_78
.LBB130_89:                             ;   in Loop: Header=BB130_77 Depth=1
	s_or_b64 exec, exec, s[22:23]
	s_waitcnt vmcnt(1)
	v_mul_f32_e64 v15, v13, -s58
	v_mul_f32_e32 v18, s33, v13
	v_fmac_f32_e32 v15, s33, v12
	v_fmac_f32_e32 v18, s58, v12
	s_mov_b64 s[22:23], 0
	v_pk_mov_b32 v[12:13], v[6:7], v[6:7] op_sel:[0,1]
	s_branch .LBB130_91
.LBB130_90:                             ;   in Loop: Header=BB130_91 Depth=2
	s_or_b64 exec, exec, s[24:25]
	s_xor_b64 s[24:25], s[26:27], -1
	s_and_b64 s[24:25], exec, s[24:25]
	s_or_b64 s[22:23], s[24:25], s[22:23]
	s_andn2_b64 exec, exec, s[22:23]
	s_cbranch_execz .LBB130_101
.LBB130_91:                             ;   Parent Loop BB130_77 Depth=1
                                        ; =>  This Inner Loop Header: Depth=2
	v_lshl_add_u32 v14, v12, 3, 0
	ds_read_b64 v[16:17], v14
                                        ; implicit-def: $sgpr26_sgpr27
	s_waitcnt lgkmcnt(0)
	v_cmp_ne_u64_e32 vcc, v[16:17], v[4:5]
	s_and_saveexec_b64 s[24:25], vcc
	s_xor_b64 s[24:25], exec, s[24:25]
	s_cbranch_execz .LBB130_99
; %bb.92:                               ;   in Loop: Header=BB130_91 Depth=2
	v_cmp_ne_u64_e32 vcc, s[20:21], v[16:17]
                                        ; implicit-def: $sgpr26_sgpr27
	s_and_saveexec_b64 s[28:29], vcc
	s_xor_b64 s[28:29], exec, s[28:29]
; %bb.93:                               ;   in Loop: Header=BB130_91 Depth=2
	v_add_u32_e32 v12, 1, v12
	v_and_b32_e32 v12, 63, v12
	s_mov_b64 s[26:27], -1
                                        ; implicit-def: $vgpr14
; %bb.94:                               ;   in Loop: Header=BB130_91 Depth=2
	s_andn2_saveexec_b64 s[28:29], s[28:29]
	s_cbranch_execz .LBB130_98
; %bb.95:                               ;   in Loop: Header=BB130_91 Depth=2
	v_pk_mov_b32 v[16:17], s[20:21], s[20:21] op_sel:[0,1]
	ds_cmpst_rtn_b64 v[16:17], v14, v[16:17], v[4:5]
	s_mov_b64 s[34:35], -1
	s_waitcnt lgkmcnt(0)
	v_cmp_eq_u64_e32 vcc, s[20:21], v[16:17]
	s_and_saveexec_b64 s[30:31], vcc
	s_cbranch_execz .LBB130_97
; %bb.96:                               ;   in Loop: Header=BB130_91 Depth=2
	v_mad_u64_u32 v[16:17], s[34:35], v12, 24, v[14:15]
	ds_add_f32 v16, v15 offset:520
	ds_add_f32 v16, v18 offset:524
	s_xor_b64 s[34:35], exec, -1
.LBB130_97:                             ;   in Loop: Header=BB130_91 Depth=2
	s_or_b64 exec, exec, s[30:31]
	s_andn2_b64 s[26:27], s[26:27], exec
	s_and_b64 s[30:31], s[34:35], exec
	s_or_b64 s[26:27], s[26:27], s[30:31]
.LBB130_98:                             ;   in Loop: Header=BB130_91 Depth=2
	s_or_b64 exec, exec, s[28:29]
	s_and_b64 s[26:27], s[26:27], exec
                                        ; implicit-def: $vgpr14
.LBB130_99:                             ;   in Loop: Header=BB130_91 Depth=2
	s_andn2_saveexec_b64 s[24:25], s[24:25]
	s_cbranch_execz .LBB130_90
; %bb.100:                              ;   in Loop: Header=BB130_91 Depth=2
	v_mad_u64_u32 v[16:17], s[28:29], v12, 24, v[14:15]
	ds_add_f32 v16, v15 offset:520
	ds_add_f32 v16, v18 offset:524
	s_andn2_b64 s[26:27], s[26:27], exec
	s_branch .LBB130_90
.LBB130_101:                            ;   in Loop: Header=BB130_77 Depth=1
	s_or_b64 exec, exec, s[22:23]
	s_waitcnt vmcnt(0)
	v_mul_f32_e64 v13, v11, -s58
	v_mul_f32_e32 v16, s33, v11
	v_fmac_f32_e32 v13, s33, v10
	v_fmac_f32_e32 v16, s58, v10
	s_mov_b64 s[22:23], 0
	v_pk_mov_b32 v[10:11], v[6:7], v[6:7] op_sel:[0,1]
	s_branch .LBB130_103
.LBB130_102:                            ;   in Loop: Header=BB130_103 Depth=2
	s_or_b64 exec, exec, s[24:25]
	s_xor_b64 s[24:25], s[26:27], -1
	s_and_b64 s[24:25], exec, s[24:25]
	s_or_b64 s[22:23], s[24:25], s[22:23]
	s_andn2_b64 exec, exec, s[22:23]
	s_cbranch_execz .LBB130_113
.LBB130_103:                            ;   Parent Loop BB130_77 Depth=1
                                        ; =>  This Inner Loop Header: Depth=2
	v_lshl_add_u32 v12, v10, 3, 0
	ds_read_b64 v[14:15], v12
                                        ; implicit-def: $sgpr26_sgpr27
	s_waitcnt lgkmcnt(0)
	v_cmp_ne_u64_e32 vcc, v[14:15], v[4:5]
	s_and_saveexec_b64 s[24:25], vcc
	s_xor_b64 s[24:25], exec, s[24:25]
	s_cbranch_execz .LBB130_111
; %bb.104:                              ;   in Loop: Header=BB130_103 Depth=2
	v_cmp_ne_u64_e32 vcc, s[20:21], v[14:15]
                                        ; implicit-def: $sgpr26_sgpr27
	s_and_saveexec_b64 s[28:29], vcc
	s_xor_b64 s[28:29], exec, s[28:29]
; %bb.105:                              ;   in Loop: Header=BB130_103 Depth=2
	v_add_u32_e32 v10, 1, v10
	v_and_b32_e32 v10, 63, v10
	s_mov_b64 s[26:27], -1
                                        ; implicit-def: $vgpr12
; %bb.106:                              ;   in Loop: Header=BB130_103 Depth=2
	s_andn2_saveexec_b64 s[28:29], s[28:29]
	s_cbranch_execz .LBB130_110
; %bb.107:                              ;   in Loop: Header=BB130_103 Depth=2
	v_pk_mov_b32 v[14:15], s[20:21], s[20:21] op_sel:[0,1]
	ds_cmpst_rtn_b64 v[14:15], v12, v[14:15], v[4:5]
	s_mov_b64 s[34:35], -1
	s_waitcnt lgkmcnt(0)
	v_cmp_eq_u64_e32 vcc, s[20:21], v[14:15]
	s_and_saveexec_b64 s[30:31], vcc
	s_cbranch_execz .LBB130_109
; %bb.108:                              ;   in Loop: Header=BB130_103 Depth=2
	v_mad_u64_u32 v[14:15], s[34:35], v10, 24, v[12:13]
	ds_add_f32 v14, v13 offset:528
	ds_add_f32 v14, v16 offset:532
	s_xor_b64 s[34:35], exec, -1
.LBB130_109:                            ;   in Loop: Header=BB130_103 Depth=2
	s_or_b64 exec, exec, s[30:31]
	s_andn2_b64 s[26:27], s[26:27], exec
	s_and_b64 s[30:31], s[34:35], exec
	s_or_b64 s[26:27], s[26:27], s[30:31]
.LBB130_110:                            ;   in Loop: Header=BB130_103 Depth=2
	s_or_b64 exec, exec, s[28:29]
	s_and_b64 s[26:27], s[26:27], exec
                                        ; implicit-def: $vgpr12
.LBB130_111:                            ;   in Loop: Header=BB130_103 Depth=2
	s_andn2_saveexec_b64 s[24:25], s[24:25]
	s_cbranch_execz .LBB130_102
; %bb.112:                              ;   in Loop: Header=BB130_103 Depth=2
	v_mad_u64_u32 v[14:15], s[28:29], v10, 24, v[12:13]
	ds_add_f32 v14, v13 offset:528
	ds_add_f32 v14, v16 offset:532
	s_andn2_b64 s[26:27], s[26:27], exec
	s_branch .LBB130_102
.LBB130_113:                            ;   in Loop: Header=BB130_77 Depth=1
	s_or_b64 exec, exec, s[22:23]
	v_mul_f32_e64 v12, v9, -s58
	v_mul_f32_e32 v9, s33, v9
	v_fmac_f32_e32 v12, s33, v8
	v_fmac_f32_e32 v9, s58, v8
	s_mov_b64 s[22:23], 0
	s_branch .LBB130_115
.LBB130_114:                            ;   in Loop: Header=BB130_115 Depth=2
	s_or_b64 exec, exec, s[24:25]
	s_xor_b64 s[24:25], s[26:27], -1
	s_and_b64 s[24:25], exec, s[24:25]
	s_or_b64 s[22:23], s[24:25], s[22:23]
	s_andn2_b64 exec, exec, s[22:23]
	s_cbranch_execz .LBB130_76
.LBB130_115:                            ;   Parent Loop BB130_77 Depth=1
                                        ; =>  This Inner Loop Header: Depth=2
	v_lshl_add_u32 v8, v6, 3, 0
	ds_read_b64 v[10:11], v8
                                        ; implicit-def: $sgpr26_sgpr27
	s_waitcnt lgkmcnt(0)
	v_cmp_ne_u64_e32 vcc, v[10:11], v[4:5]
	s_and_saveexec_b64 s[24:25], vcc
	s_xor_b64 s[24:25], exec, s[24:25]
	s_cbranch_execz .LBB130_123
; %bb.116:                              ;   in Loop: Header=BB130_115 Depth=2
	v_cmp_ne_u64_e32 vcc, s[20:21], v[10:11]
                                        ; implicit-def: $sgpr26_sgpr27
	s_and_saveexec_b64 s[28:29], vcc
	s_xor_b64 s[28:29], exec, s[28:29]
; %bb.117:                              ;   in Loop: Header=BB130_115 Depth=2
	v_add_u32_e32 v6, 1, v6
	v_and_b32_e32 v6, 63, v6
	s_mov_b64 s[26:27], -1
                                        ; implicit-def: $vgpr8
; %bb.118:                              ;   in Loop: Header=BB130_115 Depth=2
	s_andn2_saveexec_b64 s[28:29], s[28:29]
	s_cbranch_execz .LBB130_122
; %bb.119:                              ;   in Loop: Header=BB130_115 Depth=2
	v_pk_mov_b32 v[10:11], s[20:21], s[20:21] op_sel:[0,1]
	ds_cmpst_rtn_b64 v[10:11], v8, v[10:11], v[4:5]
	s_mov_b64 s[34:35], -1
	s_waitcnt lgkmcnt(0)
	v_cmp_eq_u64_e32 vcc, s[20:21], v[10:11]
	s_and_saveexec_b64 s[30:31], vcc
	s_cbranch_execz .LBB130_121
; %bb.120:                              ;   in Loop: Header=BB130_115 Depth=2
	v_mad_u64_u32 v[10:11], s[34:35], v6, 24, v[8:9]
	ds_add_f32 v10, v12 offset:536
	ds_add_f32 v10, v9 offset:540
	s_xor_b64 s[34:35], exec, -1
.LBB130_121:                            ;   in Loop: Header=BB130_115 Depth=2
	s_or_b64 exec, exec, s[30:31]
	s_andn2_b64 s[26:27], s[26:27], exec
	s_and_b64 s[30:31], s[34:35], exec
	s_or_b64 s[26:27], s[26:27], s[30:31]
.LBB130_122:                            ;   in Loop: Header=BB130_115 Depth=2
	s_or_b64 exec, exec, s[28:29]
	s_and_b64 s[26:27], s[26:27], exec
                                        ; implicit-def: $vgpr8
.LBB130_123:                            ;   in Loop: Header=BB130_115 Depth=2
	s_andn2_saveexec_b64 s[24:25], s[24:25]
	s_cbranch_execz .LBB130_114
; %bb.124:                              ;   in Loop: Header=BB130_115 Depth=2
	v_mad_u64_u32 v[10:11], s[28:29], v6, 24, v[8:9]
	ds_add_f32 v10, v12 offset:536
	ds_add_f32 v10, v9 offset:540
	s_andn2_b64 s[26:27], s[26:27], exec
	s_branch .LBB130_114
.LBB130_125:
	s_or_b64 exec, exec, s[16:17]
.LBB130_126:
	s_waitcnt lgkmcnt(0)
	s_barrier
	s_and_saveexec_b64 s[4:5], s[0:1]
	s_cbranch_execz .LBB130_129
; %bb.127:
	ds_read_b64 v[2:3], v1
	s_waitcnt lgkmcnt(0)
	v_cmp_gt_i64_e32 vcc, s[20:21], v[2:3]
	s_and_b64 exec, exec, vcc
	s_cbranch_execz .LBB130_129
; %bb.128:
	s_lshl_b64 s[0:1], s[6:7], 3
	s_add_u32 s0, s12, s0
	s_addc_u32 s1, s13, s1
	s_load_dwordx2 s[0:1], s[0:1], 0x0
	v_mov_b32_e32 v1, 0
	ds_read2_b64 v[4:7], v1 offset1:1
	ds_read2_b64 v[8:11], v1 offset0:2 offset1:3
	s_waitcnt lgkmcnt(0)
	s_sub_u32 s4, s0, s38
	v_cmp_gt_i64_e32 vcc, v[2:3], v[4:5]
	s_subb_u32 s1, s1, 0
	v_cndmask_b32_e64 v4, 0, 1, vcc
	v_mov_b32_e32 v5, s1
	v_add_co_u32_e32 v4, vcc, s4, v4
	v_addc_co_u32_e32 v5, vcc, 0, v5, vcc
	v_cmp_gt_i64_e32 vcc, v[2:3], v[6:7]
	v_cndmask_b32_e64 v6, 0, 1, vcc
	v_add_co_u32_e32 v4, vcc, v4, v6
	v_addc_co_u32_e32 v5, vcc, 0, v5, vcc
	v_cmp_gt_i64_e32 vcc, v[2:3], v[8:9]
	v_cndmask_b32_e64 v6, 0, 1, vcc
	v_add_co_u32_e32 v8, vcc, v4, v6
	v_addc_co_u32_e32 v9, vcc, 0, v5, vcc
	ds_read2_b64 v[4:7], v1 offset0:4 offset1:5
	v_cmp_gt_i64_e32 vcc, v[2:3], v[10:11]
	v_cndmask_b32_e64 v10, 0, 1, vcc
	v_add_co_u32_e32 v12, vcc, v8, v10
	v_addc_co_u32_e32 v13, vcc, 0, v9, vcc
	ds_read2_b64 v[8:11], v1 offset0:6 offset1:7
	s_waitcnt lgkmcnt(1)
	v_cmp_gt_i64_e32 vcc, v[2:3], v[4:5]
	v_cndmask_b32_e64 v4, 0, 1, vcc
	v_add_co_u32_e32 v4, vcc, v12, v4
	v_addc_co_u32_e32 v5, vcc, 0, v13, vcc
	v_cmp_gt_i64_e32 vcc, v[2:3], v[6:7]
	v_cndmask_b32_e64 v6, 0, 1, vcc
	v_add_co_u32_e32 v4, vcc, v4, v6
	v_addc_co_u32_e32 v5, vcc, 0, v5, vcc
	s_waitcnt lgkmcnt(0)
	v_cmp_gt_i64_e32 vcc, v[2:3], v[8:9]
	v_cndmask_b32_e64 v6, 0, 1, vcc
	v_add_co_u32_e32 v8, vcc, v4, v6
	v_addc_co_u32_e32 v9, vcc, 0, v5, vcc
	ds_read2_b64 v[4:7], v1 offset0:8 offset1:9
	v_cmp_gt_i64_e32 vcc, v[2:3], v[10:11]
	v_cndmask_b32_e64 v10, 0, 1, vcc
	v_add_co_u32_e32 v12, vcc, v8, v10
	v_addc_co_u32_e32 v13, vcc, 0, v9, vcc
	ds_read2_b64 v[8:11], v1 offset0:10 offset1:11
	s_waitcnt lgkmcnt(1)
	v_cmp_gt_i64_e32 vcc, v[2:3], v[4:5]
	v_cndmask_b32_e64 v4, 0, 1, vcc
	v_add_co_u32_e32 v4, vcc, v12, v4
	v_addc_co_u32_e32 v5, vcc, 0, v13, vcc
	v_cmp_gt_i64_e32 vcc, v[2:3], v[6:7]
	v_cndmask_b32_e64 v6, 0, 1, vcc
	v_add_co_u32_e32 v4, vcc, v4, v6
	v_addc_co_u32_e32 v5, vcc, 0, v5, vcc
	s_waitcnt lgkmcnt(0)
	;; [unrolled: 20-line block ×15, first 2 shown]
	v_cmp_gt_i64_e32 vcc, v[2:3], v[8:9]
	v_cndmask_b32_e64 v5, 0, 1, vcc
	v_add_co_u32_e32 v1, vcc, v1, v5
	v_addc_co_u32_e32 v5, vcc, 0, v4, vcc
	v_cmp_gt_i64_e32 vcc, v[2:3], v[10:11]
	v_cndmask_b32_e64 v4, 0, 1, vcc
	v_add_co_u32_e32 v4, vcc, v1, v4
	v_addc_co_u32_e32 v5, vcc, 0, v5, vcc
	v_add_co_u32_e32 v2, vcc, s38, v2
	v_addc_co_u32_e32 v3, vcc, 0, v3, vcc
	v_lshlrev_b64 v[6:7], 3, v[4:5]
	v_mov_b32_e32 v1, s15
	v_add_co_u32_e32 v6, vcc, s14, v6
	s_add_i32 s0, 0, 0x200
	v_addc_co_u32_e32 v7, vcc, v1, v7, vcc
	s_cmp_eq_u32 s59, 0
	global_store_dwordx2 v[6:7], v[2:3], off
	v_lshlrev_b32_e32 v3, 5, v0
	v_lshlrev_b32_e32 v2, 2, v0
	v_add_u32_e32 v6, s0, v3
	s_cselect_b32 s0, 1, 2
	s_cselect_b32 s1, 2, 1
	v_add_u32_e32 v0, 0, v3
	v_or_b32_e32 v3, s0, v2
	v_or_b32_e32 v2, s1, v2
	v_lshl_add_u32 v3, v3, 3, 0
	v_lshl_add_u32 v2, v2, 3, 0
	v_lshlrev_b64 v[8:9], 5, v[4:5]
	ds_read2_b32 v[0:1], v0 offset0:128 offset1:129
	ds_read2_b32 v[4:5], v2 offset0:128 offset1:129
	;; [unrolled: 1-line block ×4, first 2 shown]
	v_mov_b32_e32 v10, s3
	v_add_co_u32_e32 v8, vcc, s2, v8
	v_addc_co_u32_e32 v9, vcc, v10, v9, vcc
	s_waitcnt lgkmcnt(1)
	global_store_dwordx4 v[8:9], v[0:3], off
	s_waitcnt lgkmcnt(0)
	global_store_dwordx4 v[8:9], v[4:7], off offset:16
.LBB130_129:
	s_endpgm
	.section	.rodata,"a",@progbits
	.p2align	6, 0x0
	.amdhsa_kernel _ZN9rocsparseL30bsrgemm_fill_block_per_row_2x2ILj256ELj16ELj64ELj137Ell21rocsparse_complex_numIfEEEv20rocsparse_direction_T4_S4_PKS4_S6_NS_24const_host_device_scalarIT5_EEPKT3_S6_PKS8_SC_S6_SE_S9_SC_S6_SE_SC_PS4_PS8_21rocsparse_index_base_SH_SH_SH_bbb
		.amdhsa_group_segment_fixed_size 0
		.amdhsa_private_segment_fixed_size 0
		.amdhsa_kernarg_size 172
		.amdhsa_user_sgpr_count 6
		.amdhsa_user_sgpr_private_segment_buffer 1
		.amdhsa_user_sgpr_dispatch_ptr 0
		.amdhsa_user_sgpr_queue_ptr 0
		.amdhsa_user_sgpr_kernarg_segment_ptr 1
		.amdhsa_user_sgpr_dispatch_id 0
		.amdhsa_user_sgpr_flat_scratch_init 0
		.amdhsa_user_sgpr_kernarg_preload_length 0
		.amdhsa_user_sgpr_kernarg_preload_offset 0
		.amdhsa_user_sgpr_private_segment_size 0
		.amdhsa_uses_dynamic_stack 0
		.amdhsa_system_sgpr_private_segment_wavefront_offset 0
		.amdhsa_system_sgpr_workgroup_id_x 1
		.amdhsa_system_sgpr_workgroup_id_y 0
		.amdhsa_system_sgpr_workgroup_id_z 0
		.amdhsa_system_sgpr_workgroup_info 0
		.amdhsa_system_vgpr_workitem_id 0
		.amdhsa_next_free_vgpr 40
		.amdhsa_next_free_sgpr 65
		.amdhsa_accum_offset 40
		.amdhsa_reserve_vcc 1
		.amdhsa_reserve_flat_scratch 0
		.amdhsa_float_round_mode_32 0
		.amdhsa_float_round_mode_16_64 0
		.amdhsa_float_denorm_mode_32 3
		.amdhsa_float_denorm_mode_16_64 3
		.amdhsa_dx10_clamp 1
		.amdhsa_ieee_mode 1
		.amdhsa_fp16_overflow 0
		.amdhsa_tg_split 0
		.amdhsa_exception_fp_ieee_invalid_op 0
		.amdhsa_exception_fp_denorm_src 0
		.amdhsa_exception_fp_ieee_div_zero 0
		.amdhsa_exception_fp_ieee_overflow 0
		.amdhsa_exception_fp_ieee_underflow 0
		.amdhsa_exception_fp_ieee_inexact 0
		.amdhsa_exception_int_div_zero 0
	.end_amdhsa_kernel
	.section	.text._ZN9rocsparseL30bsrgemm_fill_block_per_row_2x2ILj256ELj16ELj64ELj137Ell21rocsparse_complex_numIfEEEv20rocsparse_direction_T4_S4_PKS4_S6_NS_24const_host_device_scalarIT5_EEPKT3_S6_PKS8_SC_S6_SE_S9_SC_S6_SE_SC_PS4_PS8_21rocsparse_index_base_SH_SH_SH_bbb,"axG",@progbits,_ZN9rocsparseL30bsrgemm_fill_block_per_row_2x2ILj256ELj16ELj64ELj137Ell21rocsparse_complex_numIfEEEv20rocsparse_direction_T4_S4_PKS4_S6_NS_24const_host_device_scalarIT5_EEPKT3_S6_PKS8_SC_S6_SE_S9_SC_S6_SE_SC_PS4_PS8_21rocsparse_index_base_SH_SH_SH_bbb,comdat
.Lfunc_end130:
	.size	_ZN9rocsparseL30bsrgemm_fill_block_per_row_2x2ILj256ELj16ELj64ELj137Ell21rocsparse_complex_numIfEEEv20rocsparse_direction_T4_S4_PKS4_S6_NS_24const_host_device_scalarIT5_EEPKT3_S6_PKS8_SC_S6_SE_S9_SC_S6_SE_SC_PS4_PS8_21rocsparse_index_base_SH_SH_SH_bbb, .Lfunc_end130-_ZN9rocsparseL30bsrgemm_fill_block_per_row_2x2ILj256ELj16ELj64ELj137Ell21rocsparse_complex_numIfEEEv20rocsparse_direction_T4_S4_PKS4_S6_NS_24const_host_device_scalarIT5_EEPKT3_S6_PKS8_SC_S6_SE_S9_SC_S6_SE_SC_PS4_PS8_21rocsparse_index_base_SH_SH_SH_bbb
                                        ; -- End function
	.section	.AMDGPU.csdata,"",@progbits
; Kernel info:
; codeLenInByte = 5472
; NumSgprs: 69
; NumVgprs: 40
; NumAgprs: 0
; TotalNumVgprs: 40
; ScratchSize: 0
; MemoryBound: 0
; FloatMode: 240
; IeeeMode: 1
; LDSByteSize: 0 bytes/workgroup (compile time only)
; SGPRBlocks: 8
; VGPRBlocks: 4
; NumSGPRsForWavesPerEU: 69
; NumVGPRsForWavesPerEU: 40
; AccumOffset: 40
; Occupancy: 8
; WaveLimiterHint : 1
; COMPUTE_PGM_RSRC2:SCRATCH_EN: 0
; COMPUTE_PGM_RSRC2:USER_SGPR: 6
; COMPUTE_PGM_RSRC2:TRAP_HANDLER: 0
; COMPUTE_PGM_RSRC2:TGID_X_EN: 1
; COMPUTE_PGM_RSRC2:TGID_Y_EN: 0
; COMPUTE_PGM_RSRC2:TGID_Z_EN: 0
; COMPUTE_PGM_RSRC2:TIDIG_COMP_CNT: 0
; COMPUTE_PGM_RSRC3_GFX90A:ACCUM_OFFSET: 9
; COMPUTE_PGM_RSRC3_GFX90A:TG_SPLIT: 0
	.section	.text._ZN9rocsparseL30bsrgemm_fill_block_per_row_2x2ILj256ELj16ELj128ELj137Ell21rocsparse_complex_numIfEEEv20rocsparse_direction_T4_S4_PKS4_S6_NS_24const_host_device_scalarIT5_EEPKT3_S6_PKS8_SC_S6_SE_S9_SC_S6_SE_SC_PS4_PS8_21rocsparse_index_base_SH_SH_SH_bbb,"axG",@progbits,_ZN9rocsparseL30bsrgemm_fill_block_per_row_2x2ILj256ELj16ELj128ELj137Ell21rocsparse_complex_numIfEEEv20rocsparse_direction_T4_S4_PKS4_S6_NS_24const_host_device_scalarIT5_EEPKT3_S6_PKS8_SC_S6_SE_S9_SC_S6_SE_SC_PS4_PS8_21rocsparse_index_base_SH_SH_SH_bbb,comdat
	.globl	_ZN9rocsparseL30bsrgemm_fill_block_per_row_2x2ILj256ELj16ELj128ELj137Ell21rocsparse_complex_numIfEEEv20rocsparse_direction_T4_S4_PKS4_S6_NS_24const_host_device_scalarIT5_EEPKT3_S6_PKS8_SC_S6_SE_S9_SC_S6_SE_SC_PS4_PS8_21rocsparse_index_base_SH_SH_SH_bbb ; -- Begin function _ZN9rocsparseL30bsrgemm_fill_block_per_row_2x2ILj256ELj16ELj128ELj137Ell21rocsparse_complex_numIfEEEv20rocsparse_direction_T4_S4_PKS4_S6_NS_24const_host_device_scalarIT5_EEPKT3_S6_PKS8_SC_S6_SE_S9_SC_S6_SE_SC_PS4_PS8_21rocsparse_index_base_SH_SH_SH_bbb
	.p2align	8
	.type	_ZN9rocsparseL30bsrgemm_fill_block_per_row_2x2ILj256ELj16ELj128ELj137Ell21rocsparse_complex_numIfEEEv20rocsparse_direction_T4_S4_PKS4_S6_NS_24const_host_device_scalarIT5_EEPKT3_S6_PKS8_SC_S6_SE_S9_SC_S6_SE_SC_PS4_PS8_21rocsparse_index_base_SH_SH_SH_bbb,@function
_ZN9rocsparseL30bsrgemm_fill_block_per_row_2x2ILj256ELj16ELj128ELj137Ell21rocsparse_complex_numIfEEEv20rocsparse_direction_T4_S4_PKS4_S6_NS_24const_host_device_scalarIT5_EEPKT3_S6_PKS8_SC_S6_SE_S9_SC_S6_SE_SC_PS4_PS8_21rocsparse_index_base_SH_SH_SH_bbb: ; @_ZN9rocsparseL30bsrgemm_fill_block_per_row_2x2ILj256ELj16ELj128ELj137Ell21rocsparse_complex_numIfEEEv20rocsparse_direction_T4_S4_PKS4_S6_NS_24const_host_device_scalarIT5_EEPKT3_S6_PKS8_SC_S6_SE_S9_SC_S6_SE_SC_PS4_PS8_21rocsparse_index_base_SH_SH_SH_bbb
; %bb.0:
	s_load_dwordx8 s[8:15], s[4:5], 0x70
	s_load_dwordx8 s[16:23], s[4:5], 0x50
	s_load_dword s7, s[4:5], 0xa8
	s_load_dwordx4 s[40:43], s[4:5], 0x18
	s_load_dwordx8 s[24:31], s[4:5], 0x30
	s_load_dwordx2 s[2:3], s[4:5], 0x90
	s_load_dwordx4 s[36:39], s[4:5], 0x98
	s_waitcnt lgkmcnt(0)
	s_bitcmp1_b32 s7, 0
	s_cselect_b64 s[46:47], -1, 0
	s_bitcmp1_b32 s7, 16
	s_cselect_b64 s[0:1], -1, 0
	s_xor_b64 s[0:1], s[0:1], -1
	v_cndmask_b32_e64 v1, 0, 1, s[0:1]
	s_mov_b32 s35, 0
	s_bitcmp0_b32 s7, 0
	v_cmp_ne_u32_e64 s[0:1], 1, v1
	s_mov_b32 s60, 0
	s_cbranch_scc1 .LBB131_5
; %bb.1:
	s_load_dwordx2 s[34:35], s[4:5], 0x28
	s_and_b64 vcc, exec, s[0:1]
	s_waitcnt lgkmcnt(0)
	s_mov_b32 s60, s34
	s_cbranch_vccnz .LBB131_3
; %bb.2:
	s_load_dword s60, s[34:35], 0x0
.LBB131_3:
	s_and_b64 vcc, exec, s[0:1]
	s_cbranch_vccnz .LBB131_5
; %bb.4:
	s_load_dword s35, s[34:35], 0x4
.LBB131_5:
	s_bitcmp1_b32 s7, 8
	s_cselect_b64 s[44:45], -1, 0
	s_bfe_u32 s7, s7, 0x10008
	s_mov_b32 s59, 0
	s_cmp_eq_u32 s7, 0
	s_mov_b32 s58, 0
	s_cbranch_scc1 .LBB131_11
; %bb.6:
	s_and_b64 vcc, exec, s[0:1]
	s_mov_b32 s58, s20
	s_cbranch_vccnz .LBB131_8
; %bb.7:
	s_load_dword s58, s[20:21], 0x0
.LBB131_8:
	s_and_b64 vcc, exec, s[0:1]
	s_cbranch_vccnz .LBB131_10
; %bb.9:
	s_load_dword s21, s[20:21], 0x4
.LBB131_10:
	s_waitcnt lgkmcnt(0)
	s_mov_b32 s59, s21
.LBB131_11:
	s_load_dwordx2 s[20:21], s[4:5], 0x10
	s_movk_i32 s0, 0x80
	v_cmp_gt_u32_e64 s[0:1], s0, v0
	v_lshl_add_u32 v1, v0, 3, 0
	s_and_saveexec_b64 s[48:49], s[0:1]
	s_cbranch_execz .LBB131_13
; %bb.12:
	s_waitcnt lgkmcnt(0)
	v_pk_mov_b32 v[2:3], s[20:21], s[20:21] op_sel:[0,1]
	ds_write_b64 v1, v[2:3]
.LBB131_13:
	s_or_b64 exec, exec, s[48:49]
	s_movk_i32 s7, 0x200
	v_cmp_gt_u32_e32 vcc, s7, v0
	s_and_saveexec_b64 s[48:49], vcc
	s_cbranch_execz .LBB131_16
; %bb.14:
	v_add_u32_e32 v2, 0x400, v1
	v_or_b32_e32 v3, 0xffffff00, v0
	s_mov_b64 s[50:51], 0
	v_mov_b32_e32 v4, 0
.LBB131_15:                             ; =>This Inner Loop Header: Depth=1
	v_add_co_u32_e32 v3, vcc, 0x100, v3
	s_xor_b64 s[52:53], vcc, -1
	s_and_b64 s[52:53], exec, s[52:53]
	ds_write2_b32 v2, v4, v4 offset1:1
	s_or_b64 s[50:51], s[52:53], s[50:51]
	v_add_u32_e32 v2, 0x800, v2
	s_andn2_b64 exec, exec, s[50:51]
	s_cbranch_execnz .LBB131_15
.LBB131_16:
	s_or_b64 exec, exec, s[48:49]
	s_cmp_lg_u64 s[42:43], 0
	s_mov_b32 s7, 0
	s_waitcnt lgkmcnt(0)
	s_barrier
	s_cbranch_scc0 .LBB131_18
; %bb.17:
	s_load_dwordx2 s[40:41], s[40:41], 0x0
	s_waitcnt lgkmcnt(0)
	s_lshl_b64 s[40:41], s[40:41], 3
	s_add_u32 s33, s42, s40
	s_addc_u32 s34, s43, s41
	s_lshl_b64 s[6:7], s[6:7], 3
	s_add_u32 s6, s33, s6
	s_addc_u32 s7, s34, s7
	s_load_dwordx2 s[6:7], s[6:7], 0x0
.LBB131_18:
	s_nop 0
	s_load_dword s33, s[4:5], 0x0
	s_andn2_b64 vcc, exec, s[46:47]
	s_cbranch_vccnz .LBB131_74
; %bb.19:
	s_waitcnt lgkmcnt(0)
	s_lshl_b64 s[4:5], s[6:7], 3
	s_add_u32 s4, s24, s4
	s_addc_u32 s5, s25, s5
	s_load_dwordx4 s[48:51], s[4:5], 0x0
	v_lshrrev_b32_e32 v2, 4, v0
	v_subrev_co_u32_e32 v2, vcc, s36, v2
	v_subb_co_u32_e64 v3, s[24:25], 0, 0, vcc
	s_waitcnt lgkmcnt(0)
	s_sub_u32 s4, s50, s36
	v_mov_b32_e32 v4, s49
	v_add_co_u32_e32 v2, vcc, s48, v2
	s_subb_u32 s5, s51, 0
	v_addc_co_u32_e32 v3, vcc, v4, v3, vcc
	s_mov_b32 s40, 0
	v_cmp_gt_i64_e32 vcc, s[4:5], v[2:3]
	s_and_saveexec_b64 s[24:25], vcc
	s_cbranch_execz .LBB131_73
; %bb.20:
	v_and_b32_e32 v4, 15, v0
	v_subrev_co_u32_e32 v11, vcc, s37, v4
	s_mov_b32 s34, s36
	s_cmp_eq_u32 s33, 0
	s_mov_b32 s61, s37
	v_subb_co_u32_e64 v23, s[36:37], 0, 0, vcc
	s_mov_b32 s62, s40
	s_cselect_b32 s63, 2, 1
	s_cselect_b32 s64, 1, 2
	s_mov_b64 s[36:37], 0
	v_mov_b32_e32 v26, s27
	v_mov_b32_e32 v27, s40
	;; [unrolled: 1-line block ×4, first 2 shown]
	s_branch .LBB131_22
.LBB131_21:                             ;   in Loop: Header=BB131_22 Depth=1
	s_or_b64 exec, exec, s[40:41]
	v_add_co_u32_e32 v2, vcc, 16, v2
	v_addc_co_u32_e32 v3, vcc, 0, v3, vcc
	v_cmp_le_i64_e32 vcc, s[4:5], v[2:3]
	s_or_b64 s[36:37], vcc, s[36:37]
	s_andn2_b64 exec, exec, s[36:37]
	s_cbranch_execz .LBB131_73
.LBB131_22:                             ; =>This Loop Header: Depth=1
                                        ;     Child Loop BB131_25 Depth 2
                                        ;       Child Loop BB131_27 Depth 3
                                        ;       Child Loop BB131_39 Depth 3
	;; [unrolled: 1-line block ×4, first 2 shown]
	v_lshlrev_b64 v[4:5], 3, v[2:3]
	v_add_co_u32_e32 v4, vcc, s26, v4
	v_addc_co_u32_e32 v5, vcc, v26, v5, vcc
	global_load_dwordx2 v[4:5], v[4:5], off
	s_waitcnt vmcnt(0)
	v_subrev_co_u32_e32 v4, vcc, s34, v4
	v_subb_co_u32_e32 v5, vcc, v5, v27, vcc
	v_lshlrev_b64 v[4:5], 3, v[4:5]
	v_add_co_u32_e32 v4, vcc, s30, v4
	v_addc_co_u32_e32 v5, vcc, v28, v5, vcc
	global_load_dwordx4 v[6:9], v[4:5], off
	s_waitcnt vmcnt(0)
	v_subrev_co_u32_e32 v4, vcc, s61, v8
	v_subb_co_u32_e32 v5, vcc, v9, v29, vcc
	v_add_co_u32_e32 v6, vcc, v6, v11
	v_addc_co_u32_e32 v7, vcc, v7, v23, vcc
	v_cmp_lt_i64_e32 vcc, v[6:7], v[4:5]
	s_and_saveexec_b64 s[40:41], vcc
	s_cbranch_execz .LBB131_21
; %bb.23:                               ;   in Loop: Header=BB131_22 Depth=1
	v_lshlrev_b64 v[8:9], 2, v[2:3]
	v_lshlrev_b64 v[12:13], 5, v[2:3]
	v_mov_b32_e32 v10, s29
	v_add_co_u32_e32 v12, vcc, s28, v12
	v_or_b32_e32 v17, 0, v9
	v_or_b32_e32 v16, s63, v8
	v_addc_co_u32_e32 v13, vcc, v10, v13, vcc
	v_lshlrev_b64 v[16:17], 3, v[16:17]
	v_add_co_u32_e32 v16, vcc, s28, v16
	v_or_b32_e32 v9, 0, v9
	v_or_b32_e32 v8, s64, v8
	v_addc_co_u32_e32 v17, vcc, v10, v17, vcc
	v_lshlrev_b64 v[8:9], 3, v[8:9]
	v_add_co_u32_e32 v8, vcc, s28, v8
	v_addc_co_u32_e32 v9, vcc, v10, v9, vcc
	global_load_dwordx2 v[14:15], v[12:13], off
	s_nop 0
	global_load_dwordx2 v[16:17], v[16:17], off
	s_nop 0
	global_load_dwordx2 v[8:9], v[8:9], off
	s_nop 0
	global_load_dwordx2 v[12:13], v[12:13], off offset:24
	s_mov_b64 s[42:43], 0
	s_waitcnt vmcnt(2)
	v_mul_f32_e64 v32, v17, -s35
	v_mul_f32_e64 v30, v15, -s35
	v_mul_f32_e32 v31, s60, v15
	v_mul_f32_e32 v33, s60, v17
	s_waitcnt vmcnt(0)
	v_mul_f32_e32 v34, s60, v13
	v_mul_f32_e64 v35, v13, -s35
	v_mul_f32_e32 v36, s60, v9
	v_mul_f32_e64 v37, v9, -s35
	v_fmac_f32_e32 v30, s60, v14
	v_fmac_f32_e32 v31, s35, v14
	;; [unrolled: 1-line block ×8, first 2 shown]
	s_branch .LBB131_25
.LBB131_24:                             ;   in Loop: Header=BB131_25 Depth=2
	s_or_b64 exec, exec, s[46:47]
	v_add_co_u32_e32 v6, vcc, 16, v6
	v_addc_co_u32_e32 v7, vcc, 0, v7, vcc
	v_cmp_ge_i64_e32 vcc, v[6:7], v[4:5]
	s_or_b64 s[42:43], vcc, s[42:43]
	s_andn2_b64 exec, exec, s[42:43]
	s_cbranch_execz .LBB131_21
.LBB131_25:                             ;   Parent Loop BB131_22 Depth=1
                                        ; =>  This Loop Header: Depth=2
                                        ;       Child Loop BB131_27 Depth 3
                                        ;       Child Loop BB131_39 Depth 3
                                        ;       Child Loop BB131_51 Depth 3
                                        ;       Child Loop BB131_63 Depth 3
	v_lshlrev_b64 v[8:9], 3, v[6:7]
	v_lshlrev_b64 v[12:13], 2, v[6:7]
	v_mov_b32_e32 v10, s17
	v_add_co_u32_e32 v8, vcc, s16, v8
	v_or_b32_e32 v15, 0, v13
	v_or_b32_e32 v14, s64, v12
	v_or_b32_e32 v13, 0, v13
	v_or_b32_e32 v12, s63, v12
	v_addc_co_u32_e32 v9, vcc, v10, v9, vcc
	v_lshlrev_b64 v[12:13], 3, v[12:13]
	v_mov_b32_e32 v10, s19
	v_add_co_u32_e32 v12, vcc, s18, v12
	v_lshlrev_b64 v[16:17], 5, v[6:7]
	v_addc_co_u32_e32 v13, vcc, v10, v13, vcc
	v_add_co_u32_e32 v20, vcc, s18, v16
	global_load_dwordx2 v[8:9], v[8:9], off
	v_addc_co_u32_e32 v21, vcc, v10, v17, vcc
	global_load_dwordx2 v[18:19], v[12:13], off
	global_load_dwordx2 v[16:17], v[20:21], off
	v_lshlrev_b64 v[12:13], 3, v[14:15]
	v_add_co_u32_e32 v12, vcc, s18, v12
	v_addc_co_u32_e32 v13, vcc, v10, v13, vcc
	global_load_dwordx2 v[12:13], v[12:13], off
	s_nop 0
	global_load_dwordx2 v[14:15], v[20:21], off offset:24
	v_mov_b32_e32 v10, s62
	s_mov_b64 s[46:47], 0
	s_waitcnt vmcnt(4)
	v_subrev_co_u32_e32 v8, vcc, s61, v8
	v_subb_co_u32_e32 v9, vcc, v9, v10, vcc
	s_waitcnt vmcnt(3)
	v_mul_f32_e64 v20, v19, -v36
	v_mul_f32_e32 v38, v37, v19
	v_lshl_add_u32 v10, v8, 3, v8
	v_fmac_f32_e32 v20, v37, v18
	v_fmac_f32_e32 v38, v36, v18
	v_and_b32_e32 v10, 0x7f, v10
	s_waitcnt vmcnt(2)
	v_fmac_f32_e32 v20, v30, v16
	v_fmac_f32_e32 v38, v31, v16
	v_fma_f32 v39, -v31, v17, v20
	v_fmac_f32_e32 v38, v30, v17
	v_pk_mov_b32 v[20:21], v[10:11], v[10:11] op_sel:[0,1]
	s_branch .LBB131_27
.LBB131_26:                             ;   in Loop: Header=BB131_27 Depth=3
	s_or_b64 exec, exec, s[48:49]
	s_xor_b64 s[48:49], s[50:51], -1
	s_and_b64 s[48:49], exec, s[48:49]
	s_or_b64 s[46:47], s[48:49], s[46:47]
	s_andn2_b64 exec, exec, s[46:47]
	s_cbranch_execz .LBB131_37
.LBB131_27:                             ;   Parent Loop BB131_22 Depth=1
                                        ;     Parent Loop BB131_25 Depth=2
                                        ; =>    This Inner Loop Header: Depth=3
	v_lshl_add_u32 v22, v20, 3, 0
	ds_read_b64 v[24:25], v22
                                        ; implicit-def: $sgpr50_sgpr51
	s_waitcnt lgkmcnt(0)
	v_cmp_ne_u64_e32 vcc, v[24:25], v[8:9]
	s_and_saveexec_b64 s[48:49], vcc
	s_xor_b64 s[48:49], exec, s[48:49]
	s_cbranch_execz .LBB131_35
; %bb.28:                               ;   in Loop: Header=BB131_27 Depth=3
	v_cmp_ne_u64_e32 vcc, s[20:21], v[24:25]
                                        ; implicit-def: $sgpr50_sgpr51
	s_and_saveexec_b64 s[52:53], vcc
	s_xor_b64 s[52:53], exec, s[52:53]
; %bb.29:                               ;   in Loop: Header=BB131_27 Depth=3
	v_add_u32_e32 v20, 1, v20
	v_and_b32_e32 v20, 0x7f, v20
	s_mov_b64 s[50:51], -1
                                        ; implicit-def: $vgpr22
; %bb.30:                               ;   in Loop: Header=BB131_27 Depth=3
	s_andn2_saveexec_b64 s[52:53], s[52:53]
	s_cbranch_execz .LBB131_34
; %bb.31:                               ;   in Loop: Header=BB131_27 Depth=3
	v_pk_mov_b32 v[24:25], s[20:21], s[20:21] op_sel:[0,1]
	ds_cmpst_rtn_b64 v[24:25], v22, v[24:25], v[8:9]
	s_mov_b64 s[56:57], -1
	s_waitcnt lgkmcnt(0)
	v_cmp_eq_u64_e32 vcc, s[20:21], v[24:25]
	s_and_saveexec_b64 s[54:55], vcc
	s_cbranch_execz .LBB131_33
; %bb.32:                               ;   in Loop: Header=BB131_27 Depth=3
	v_mad_u64_u32 v[24:25], s[56:57], v20, 24, v[22:23]
	ds_add_f32 v24, v39 offset:1024
	ds_add_f32 v24, v38 offset:1028
	s_xor_b64 s[56:57], exec, -1
.LBB131_33:                             ;   in Loop: Header=BB131_27 Depth=3
	s_or_b64 exec, exec, s[54:55]
	s_andn2_b64 s[50:51], s[50:51], exec
	s_and_b64 s[54:55], s[56:57], exec
	s_or_b64 s[50:51], s[50:51], s[54:55]
.LBB131_34:                             ;   in Loop: Header=BB131_27 Depth=3
	s_or_b64 exec, exec, s[52:53]
	s_and_b64 s[50:51], s[50:51], exec
                                        ; implicit-def: $vgpr22
.LBB131_35:                             ;   in Loop: Header=BB131_27 Depth=3
	s_andn2_saveexec_b64 s[48:49], s[48:49]
	s_cbranch_execz .LBB131_26
; %bb.36:                               ;   in Loop: Header=BB131_27 Depth=3
	v_mad_u64_u32 v[24:25], s[52:53], v20, 24, v[22:23]
	ds_add_f32 v24, v39 offset:1024
	ds_add_f32 v24, v38 offset:1028
	s_andn2_b64 s[50:51], s[50:51], exec
	s_branch .LBB131_26
.LBB131_37:                             ;   in Loop: Header=BB131_25 Depth=2
	s_or_b64 exec, exec, s[46:47]
	s_waitcnt vmcnt(0)
	v_mul_f32_e64 v20, v15, -v36
	v_mul_f32_e32 v38, v37, v15
	v_fmac_f32_e32 v20, v37, v14
	v_fmac_f32_e32 v38, v36, v14
	;; [unrolled: 1-line block ×4, first 2 shown]
	v_fma_f32 v39, -v31, v13, v20
	v_fmac_f32_e32 v38, v30, v13
	s_mov_b64 s[46:47], 0
	v_pk_mov_b32 v[20:21], v[10:11], v[10:11] op_sel:[0,1]
	s_branch .LBB131_39
.LBB131_38:                             ;   in Loop: Header=BB131_39 Depth=3
	s_or_b64 exec, exec, s[48:49]
	s_xor_b64 s[48:49], s[50:51], -1
	s_and_b64 s[48:49], exec, s[48:49]
	s_or_b64 s[46:47], s[48:49], s[46:47]
	s_andn2_b64 exec, exec, s[46:47]
	s_cbranch_execz .LBB131_49
.LBB131_39:                             ;   Parent Loop BB131_22 Depth=1
                                        ;     Parent Loop BB131_25 Depth=2
                                        ; =>    This Inner Loop Header: Depth=3
	v_lshl_add_u32 v22, v20, 3, 0
	ds_read_b64 v[24:25], v22
                                        ; implicit-def: $sgpr50_sgpr51
	s_waitcnt lgkmcnt(0)
	v_cmp_ne_u64_e32 vcc, v[24:25], v[8:9]
	s_and_saveexec_b64 s[48:49], vcc
	s_xor_b64 s[48:49], exec, s[48:49]
	s_cbranch_execz .LBB131_47
; %bb.40:                               ;   in Loop: Header=BB131_39 Depth=3
	v_cmp_ne_u64_e32 vcc, s[20:21], v[24:25]
                                        ; implicit-def: $sgpr50_sgpr51
	s_and_saveexec_b64 s[52:53], vcc
	s_xor_b64 s[52:53], exec, s[52:53]
; %bb.41:                               ;   in Loop: Header=BB131_39 Depth=3
	v_add_u32_e32 v20, 1, v20
	v_and_b32_e32 v20, 0x7f, v20
	s_mov_b64 s[50:51], -1
                                        ; implicit-def: $vgpr22
; %bb.42:                               ;   in Loop: Header=BB131_39 Depth=3
	s_andn2_saveexec_b64 s[52:53], s[52:53]
	s_cbranch_execz .LBB131_46
; %bb.43:                               ;   in Loop: Header=BB131_39 Depth=3
	v_pk_mov_b32 v[24:25], s[20:21], s[20:21] op_sel:[0,1]
	ds_cmpst_rtn_b64 v[24:25], v22, v[24:25], v[8:9]
	s_mov_b64 s[56:57], -1
	s_waitcnt lgkmcnt(0)
	v_cmp_eq_u64_e32 vcc, s[20:21], v[24:25]
	s_and_saveexec_b64 s[54:55], vcc
	s_cbranch_execz .LBB131_45
; %bb.44:                               ;   in Loop: Header=BB131_39 Depth=3
	v_mad_u64_u32 v[24:25], s[56:57], v20, 24, v[22:23]
	ds_add_f32 v24, v39 offset:1032
	ds_add_f32 v24, v38 offset:1036
	s_xor_b64 s[56:57], exec, -1
.LBB131_45:                             ;   in Loop: Header=BB131_39 Depth=3
	s_or_b64 exec, exec, s[54:55]
	s_andn2_b64 s[50:51], s[50:51], exec
	s_and_b64 s[54:55], s[56:57], exec
	s_or_b64 s[50:51], s[50:51], s[54:55]
.LBB131_46:                             ;   in Loop: Header=BB131_39 Depth=3
	s_or_b64 exec, exec, s[52:53]
	s_and_b64 s[50:51], s[50:51], exec
                                        ; implicit-def: $vgpr22
.LBB131_47:                             ;   in Loop: Header=BB131_39 Depth=3
	s_andn2_saveexec_b64 s[48:49], s[48:49]
	s_cbranch_execz .LBB131_38
; %bb.48:                               ;   in Loop: Header=BB131_39 Depth=3
	v_mad_u64_u32 v[24:25], s[52:53], v20, 24, v[22:23]
	ds_add_f32 v24, v39 offset:1032
	ds_add_f32 v24, v38 offset:1036
	s_andn2_b64 s[50:51], s[50:51], exec
	s_branch .LBB131_38
.LBB131_49:                             ;   in Loop: Header=BB131_25 Depth=2
	s_or_b64 exec, exec, s[46:47]
	v_mul_f32_e64 v20, v19, -v34
	v_mul_f32_e32 v19, v35, v19
	v_fmac_f32_e32 v20, v35, v18
	v_fmac_f32_e32 v19, v34, v18
	;; [unrolled: 1-line block ×4, first 2 shown]
	v_fma_f32 v22, -v33, v17, v20
	v_fmac_f32_e32 v19, v32, v17
	s_mov_b64 s[46:47], 0
	v_pk_mov_b32 v[16:17], v[10:11], v[10:11] op_sel:[0,1]
	s_branch .LBB131_51
.LBB131_50:                             ;   in Loop: Header=BB131_51 Depth=3
	s_or_b64 exec, exec, s[48:49]
	s_xor_b64 s[48:49], s[50:51], -1
	s_and_b64 s[48:49], exec, s[48:49]
	s_or_b64 s[46:47], s[48:49], s[46:47]
	s_andn2_b64 exec, exec, s[46:47]
	s_cbranch_execz .LBB131_61
.LBB131_51:                             ;   Parent Loop BB131_22 Depth=1
                                        ;     Parent Loop BB131_25 Depth=2
                                        ; =>    This Inner Loop Header: Depth=3
	v_lshl_add_u32 v18, v16, 3, 0
	ds_read_b64 v[20:21], v18
                                        ; implicit-def: $sgpr50_sgpr51
	s_waitcnt lgkmcnt(0)
	v_cmp_ne_u64_e32 vcc, v[20:21], v[8:9]
	s_and_saveexec_b64 s[48:49], vcc
	s_xor_b64 s[48:49], exec, s[48:49]
	s_cbranch_execz .LBB131_59
; %bb.52:                               ;   in Loop: Header=BB131_51 Depth=3
	v_cmp_ne_u64_e32 vcc, s[20:21], v[20:21]
                                        ; implicit-def: $sgpr50_sgpr51
	s_and_saveexec_b64 s[52:53], vcc
	s_xor_b64 s[52:53], exec, s[52:53]
; %bb.53:                               ;   in Loop: Header=BB131_51 Depth=3
	v_add_u32_e32 v16, 1, v16
	v_and_b32_e32 v16, 0x7f, v16
	s_mov_b64 s[50:51], -1
                                        ; implicit-def: $vgpr18
; %bb.54:                               ;   in Loop: Header=BB131_51 Depth=3
	s_andn2_saveexec_b64 s[52:53], s[52:53]
	s_cbranch_execz .LBB131_58
; %bb.55:                               ;   in Loop: Header=BB131_51 Depth=3
	v_pk_mov_b32 v[20:21], s[20:21], s[20:21] op_sel:[0,1]
	ds_cmpst_rtn_b64 v[20:21], v18, v[20:21], v[8:9]
	s_mov_b64 s[56:57], -1
	s_waitcnt lgkmcnt(0)
	v_cmp_eq_u64_e32 vcc, s[20:21], v[20:21]
	s_and_saveexec_b64 s[54:55], vcc
	s_cbranch_execz .LBB131_57
; %bb.56:                               ;   in Loop: Header=BB131_51 Depth=3
	v_mad_u64_u32 v[20:21], s[56:57], v16, 24, v[18:19]
	ds_add_f32 v20, v22 offset:1040
	ds_add_f32 v20, v19 offset:1044
	s_xor_b64 s[56:57], exec, -1
.LBB131_57:                             ;   in Loop: Header=BB131_51 Depth=3
	s_or_b64 exec, exec, s[54:55]
	s_andn2_b64 s[50:51], s[50:51], exec
	s_and_b64 s[54:55], s[56:57], exec
	s_or_b64 s[50:51], s[50:51], s[54:55]
.LBB131_58:                             ;   in Loop: Header=BB131_51 Depth=3
	s_or_b64 exec, exec, s[52:53]
	s_and_b64 s[50:51], s[50:51], exec
                                        ; implicit-def: $vgpr18
.LBB131_59:                             ;   in Loop: Header=BB131_51 Depth=3
	s_andn2_saveexec_b64 s[48:49], s[48:49]
	s_cbranch_execz .LBB131_50
; %bb.60:                               ;   in Loop: Header=BB131_51 Depth=3
	v_mad_u64_u32 v[20:21], s[52:53], v16, 24, v[18:19]
	ds_add_f32 v20, v22 offset:1040
	ds_add_f32 v20, v19 offset:1044
	s_andn2_b64 s[50:51], s[50:51], exec
	s_branch .LBB131_50
.LBB131_61:                             ;   in Loop: Header=BB131_25 Depth=2
	s_or_b64 exec, exec, s[46:47]
	v_mul_f32_e64 v17, v15, -v34
	v_mul_f32_e32 v16, v35, v15
	v_fmac_f32_e32 v17, v35, v14
	v_fmac_f32_e32 v16, v34, v14
	;; [unrolled: 1-line block ×4, first 2 shown]
	v_fma_f32 v17, -v33, v13, v17
	v_fmac_f32_e32 v16, v32, v13
	s_mov_b64 s[46:47], 0
	s_branch .LBB131_63
.LBB131_62:                             ;   in Loop: Header=BB131_63 Depth=3
	s_or_b64 exec, exec, s[48:49]
	s_xor_b64 s[48:49], s[50:51], -1
	s_and_b64 s[48:49], exec, s[48:49]
	s_or_b64 s[46:47], s[48:49], s[46:47]
	s_andn2_b64 exec, exec, s[46:47]
	s_cbranch_execz .LBB131_24
.LBB131_63:                             ;   Parent Loop BB131_22 Depth=1
                                        ;     Parent Loop BB131_25 Depth=2
                                        ; =>    This Inner Loop Header: Depth=3
	v_lshl_add_u32 v12, v10, 3, 0
	ds_read_b64 v[14:15], v12
                                        ; implicit-def: $sgpr50_sgpr51
	s_waitcnt lgkmcnt(0)
	v_cmp_ne_u64_e32 vcc, v[14:15], v[8:9]
	s_and_saveexec_b64 s[48:49], vcc
	s_xor_b64 s[48:49], exec, s[48:49]
	s_cbranch_execz .LBB131_71
; %bb.64:                               ;   in Loop: Header=BB131_63 Depth=3
	v_cmp_ne_u64_e32 vcc, s[20:21], v[14:15]
                                        ; implicit-def: $sgpr50_sgpr51
	s_and_saveexec_b64 s[52:53], vcc
	s_xor_b64 s[52:53], exec, s[52:53]
; %bb.65:                               ;   in Loop: Header=BB131_63 Depth=3
	v_add_u32_e32 v10, 1, v10
	v_and_b32_e32 v10, 0x7f, v10
	s_mov_b64 s[50:51], -1
                                        ; implicit-def: $vgpr12
; %bb.66:                               ;   in Loop: Header=BB131_63 Depth=3
	s_andn2_saveexec_b64 s[52:53], s[52:53]
	s_cbranch_execz .LBB131_70
; %bb.67:                               ;   in Loop: Header=BB131_63 Depth=3
	v_pk_mov_b32 v[14:15], s[20:21], s[20:21] op_sel:[0,1]
	ds_cmpst_rtn_b64 v[14:15], v12, v[14:15], v[8:9]
	s_mov_b64 s[56:57], -1
	s_waitcnt lgkmcnt(0)
	v_cmp_eq_u64_e32 vcc, s[20:21], v[14:15]
	s_and_saveexec_b64 s[54:55], vcc
	s_cbranch_execz .LBB131_69
; %bb.68:                               ;   in Loop: Header=BB131_63 Depth=3
	v_mad_u64_u32 v[12:13], s[56:57], v10, 24, v[12:13]
	ds_add_f32 v12, v17 offset:1048
	ds_add_f32 v12, v16 offset:1052
	s_xor_b64 s[56:57], exec, -1
.LBB131_69:                             ;   in Loop: Header=BB131_63 Depth=3
	s_or_b64 exec, exec, s[54:55]
	s_andn2_b64 s[50:51], s[50:51], exec
	s_and_b64 s[54:55], s[56:57], exec
	s_or_b64 s[50:51], s[50:51], s[54:55]
.LBB131_70:                             ;   in Loop: Header=BB131_63 Depth=3
	s_or_b64 exec, exec, s[52:53]
	s_and_b64 s[50:51], s[50:51], exec
                                        ; implicit-def: $vgpr12
.LBB131_71:                             ;   in Loop: Header=BB131_63 Depth=3
	s_andn2_saveexec_b64 s[48:49], s[48:49]
	s_cbranch_execz .LBB131_62
; %bb.72:                               ;   in Loop: Header=BB131_63 Depth=3
	v_mad_u64_u32 v[12:13], s[52:53], v10, 24, v[12:13]
	ds_add_f32 v12, v17 offset:1048
	ds_add_f32 v12, v16 offset:1052
	s_andn2_b64 s[50:51], s[50:51], exec
	s_branch .LBB131_62
.LBB131_73:
	s_or_b64 exec, exec, s[24:25]
.LBB131_74:
	s_andn2_b64 vcc, exec, s[44:45]
	s_waitcnt lgkmcnt(0)
	s_barrier
	s_cbranch_vccnz .LBB131_127
; %bb.75:
	s_lshl_b64 s[4:5], s[6:7], 3
	s_add_u32 s4, s22, s4
	s_addc_u32 s5, s23, s5
	s_load_dwordx4 s[16:19], s[4:5], 0x0
	v_subrev_co_u32_e32 v2, vcc, s39, v0
	s_mov_b32 s22, 0
	s_waitcnt lgkmcnt(0)
	s_sub_u32 s4, s18, s39
	s_subb_u32 s5, s19, 0
	v_subb_co_u32_e64 v3, s[18:19], 0, 0, vcc
	v_mov_b32_e32 v4, s17
	v_add_co_u32_e32 v2, vcc, s16, v2
	v_addc_co_u32_e32 v3, vcc, v4, v3, vcc
	v_cmp_gt_i64_e32 vcc, s[4:5], v[2:3]
	s_and_saveexec_b64 s[16:17], vcc
	s_cbranch_execz .LBB131_126
; %bb.76:
	s_cmp_eq_u32 s33, 0
	s_mov_b32 s36, s39
	s_cselect_b32 s37, 1, 2
	s_cselect_b32 s39, 2, 1
	s_mov_b64 s[18:19], 0
	v_mov_b32_e32 v7, s11
	v_mov_b32_e32 v20, s9
	;; [unrolled: 1-line block ×3, first 2 shown]
	s_branch .LBB131_78
.LBB131_77:                             ;   in Loop: Header=BB131_78 Depth=1
	s_or_b64 exec, exec, s[22:23]
	v_add_co_u32_e32 v2, vcc, 0x100, v2
	v_addc_co_u32_e32 v3, vcc, 0, v3, vcc
	v_cmp_le_i64_e32 vcc, s[4:5], v[2:3]
	s_or_b64 s[18:19], vcc, s[18:19]
	s_andn2_b64 exec, exec, s[18:19]
	s_cbranch_execz .LBB131_126
.LBB131_78:                             ; =>This Loop Header: Depth=1
                                        ;     Child Loop BB131_80 Depth 2
                                        ;     Child Loop BB131_92 Depth 2
                                        ;     Child Loop BB131_104 Depth 2
                                        ;     Child Loop BB131_116 Depth 2
	v_lshlrev_b64 v[8:9], 5, v[2:3]
	v_lshlrev_b64 v[4:5], 2, v[2:3]
	v_add_co_u32_e32 v14, vcc, s10, v8
	v_addc_co_u32_e32 v15, vcc, v7, v9, vcc
	v_or_b32_e32 v9, 0, v5
	v_or_b32_e32 v8, s37, v4
	v_lshlrev_b64 v[8:9], 3, v[8:9]
	v_add_co_u32_e32 v16, vcc, s10, v8
	v_addc_co_u32_e32 v17, vcc, v7, v9, vcc
	v_lshlrev_b64 v[8:9], 3, v[2:3]
	v_add_co_u32_e32 v8, vcc, s8, v8
	v_addc_co_u32_e32 v9, vcc, v20, v9, vcc
	v_or_b32_e32 v5, 0, v5
	global_load_dwordx2 v[24:25], v[8:9], off
	v_or_b32_e32 v4, s39, v4
	v_lshlrev_b64 v[4:5], 3, v[4:5]
	global_load_dwordx2 v[18:19], v[14:15], off
	v_add_co_u32_e32 v4, vcc, s10, v4
	v_addc_co_u32_e32 v5, vcc, v7, v5, vcc
	global_load_dwordx2 v[8:9], v[14:15], off offset:24
	global_load_dwordx2 v[12:13], v[16:17], off
	global_load_dwordx2 v[10:11], v[4:5], off
	s_mov_b64 s[22:23], 0
	s_waitcnt vmcnt(4)
	v_subrev_co_u32_e32 v4, vcc, s36, v24
	v_lshl_add_u32 v6, v4, 3, v4
	s_waitcnt vmcnt(3)
	v_mul_f32_e64 v17, v19, -s59
	v_mul_f32_e32 v22, s58, v19
	v_and_b32_e32 v6, 0x7f, v6
	v_subb_co_u32_e32 v5, vcc, v25, v21, vcc
	v_fmac_f32_e32 v17, s58, v18
	v_fmac_f32_e32 v22, s59, v18
	v_pk_mov_b32 v[14:15], v[6:7], v[6:7] op_sel:[0,1]
	s_branch .LBB131_80
.LBB131_79:                             ;   in Loop: Header=BB131_80 Depth=2
	s_or_b64 exec, exec, s[24:25]
	s_xor_b64 s[24:25], s[26:27], -1
	s_and_b64 s[24:25], exec, s[24:25]
	s_or_b64 s[22:23], s[24:25], s[22:23]
	s_andn2_b64 exec, exec, s[22:23]
	s_cbranch_execz .LBB131_90
.LBB131_80:                             ;   Parent Loop BB131_78 Depth=1
                                        ; =>  This Inner Loop Header: Depth=2
	v_lshl_add_u32 v16, v14, 3, 0
	ds_read_b64 v[18:19], v16
                                        ; implicit-def: $sgpr26_sgpr27
	s_waitcnt lgkmcnt(0)
	v_cmp_ne_u64_e32 vcc, v[18:19], v[4:5]
	s_and_saveexec_b64 s[24:25], vcc
	s_xor_b64 s[24:25], exec, s[24:25]
	s_cbranch_execz .LBB131_88
; %bb.81:                               ;   in Loop: Header=BB131_80 Depth=2
	v_cmp_ne_u64_e32 vcc, s[20:21], v[18:19]
                                        ; implicit-def: $sgpr26_sgpr27
	s_and_saveexec_b64 s[28:29], vcc
	s_xor_b64 s[28:29], exec, s[28:29]
; %bb.82:                               ;   in Loop: Header=BB131_80 Depth=2
	v_add_u32_e32 v14, 1, v14
	v_and_b32_e32 v14, 0x7f, v14
	s_mov_b64 s[26:27], -1
                                        ; implicit-def: $vgpr16
; %bb.83:                               ;   in Loop: Header=BB131_80 Depth=2
	s_andn2_saveexec_b64 s[28:29], s[28:29]
	s_cbranch_execz .LBB131_87
; %bb.84:                               ;   in Loop: Header=BB131_80 Depth=2
	v_pk_mov_b32 v[18:19], s[20:21], s[20:21] op_sel:[0,1]
	ds_cmpst_rtn_b64 v[18:19], v16, v[18:19], v[4:5]
	s_mov_b64 s[34:35], -1
	s_waitcnt lgkmcnt(0)
	v_cmp_eq_u64_e32 vcc, s[20:21], v[18:19]
	s_and_saveexec_b64 s[30:31], vcc
	s_cbranch_execz .LBB131_86
; %bb.85:                               ;   in Loop: Header=BB131_80 Depth=2
	v_mad_u64_u32 v[18:19], s[34:35], v14, 24, v[16:17]
	ds_add_f32 v18, v17 offset:1024
	ds_add_f32 v18, v22 offset:1028
	s_xor_b64 s[34:35], exec, -1
.LBB131_86:                             ;   in Loop: Header=BB131_80 Depth=2
	s_or_b64 exec, exec, s[30:31]
	s_andn2_b64 s[26:27], s[26:27], exec
	s_and_b64 s[30:31], s[34:35], exec
	s_or_b64 s[26:27], s[26:27], s[30:31]
.LBB131_87:                             ;   in Loop: Header=BB131_80 Depth=2
	s_or_b64 exec, exec, s[28:29]
	s_and_b64 s[26:27], s[26:27], exec
                                        ; implicit-def: $vgpr16
.LBB131_88:                             ;   in Loop: Header=BB131_80 Depth=2
	s_andn2_saveexec_b64 s[24:25], s[24:25]
	s_cbranch_execz .LBB131_79
; %bb.89:                               ;   in Loop: Header=BB131_80 Depth=2
	v_mad_u64_u32 v[18:19], s[28:29], v14, 24, v[16:17]
	ds_add_f32 v18, v17 offset:1024
	ds_add_f32 v18, v22 offset:1028
	s_andn2_b64 s[26:27], s[26:27], exec
	s_branch .LBB131_79
.LBB131_90:                             ;   in Loop: Header=BB131_78 Depth=1
	s_or_b64 exec, exec, s[22:23]
	s_waitcnt vmcnt(1)
	v_mul_f32_e64 v15, v13, -s59
	v_mul_f32_e32 v18, s58, v13
	v_fmac_f32_e32 v15, s58, v12
	v_fmac_f32_e32 v18, s59, v12
	s_mov_b64 s[22:23], 0
	v_pk_mov_b32 v[12:13], v[6:7], v[6:7] op_sel:[0,1]
	s_branch .LBB131_92
.LBB131_91:                             ;   in Loop: Header=BB131_92 Depth=2
	s_or_b64 exec, exec, s[24:25]
	s_xor_b64 s[24:25], s[26:27], -1
	s_and_b64 s[24:25], exec, s[24:25]
	s_or_b64 s[22:23], s[24:25], s[22:23]
	s_andn2_b64 exec, exec, s[22:23]
	s_cbranch_execz .LBB131_102
.LBB131_92:                             ;   Parent Loop BB131_78 Depth=1
                                        ; =>  This Inner Loop Header: Depth=2
	v_lshl_add_u32 v14, v12, 3, 0
	ds_read_b64 v[16:17], v14
                                        ; implicit-def: $sgpr26_sgpr27
	s_waitcnt lgkmcnt(0)
	v_cmp_ne_u64_e32 vcc, v[16:17], v[4:5]
	s_and_saveexec_b64 s[24:25], vcc
	s_xor_b64 s[24:25], exec, s[24:25]
	s_cbranch_execz .LBB131_100
; %bb.93:                               ;   in Loop: Header=BB131_92 Depth=2
	v_cmp_ne_u64_e32 vcc, s[20:21], v[16:17]
                                        ; implicit-def: $sgpr26_sgpr27
	s_and_saveexec_b64 s[28:29], vcc
	s_xor_b64 s[28:29], exec, s[28:29]
; %bb.94:                               ;   in Loop: Header=BB131_92 Depth=2
	v_add_u32_e32 v12, 1, v12
	v_and_b32_e32 v12, 0x7f, v12
	s_mov_b64 s[26:27], -1
                                        ; implicit-def: $vgpr14
; %bb.95:                               ;   in Loop: Header=BB131_92 Depth=2
	s_andn2_saveexec_b64 s[28:29], s[28:29]
	s_cbranch_execz .LBB131_99
; %bb.96:                               ;   in Loop: Header=BB131_92 Depth=2
	v_pk_mov_b32 v[16:17], s[20:21], s[20:21] op_sel:[0,1]
	ds_cmpst_rtn_b64 v[16:17], v14, v[16:17], v[4:5]
	s_mov_b64 s[34:35], -1
	s_waitcnt lgkmcnt(0)
	v_cmp_eq_u64_e32 vcc, s[20:21], v[16:17]
	s_and_saveexec_b64 s[30:31], vcc
	s_cbranch_execz .LBB131_98
; %bb.97:                               ;   in Loop: Header=BB131_92 Depth=2
	v_mad_u64_u32 v[16:17], s[34:35], v12, 24, v[14:15]
	ds_add_f32 v16, v15 offset:1032
	ds_add_f32 v16, v18 offset:1036
	s_xor_b64 s[34:35], exec, -1
.LBB131_98:                             ;   in Loop: Header=BB131_92 Depth=2
	s_or_b64 exec, exec, s[30:31]
	s_andn2_b64 s[26:27], s[26:27], exec
	s_and_b64 s[30:31], s[34:35], exec
	s_or_b64 s[26:27], s[26:27], s[30:31]
.LBB131_99:                             ;   in Loop: Header=BB131_92 Depth=2
	s_or_b64 exec, exec, s[28:29]
	s_and_b64 s[26:27], s[26:27], exec
                                        ; implicit-def: $vgpr14
.LBB131_100:                            ;   in Loop: Header=BB131_92 Depth=2
	s_andn2_saveexec_b64 s[24:25], s[24:25]
	s_cbranch_execz .LBB131_91
; %bb.101:                              ;   in Loop: Header=BB131_92 Depth=2
	v_mad_u64_u32 v[16:17], s[28:29], v12, 24, v[14:15]
	ds_add_f32 v16, v15 offset:1032
	ds_add_f32 v16, v18 offset:1036
	s_andn2_b64 s[26:27], s[26:27], exec
	s_branch .LBB131_91
.LBB131_102:                            ;   in Loop: Header=BB131_78 Depth=1
	s_or_b64 exec, exec, s[22:23]
	s_waitcnt vmcnt(0)
	v_mul_f32_e64 v13, v11, -s59
	v_mul_f32_e32 v16, s58, v11
	v_fmac_f32_e32 v13, s58, v10
	v_fmac_f32_e32 v16, s59, v10
	s_mov_b64 s[22:23], 0
	v_pk_mov_b32 v[10:11], v[6:7], v[6:7] op_sel:[0,1]
	s_branch .LBB131_104
.LBB131_103:                            ;   in Loop: Header=BB131_104 Depth=2
	s_or_b64 exec, exec, s[24:25]
	s_xor_b64 s[24:25], s[26:27], -1
	s_and_b64 s[24:25], exec, s[24:25]
	s_or_b64 s[22:23], s[24:25], s[22:23]
	s_andn2_b64 exec, exec, s[22:23]
	s_cbranch_execz .LBB131_114
.LBB131_104:                            ;   Parent Loop BB131_78 Depth=1
                                        ; =>  This Inner Loop Header: Depth=2
	v_lshl_add_u32 v12, v10, 3, 0
	ds_read_b64 v[14:15], v12
                                        ; implicit-def: $sgpr26_sgpr27
	s_waitcnt lgkmcnt(0)
	v_cmp_ne_u64_e32 vcc, v[14:15], v[4:5]
	s_and_saveexec_b64 s[24:25], vcc
	s_xor_b64 s[24:25], exec, s[24:25]
	s_cbranch_execz .LBB131_112
; %bb.105:                              ;   in Loop: Header=BB131_104 Depth=2
	v_cmp_ne_u64_e32 vcc, s[20:21], v[14:15]
                                        ; implicit-def: $sgpr26_sgpr27
	s_and_saveexec_b64 s[28:29], vcc
	s_xor_b64 s[28:29], exec, s[28:29]
; %bb.106:                              ;   in Loop: Header=BB131_104 Depth=2
	v_add_u32_e32 v10, 1, v10
	v_and_b32_e32 v10, 0x7f, v10
	s_mov_b64 s[26:27], -1
                                        ; implicit-def: $vgpr12
; %bb.107:                              ;   in Loop: Header=BB131_104 Depth=2
	s_andn2_saveexec_b64 s[28:29], s[28:29]
	s_cbranch_execz .LBB131_111
; %bb.108:                              ;   in Loop: Header=BB131_104 Depth=2
	v_pk_mov_b32 v[14:15], s[20:21], s[20:21] op_sel:[0,1]
	ds_cmpst_rtn_b64 v[14:15], v12, v[14:15], v[4:5]
	s_mov_b64 s[34:35], -1
	s_waitcnt lgkmcnt(0)
	v_cmp_eq_u64_e32 vcc, s[20:21], v[14:15]
	s_and_saveexec_b64 s[30:31], vcc
	s_cbranch_execz .LBB131_110
; %bb.109:                              ;   in Loop: Header=BB131_104 Depth=2
	v_mad_u64_u32 v[14:15], s[34:35], v10, 24, v[12:13]
	ds_add_f32 v14, v13 offset:1040
	ds_add_f32 v14, v16 offset:1044
	s_xor_b64 s[34:35], exec, -1
.LBB131_110:                            ;   in Loop: Header=BB131_104 Depth=2
	s_or_b64 exec, exec, s[30:31]
	s_andn2_b64 s[26:27], s[26:27], exec
	s_and_b64 s[30:31], s[34:35], exec
	s_or_b64 s[26:27], s[26:27], s[30:31]
.LBB131_111:                            ;   in Loop: Header=BB131_104 Depth=2
	s_or_b64 exec, exec, s[28:29]
	s_and_b64 s[26:27], s[26:27], exec
                                        ; implicit-def: $vgpr12
.LBB131_112:                            ;   in Loop: Header=BB131_104 Depth=2
	s_andn2_saveexec_b64 s[24:25], s[24:25]
	s_cbranch_execz .LBB131_103
; %bb.113:                              ;   in Loop: Header=BB131_104 Depth=2
	v_mad_u64_u32 v[14:15], s[28:29], v10, 24, v[12:13]
	ds_add_f32 v14, v13 offset:1040
	ds_add_f32 v14, v16 offset:1044
	s_andn2_b64 s[26:27], s[26:27], exec
	s_branch .LBB131_103
.LBB131_114:                            ;   in Loop: Header=BB131_78 Depth=1
	s_or_b64 exec, exec, s[22:23]
	v_mul_f32_e64 v12, v9, -s59
	v_mul_f32_e32 v9, s58, v9
	v_fmac_f32_e32 v12, s58, v8
	v_fmac_f32_e32 v9, s59, v8
	s_mov_b64 s[22:23], 0
	s_branch .LBB131_116
.LBB131_115:                            ;   in Loop: Header=BB131_116 Depth=2
	s_or_b64 exec, exec, s[24:25]
	s_xor_b64 s[24:25], s[26:27], -1
	s_and_b64 s[24:25], exec, s[24:25]
	s_or_b64 s[22:23], s[24:25], s[22:23]
	s_andn2_b64 exec, exec, s[22:23]
	s_cbranch_execz .LBB131_77
.LBB131_116:                            ;   Parent Loop BB131_78 Depth=1
                                        ; =>  This Inner Loop Header: Depth=2
	v_lshl_add_u32 v8, v6, 3, 0
	ds_read_b64 v[10:11], v8
                                        ; implicit-def: $sgpr26_sgpr27
	s_waitcnt lgkmcnt(0)
	v_cmp_ne_u64_e32 vcc, v[10:11], v[4:5]
	s_and_saveexec_b64 s[24:25], vcc
	s_xor_b64 s[24:25], exec, s[24:25]
	s_cbranch_execz .LBB131_124
; %bb.117:                              ;   in Loop: Header=BB131_116 Depth=2
	v_cmp_ne_u64_e32 vcc, s[20:21], v[10:11]
                                        ; implicit-def: $sgpr26_sgpr27
	s_and_saveexec_b64 s[28:29], vcc
	s_xor_b64 s[28:29], exec, s[28:29]
; %bb.118:                              ;   in Loop: Header=BB131_116 Depth=2
	v_add_u32_e32 v6, 1, v6
	v_and_b32_e32 v6, 0x7f, v6
	s_mov_b64 s[26:27], -1
                                        ; implicit-def: $vgpr8
; %bb.119:                              ;   in Loop: Header=BB131_116 Depth=2
	s_andn2_saveexec_b64 s[28:29], s[28:29]
	s_cbranch_execz .LBB131_123
; %bb.120:                              ;   in Loop: Header=BB131_116 Depth=2
	v_pk_mov_b32 v[10:11], s[20:21], s[20:21] op_sel:[0,1]
	ds_cmpst_rtn_b64 v[10:11], v8, v[10:11], v[4:5]
	s_mov_b64 s[34:35], -1
	s_waitcnt lgkmcnt(0)
	v_cmp_eq_u64_e32 vcc, s[20:21], v[10:11]
	s_and_saveexec_b64 s[30:31], vcc
	s_cbranch_execz .LBB131_122
; %bb.121:                              ;   in Loop: Header=BB131_116 Depth=2
	v_mad_u64_u32 v[10:11], s[34:35], v6, 24, v[8:9]
	ds_add_f32 v10, v12 offset:1048
	ds_add_f32 v10, v9 offset:1052
	s_xor_b64 s[34:35], exec, -1
.LBB131_122:                            ;   in Loop: Header=BB131_116 Depth=2
	s_or_b64 exec, exec, s[30:31]
	s_andn2_b64 s[26:27], s[26:27], exec
	s_and_b64 s[30:31], s[34:35], exec
	s_or_b64 s[26:27], s[26:27], s[30:31]
.LBB131_123:                            ;   in Loop: Header=BB131_116 Depth=2
	s_or_b64 exec, exec, s[28:29]
	s_and_b64 s[26:27], s[26:27], exec
                                        ; implicit-def: $vgpr8
.LBB131_124:                            ;   in Loop: Header=BB131_116 Depth=2
	s_andn2_saveexec_b64 s[24:25], s[24:25]
	s_cbranch_execz .LBB131_115
; %bb.125:                              ;   in Loop: Header=BB131_116 Depth=2
	v_mad_u64_u32 v[10:11], s[28:29], v6, 24, v[8:9]
	ds_add_f32 v10, v12 offset:1048
	ds_add_f32 v10, v9 offset:1052
	s_andn2_b64 s[26:27], s[26:27], exec
	s_branch .LBB131_115
.LBB131_126:
	s_or_b64 exec, exec, s[16:17]
.LBB131_127:
	s_waitcnt lgkmcnt(0)
	s_barrier
	s_and_saveexec_b64 s[4:5], s[0:1]
	s_cbranch_execz .LBB131_132
; %bb.128:
	ds_read_b64 v[2:3], v1
	s_mov_b32 s0, 0
	s_waitcnt lgkmcnt(0)
	v_cmp_gt_i64_e32 vcc, s[20:21], v[2:3]
	s_and_b64 exec, exec, vcc
	s_cbranch_execz .LBB131_132
; %bb.129:
	s_lshl_b64 s[4:5], s[6:7], 3
	s_add_u32 s4, s12, s4
	s_addc_u32 s5, s13, s5
	s_load_dwordx2 s[4:5], s[4:5], 0x0
	s_mov_b32 s1, s0
	s_waitcnt lgkmcnt(0)
	s_sub_u32 s4, s4, s38
	s_subb_u32 s5, s5, 0
	v_pk_mov_b32 v[4:5], s[4:5], s[4:5] op_sel:[0,1]
.LBB131_130:                            ; =>This Inner Loop Header: Depth=1
	s_add_i32 s4, s1, 0
	v_mov_b32_e32 v1, s4
	ds_read2_b64 v[6:9], v1 offset1:1
	ds_read2_b64 v[10:13], v1 offset0:2 offset1:3
	ds_read2_b64 v[14:17], v1 offset0:4 offset1:5
	;; [unrolled: 1-line block ×7, first 2 shown]
	s_waitcnt lgkmcnt(7)
	v_cmp_gt_i64_e32 vcc, v[2:3], v[6:7]
	v_cndmask_b32_e64 v1, 0, 1, vcc
	v_cmp_gt_i64_e32 vcc, v[2:3], v[8:9]
	v_cndmask_b32_e64 v6, 0, 1, vcc
	s_waitcnt lgkmcnt(6)
	v_cmp_gt_i64_e32 vcc, v[2:3], v[10:11]
	v_cndmask_b32_e64 v7, 0, 1, vcc
	v_cmp_gt_i64_e32 vcc, v[2:3], v[12:13]
	v_cndmask_b32_e64 v8, 0, 1, vcc
	;; [unrolled: 5-line block ×8, first 2 shown]
	v_add_co_u32_e32 v1, vcc, v4, v1
	v_addc_co_u32_e32 v4, vcc, 0, v5, vcc
	v_add_co_u32_e32 v1, vcc, v1, v6
	v_addc_co_u32_e32 v4, vcc, 0, v4, vcc
	;; [unrolled: 2-line block ×15, first 2 shown]
	s_addk_i32 s1, 0x80
	v_add_co_u32_e32 v4, vcc, v1, v20
	s_cmpk_lg_i32 s1, 0x400
	v_addc_co_u32_e32 v5, vcc, 0, v5, vcc
	s_cbranch_scc1 .LBB131_130
; %bb.131:
	v_mov_b32_e32 v1, s0
	v_add_co_u32_e32 v2, vcc, s38, v2
	v_addc_co_u32_e32 v3, vcc, v3, v1, vcc
	v_lshlrev_b64 v[6:7], 3, v[4:5]
	v_mov_b32_e32 v1, s15
	v_add_co_u32_e32 v6, vcc, s14, v6
	s_add_i32 s1, 0, 0x400
	v_addc_co_u32_e32 v7, vcc, v1, v7, vcc
	s_cmp_eq_u32 s33, 0
	global_store_dwordx2 v[6:7], v[2:3], off
	v_lshlrev_b32_e32 v3, 5, v0
	v_lshlrev_b32_e32 v2, 2, v0
	v_add_u32_e32 v6, s1, v3
	s_cselect_b32 s0, 1, 2
	s_cselect_b32 s1, 2, 1
	v_add_u32_e32 v0, 0, v3
	v_or_b32_e32 v3, s0, v2
	v_or_b32_e32 v2, s1, v2
	v_lshl_add_u32 v3, v3, 3, 0
	v_lshl_add_u32 v2, v2, 3, 0
	v_add_u32_e32 v0, 0x400, v0
	v_add_u32_e32 v3, 0x400, v3
	;; [unrolled: 1-line block ×3, first 2 shown]
	v_lshlrev_b64 v[8:9], 5, v[4:5]
	ds_read2_b32 v[0:1], v0 offset1:1
	ds_read2_b32 v[4:5], v2 offset1:1
	;; [unrolled: 1-line block ×3, first 2 shown]
	ds_read2_b32 v[6:7], v6 offset0:6 offset1:7
	v_mov_b32_e32 v10, s3
	v_add_co_u32_e32 v8, vcc, s2, v8
	v_addc_co_u32_e32 v9, vcc, v10, v9, vcc
	s_waitcnt lgkmcnt(1)
	global_store_dwordx4 v[8:9], v[0:3], off
	s_waitcnt lgkmcnt(0)
	global_store_dwordx4 v[8:9], v[4:7], off offset:16
.LBB131_132:
	s_endpgm
	.section	.rodata,"a",@progbits
	.p2align	6, 0x0
	.amdhsa_kernel _ZN9rocsparseL30bsrgemm_fill_block_per_row_2x2ILj256ELj16ELj128ELj137Ell21rocsparse_complex_numIfEEEv20rocsparse_direction_T4_S4_PKS4_S6_NS_24const_host_device_scalarIT5_EEPKT3_S6_PKS8_SC_S6_SE_S9_SC_S6_SE_SC_PS4_PS8_21rocsparse_index_base_SH_SH_SH_bbb
		.amdhsa_group_segment_fixed_size 0
		.amdhsa_private_segment_fixed_size 0
		.amdhsa_kernarg_size 172
		.amdhsa_user_sgpr_count 6
		.amdhsa_user_sgpr_private_segment_buffer 1
		.amdhsa_user_sgpr_dispatch_ptr 0
		.amdhsa_user_sgpr_queue_ptr 0
		.amdhsa_user_sgpr_kernarg_segment_ptr 1
		.amdhsa_user_sgpr_dispatch_id 0
		.amdhsa_user_sgpr_flat_scratch_init 0
		.amdhsa_user_sgpr_kernarg_preload_length 0
		.amdhsa_user_sgpr_kernarg_preload_offset 0
		.amdhsa_user_sgpr_private_segment_size 0
		.amdhsa_uses_dynamic_stack 0
		.amdhsa_system_sgpr_private_segment_wavefront_offset 0
		.amdhsa_system_sgpr_workgroup_id_x 1
		.amdhsa_system_sgpr_workgroup_id_y 0
		.amdhsa_system_sgpr_workgroup_id_z 0
		.amdhsa_system_sgpr_workgroup_info 0
		.amdhsa_system_vgpr_workitem_id 0
		.amdhsa_next_free_vgpr 40
		.amdhsa_next_free_sgpr 65
		.amdhsa_accum_offset 40
		.amdhsa_reserve_vcc 1
		.amdhsa_reserve_flat_scratch 0
		.amdhsa_float_round_mode_32 0
		.amdhsa_float_round_mode_16_64 0
		.amdhsa_float_denorm_mode_32 3
		.amdhsa_float_denorm_mode_16_64 3
		.amdhsa_dx10_clamp 1
		.amdhsa_ieee_mode 1
		.amdhsa_fp16_overflow 0
		.amdhsa_tg_split 0
		.amdhsa_exception_fp_ieee_invalid_op 0
		.amdhsa_exception_fp_denorm_src 0
		.amdhsa_exception_fp_ieee_div_zero 0
		.amdhsa_exception_fp_ieee_overflow 0
		.amdhsa_exception_fp_ieee_underflow 0
		.amdhsa_exception_fp_ieee_inexact 0
		.amdhsa_exception_int_div_zero 0
	.end_amdhsa_kernel
	.section	.text._ZN9rocsparseL30bsrgemm_fill_block_per_row_2x2ILj256ELj16ELj128ELj137Ell21rocsparse_complex_numIfEEEv20rocsparse_direction_T4_S4_PKS4_S6_NS_24const_host_device_scalarIT5_EEPKT3_S6_PKS8_SC_S6_SE_S9_SC_S6_SE_SC_PS4_PS8_21rocsparse_index_base_SH_SH_SH_bbb,"axG",@progbits,_ZN9rocsparseL30bsrgemm_fill_block_per_row_2x2ILj256ELj16ELj128ELj137Ell21rocsparse_complex_numIfEEEv20rocsparse_direction_T4_S4_PKS4_S6_NS_24const_host_device_scalarIT5_EEPKT3_S6_PKS8_SC_S6_SE_S9_SC_S6_SE_SC_PS4_PS8_21rocsparse_index_base_SH_SH_SH_bbb,comdat
.Lfunc_end131:
	.size	_ZN9rocsparseL30bsrgemm_fill_block_per_row_2x2ILj256ELj16ELj128ELj137Ell21rocsparse_complex_numIfEEEv20rocsparse_direction_T4_S4_PKS4_S6_NS_24const_host_device_scalarIT5_EEPKT3_S6_PKS8_SC_S6_SE_S9_SC_S6_SE_SC_PS4_PS8_21rocsparse_index_base_SH_SH_SH_bbb, .Lfunc_end131-_ZN9rocsparseL30bsrgemm_fill_block_per_row_2x2ILj256ELj16ELj128ELj137Ell21rocsparse_complex_numIfEEEv20rocsparse_direction_T4_S4_PKS4_S6_NS_24const_host_device_scalarIT5_EEPKT3_S6_PKS8_SC_S6_SE_S9_SC_S6_SE_SC_PS4_PS8_21rocsparse_index_base_SH_SH_SH_bbb
                                        ; -- End function
	.section	.AMDGPU.csdata,"",@progbits
; Kernel info:
; codeLenInByte = 4388
; NumSgprs: 69
; NumVgprs: 40
; NumAgprs: 0
; TotalNumVgprs: 40
; ScratchSize: 0
; MemoryBound: 0
; FloatMode: 240
; IeeeMode: 1
; LDSByteSize: 0 bytes/workgroup (compile time only)
; SGPRBlocks: 8
; VGPRBlocks: 4
; NumSGPRsForWavesPerEU: 69
; NumVGPRsForWavesPerEU: 40
; AccumOffset: 40
; Occupancy: 8
; WaveLimiterHint : 1
; COMPUTE_PGM_RSRC2:SCRATCH_EN: 0
; COMPUTE_PGM_RSRC2:USER_SGPR: 6
; COMPUTE_PGM_RSRC2:TRAP_HANDLER: 0
; COMPUTE_PGM_RSRC2:TGID_X_EN: 1
; COMPUTE_PGM_RSRC2:TGID_Y_EN: 0
; COMPUTE_PGM_RSRC2:TGID_Z_EN: 0
; COMPUTE_PGM_RSRC2:TIDIG_COMP_CNT: 0
; COMPUTE_PGM_RSRC3_GFX90A:ACCUM_OFFSET: 9
; COMPUTE_PGM_RSRC3_GFX90A:TG_SPLIT: 0
	.section	.text._ZN9rocsparseL30bsrgemm_fill_block_per_row_2x2ILj256ELj16ELj256ELj137Ell21rocsparse_complex_numIfEEEv20rocsparse_direction_T4_S4_PKS4_S6_NS_24const_host_device_scalarIT5_EEPKT3_S6_PKS8_SC_S6_SE_S9_SC_S6_SE_SC_PS4_PS8_21rocsparse_index_base_SH_SH_SH_bbb,"axG",@progbits,_ZN9rocsparseL30bsrgemm_fill_block_per_row_2x2ILj256ELj16ELj256ELj137Ell21rocsparse_complex_numIfEEEv20rocsparse_direction_T4_S4_PKS4_S6_NS_24const_host_device_scalarIT5_EEPKT3_S6_PKS8_SC_S6_SE_S9_SC_S6_SE_SC_PS4_PS8_21rocsparse_index_base_SH_SH_SH_bbb,comdat
	.globl	_ZN9rocsparseL30bsrgemm_fill_block_per_row_2x2ILj256ELj16ELj256ELj137Ell21rocsparse_complex_numIfEEEv20rocsparse_direction_T4_S4_PKS4_S6_NS_24const_host_device_scalarIT5_EEPKT3_S6_PKS8_SC_S6_SE_S9_SC_S6_SE_SC_PS4_PS8_21rocsparse_index_base_SH_SH_SH_bbb ; -- Begin function _ZN9rocsparseL30bsrgemm_fill_block_per_row_2x2ILj256ELj16ELj256ELj137Ell21rocsparse_complex_numIfEEEv20rocsparse_direction_T4_S4_PKS4_S6_NS_24const_host_device_scalarIT5_EEPKT3_S6_PKS8_SC_S6_SE_S9_SC_S6_SE_SC_PS4_PS8_21rocsparse_index_base_SH_SH_SH_bbb
	.p2align	8
	.type	_ZN9rocsparseL30bsrgemm_fill_block_per_row_2x2ILj256ELj16ELj256ELj137Ell21rocsparse_complex_numIfEEEv20rocsparse_direction_T4_S4_PKS4_S6_NS_24const_host_device_scalarIT5_EEPKT3_S6_PKS8_SC_S6_SE_S9_SC_S6_SE_SC_PS4_PS8_21rocsparse_index_base_SH_SH_SH_bbb,@function
_ZN9rocsparseL30bsrgemm_fill_block_per_row_2x2ILj256ELj16ELj256ELj137Ell21rocsparse_complex_numIfEEEv20rocsparse_direction_T4_S4_PKS4_S6_NS_24const_host_device_scalarIT5_EEPKT3_S6_PKS8_SC_S6_SE_S9_SC_S6_SE_SC_PS4_PS8_21rocsparse_index_base_SH_SH_SH_bbb: ; @_ZN9rocsparseL30bsrgemm_fill_block_per_row_2x2ILj256ELj16ELj256ELj137Ell21rocsparse_complex_numIfEEEv20rocsparse_direction_T4_S4_PKS4_S6_NS_24const_host_device_scalarIT5_EEPKT3_S6_PKS8_SC_S6_SE_S9_SC_S6_SE_SC_PS4_PS8_21rocsparse_index_base_SH_SH_SH_bbb
; %bb.0:
	s_load_dwordx8 s[8:15], s[4:5], 0x70
	s_load_dwordx8 s[16:23], s[4:5], 0x50
	s_load_dword s7, s[4:5], 0xa8
	s_load_dwordx4 s[40:43], s[4:5], 0x18
	s_load_dwordx8 s[24:31], s[4:5], 0x30
	s_load_dwordx2 s[2:3], s[4:5], 0x90
	s_load_dwordx4 s[36:39], s[4:5], 0x98
	s_waitcnt lgkmcnt(0)
	s_bitcmp1_b32 s7, 0
	s_cselect_b64 s[46:47], -1, 0
	s_bitcmp1_b32 s7, 16
	s_cselect_b64 s[0:1], -1, 0
	s_xor_b64 s[0:1], s[0:1], -1
	v_cndmask_b32_e64 v1, 0, 1, s[0:1]
	s_mov_b32 s35, 0
	s_bitcmp0_b32 s7, 0
	v_cmp_ne_u32_e64 s[0:1], 1, v1
	s_mov_b32 s60, 0
	s_cbranch_scc1 .LBB132_5
; %bb.1:
	s_load_dwordx2 s[34:35], s[4:5], 0x28
	s_and_b64 vcc, exec, s[0:1]
	s_waitcnt lgkmcnt(0)
	s_mov_b32 s60, s34
	s_cbranch_vccnz .LBB132_3
; %bb.2:
	s_load_dword s60, s[34:35], 0x0
.LBB132_3:
	s_and_b64 vcc, exec, s[0:1]
	s_cbranch_vccnz .LBB132_5
; %bb.4:
	s_load_dword s35, s[34:35], 0x4
.LBB132_5:
	s_bitcmp1_b32 s7, 8
	s_cselect_b64 s[44:45], -1, 0
	s_bfe_u32 s7, s7, 0x10008
	s_mov_b32 s59, 0
	s_cmp_eq_u32 s7, 0
	s_mov_b32 s58, 0
	s_cbranch_scc1 .LBB132_11
; %bb.6:
	s_and_b64 vcc, exec, s[0:1]
	s_mov_b32 s58, s20
	s_cbranch_vccnz .LBB132_8
; %bb.7:
	s_load_dword s58, s[20:21], 0x0
.LBB132_8:
	s_and_b64 vcc, exec, s[0:1]
	s_cbranch_vccnz .LBB132_10
; %bb.9:
	s_load_dword s21, s[20:21], 0x4
.LBB132_10:
	s_waitcnt lgkmcnt(0)
	s_mov_b32 s59, s21
.LBB132_11:
	s_load_dwordx2 s[20:21], s[4:5], 0x10
	s_movk_i32 s0, 0x100
	v_cmp_gt_u32_e64 s[0:1], s0, v0
	v_lshl_add_u32 v1, v0, 3, 0
	s_and_saveexec_b64 s[48:49], s[0:1]
	s_cbranch_execz .LBB132_13
; %bb.12:
	s_waitcnt lgkmcnt(0)
	v_pk_mov_b32 v[2:3], s[20:21], s[20:21] op_sel:[0,1]
	ds_write_b64 v1, v[2:3]
.LBB132_13:
	s_or_b64 exec, exec, s[48:49]
	v_add_u32_e32 v2, 0x800, v1
	v_or_b32_e32 v3, 0xffffff00, v0
	s_mov_b64 s[48:49], 0
	v_mov_b32_e32 v4, 0
	s_movk_i32 s7, 0x2ff
.LBB132_14:                             ; =>This Inner Loop Header: Depth=1
	v_add_u32_e32 v3, 0x100, v3
	v_cmp_lt_u32_e32 vcc, s7, v3
	ds_write2_b32 v2, v4, v4 offset1:1
	s_or_b64 s[48:49], vcc, s[48:49]
	v_add_u32_e32 v2, 0x800, v2
	s_andn2_b64 exec, exec, s[48:49]
	s_cbranch_execnz .LBB132_14
; %bb.15:
	s_or_b64 exec, exec, s[48:49]
	s_cmp_lg_u64 s[42:43], 0
	s_mov_b32 s7, 0
	s_waitcnt lgkmcnt(0)
	s_barrier
	s_cbranch_scc0 .LBB132_17
; %bb.16:
	s_load_dwordx2 s[40:41], s[40:41], 0x0
	s_waitcnt lgkmcnt(0)
	s_lshl_b64 s[40:41], s[40:41], 3
	s_add_u32 s33, s42, s40
	s_addc_u32 s34, s43, s41
	s_lshl_b64 s[6:7], s[6:7], 3
	s_add_u32 s6, s33, s6
	s_addc_u32 s7, s34, s7
	s_load_dwordx2 s[6:7], s[6:7], 0x0
.LBB132_17:
	s_nop 0
	s_load_dword s33, s[4:5], 0x0
	s_andn2_b64 vcc, exec, s[46:47]
	s_cbranch_vccnz .LBB132_73
; %bb.18:
	s_waitcnt lgkmcnt(0)
	s_lshl_b64 s[4:5], s[6:7], 3
	s_add_u32 s4, s24, s4
	s_addc_u32 s5, s25, s5
	s_load_dwordx4 s[48:51], s[4:5], 0x0
	v_lshrrev_b32_e32 v2, 4, v0
	v_subrev_co_u32_e32 v2, vcc, s36, v2
	v_subb_co_u32_e64 v3, s[24:25], 0, 0, vcc
	s_waitcnt lgkmcnt(0)
	s_sub_u32 s4, s50, s36
	v_mov_b32_e32 v4, s49
	v_add_co_u32_e32 v2, vcc, s48, v2
	s_subb_u32 s5, s51, 0
	v_addc_co_u32_e32 v3, vcc, v4, v3, vcc
	s_mov_b32 s40, 0
	v_cmp_gt_i64_e32 vcc, s[4:5], v[2:3]
	s_and_saveexec_b64 s[24:25], vcc
	s_cbranch_execz .LBB132_72
; %bb.19:
	v_and_b32_e32 v4, 15, v0
	v_subrev_co_u32_e32 v11, vcc, s37, v4
	s_mov_b32 s34, s36
	s_cmp_eq_u32 s33, 0
	s_mov_b32 s61, s37
	v_subb_co_u32_e64 v23, s[36:37], 0, 0, vcc
	s_mov_b32 s62, s40
	s_cselect_b32 s63, 2, 1
	s_cselect_b32 s64, 1, 2
	s_mov_b64 s[36:37], 0
	v_mov_b32_e32 v26, s27
	v_mov_b32_e32 v27, s40
	;; [unrolled: 1-line block ×4, first 2 shown]
	s_movk_i32 s27, 0x89
	s_branch .LBB132_21
.LBB132_20:                             ;   in Loop: Header=BB132_21 Depth=1
	s_or_b64 exec, exec, s[40:41]
	v_add_co_u32_e32 v2, vcc, 16, v2
	v_addc_co_u32_e32 v3, vcc, 0, v3, vcc
	v_cmp_le_i64_e32 vcc, s[4:5], v[2:3]
	s_or_b64 s[36:37], vcc, s[36:37]
	s_andn2_b64 exec, exec, s[36:37]
	s_cbranch_execz .LBB132_72
.LBB132_21:                             ; =>This Loop Header: Depth=1
                                        ;     Child Loop BB132_24 Depth 2
                                        ;       Child Loop BB132_26 Depth 3
                                        ;       Child Loop BB132_38 Depth 3
	;; [unrolled: 1-line block ×4, first 2 shown]
	v_lshlrev_b64 v[4:5], 3, v[2:3]
	v_add_co_u32_e32 v4, vcc, s26, v4
	v_addc_co_u32_e32 v5, vcc, v26, v5, vcc
	global_load_dwordx2 v[4:5], v[4:5], off
	s_waitcnt vmcnt(0)
	v_subrev_co_u32_e32 v4, vcc, s34, v4
	v_subb_co_u32_e32 v5, vcc, v5, v27, vcc
	v_lshlrev_b64 v[4:5], 3, v[4:5]
	v_add_co_u32_e32 v4, vcc, s30, v4
	v_addc_co_u32_e32 v5, vcc, v28, v5, vcc
	global_load_dwordx4 v[6:9], v[4:5], off
	s_waitcnt vmcnt(0)
	v_subrev_co_u32_e32 v4, vcc, s61, v8
	v_subb_co_u32_e32 v5, vcc, v9, v29, vcc
	v_add_co_u32_e32 v6, vcc, v6, v11
	v_addc_co_u32_e32 v7, vcc, v7, v23, vcc
	v_cmp_lt_i64_e32 vcc, v[6:7], v[4:5]
	s_and_saveexec_b64 s[40:41], vcc
	s_cbranch_execz .LBB132_20
; %bb.22:                               ;   in Loop: Header=BB132_21 Depth=1
	v_lshlrev_b64 v[8:9], 2, v[2:3]
	v_lshlrev_b64 v[12:13], 5, v[2:3]
	v_mov_b32_e32 v10, s29
	v_add_co_u32_e32 v12, vcc, s28, v12
	v_or_b32_e32 v17, 0, v9
	v_or_b32_e32 v16, s63, v8
	v_addc_co_u32_e32 v13, vcc, v10, v13, vcc
	v_lshlrev_b64 v[16:17], 3, v[16:17]
	v_add_co_u32_e32 v16, vcc, s28, v16
	v_or_b32_e32 v9, 0, v9
	v_or_b32_e32 v8, s64, v8
	v_addc_co_u32_e32 v17, vcc, v10, v17, vcc
	v_lshlrev_b64 v[8:9], 3, v[8:9]
	v_add_co_u32_e32 v8, vcc, s28, v8
	v_addc_co_u32_e32 v9, vcc, v10, v9, vcc
	global_load_dwordx2 v[14:15], v[12:13], off
	s_nop 0
	global_load_dwordx2 v[16:17], v[16:17], off
	s_nop 0
	;; [unrolled: 2-line block ×3, first 2 shown]
	global_load_dwordx2 v[12:13], v[12:13], off offset:24
	s_mov_b64 s[42:43], 0
	s_waitcnt vmcnt(2)
	v_mul_f32_e64 v32, v17, -s35
	v_mul_f32_e64 v30, v15, -s35
	v_mul_f32_e32 v31, s60, v15
	v_mul_f32_e32 v33, s60, v17
	s_waitcnt vmcnt(0)
	v_mul_f32_e32 v34, s60, v13
	v_mul_f32_e64 v35, v13, -s35
	v_mul_f32_e32 v36, s60, v9
	v_mul_f32_e64 v37, v9, -s35
	v_fmac_f32_e32 v30, s60, v14
	v_fmac_f32_e32 v31, s35, v14
	;; [unrolled: 1-line block ×8, first 2 shown]
	s_branch .LBB132_24
.LBB132_23:                             ;   in Loop: Header=BB132_24 Depth=2
	s_or_b64 exec, exec, s[46:47]
	v_add_co_u32_e32 v6, vcc, 16, v6
	v_addc_co_u32_e32 v7, vcc, 0, v7, vcc
	v_cmp_ge_i64_e32 vcc, v[6:7], v[4:5]
	s_or_b64 s[42:43], vcc, s[42:43]
	s_andn2_b64 exec, exec, s[42:43]
	s_cbranch_execz .LBB132_20
.LBB132_24:                             ;   Parent Loop BB132_21 Depth=1
                                        ; =>  This Loop Header: Depth=2
                                        ;       Child Loop BB132_26 Depth 3
                                        ;       Child Loop BB132_38 Depth 3
	;; [unrolled: 1-line block ×4, first 2 shown]
	v_lshlrev_b64 v[8:9], 3, v[6:7]
	v_lshlrev_b64 v[12:13], 2, v[6:7]
	v_mov_b32_e32 v10, s17
	v_add_co_u32_e32 v8, vcc, s16, v8
	v_or_b32_e32 v15, 0, v13
	v_or_b32_e32 v14, s64, v12
	;; [unrolled: 1-line block ×4, first 2 shown]
	v_addc_co_u32_e32 v9, vcc, v10, v9, vcc
	v_lshlrev_b64 v[12:13], 3, v[12:13]
	v_mov_b32_e32 v10, s19
	v_add_co_u32_e32 v12, vcc, s18, v12
	v_lshlrev_b64 v[16:17], 5, v[6:7]
	v_addc_co_u32_e32 v13, vcc, v10, v13, vcc
	v_add_co_u32_e32 v20, vcc, s18, v16
	global_load_dwordx2 v[8:9], v[8:9], off
	v_addc_co_u32_e32 v21, vcc, v10, v17, vcc
	global_load_dwordx2 v[18:19], v[12:13], off
	global_load_dwordx2 v[16:17], v[20:21], off
	v_lshlrev_b64 v[12:13], 3, v[14:15]
	v_add_co_u32_e32 v12, vcc, s18, v12
	v_addc_co_u32_e32 v13, vcc, v10, v13, vcc
	global_load_dwordx2 v[12:13], v[12:13], off
	s_nop 0
	global_load_dwordx2 v[14:15], v[20:21], off offset:24
	v_mov_b32_e32 v10, s62
	s_mov_b64 s[46:47], 0
	s_waitcnt vmcnt(4)
	v_subrev_co_u32_e32 v8, vcc, s61, v8
	v_subb_co_u32_e32 v9, vcc, v9, v10, vcc
	s_waitcnt vmcnt(3)
	v_mul_f32_e64 v20, v19, -v36
	v_mul_f32_e32 v38, v37, v19
	v_mul_lo_u32 v10, v8, s27
	v_fmac_f32_e32 v20, v37, v18
	v_fmac_f32_e32 v38, v36, v18
	v_and_b32_e32 v10, 0xff, v10
	s_waitcnt vmcnt(2)
	v_fmac_f32_e32 v20, v30, v16
	v_fmac_f32_e32 v38, v31, v16
	v_fma_f32 v39, -v31, v17, v20
	v_fmac_f32_e32 v38, v30, v17
	v_pk_mov_b32 v[20:21], v[10:11], v[10:11] op_sel:[0,1]
	s_branch .LBB132_26
.LBB132_25:                             ;   in Loop: Header=BB132_26 Depth=3
	s_or_b64 exec, exec, s[48:49]
	s_xor_b64 s[48:49], s[50:51], -1
	s_and_b64 s[48:49], exec, s[48:49]
	s_or_b64 s[46:47], s[48:49], s[46:47]
	s_andn2_b64 exec, exec, s[46:47]
	s_cbranch_execz .LBB132_36
.LBB132_26:                             ;   Parent Loop BB132_21 Depth=1
                                        ;     Parent Loop BB132_24 Depth=2
                                        ; =>    This Inner Loop Header: Depth=3
	v_lshl_add_u32 v22, v20, 3, 0
	ds_read_b64 v[24:25], v22
                                        ; implicit-def: $sgpr50_sgpr51
	s_waitcnt lgkmcnt(0)
	v_cmp_ne_u64_e32 vcc, v[24:25], v[8:9]
	s_and_saveexec_b64 s[48:49], vcc
	s_xor_b64 s[48:49], exec, s[48:49]
	s_cbranch_execz .LBB132_34
; %bb.27:                               ;   in Loop: Header=BB132_26 Depth=3
	v_cmp_ne_u64_e32 vcc, s[20:21], v[24:25]
                                        ; implicit-def: $sgpr50_sgpr51
	s_and_saveexec_b64 s[52:53], vcc
	s_xor_b64 s[52:53], exec, s[52:53]
; %bb.28:                               ;   in Loop: Header=BB132_26 Depth=3
	v_add_u32_e32 v20, 1, v20
	v_and_b32_e32 v20, 0xff, v20
	s_mov_b64 s[50:51], -1
                                        ; implicit-def: $vgpr22
; %bb.29:                               ;   in Loop: Header=BB132_26 Depth=3
	s_andn2_saveexec_b64 s[52:53], s[52:53]
	s_cbranch_execz .LBB132_33
; %bb.30:                               ;   in Loop: Header=BB132_26 Depth=3
	v_pk_mov_b32 v[24:25], s[20:21], s[20:21] op_sel:[0,1]
	ds_cmpst_rtn_b64 v[24:25], v22, v[24:25], v[8:9]
	s_mov_b64 s[56:57], -1
	s_waitcnt lgkmcnt(0)
	v_cmp_eq_u64_e32 vcc, s[20:21], v[24:25]
	s_and_saveexec_b64 s[54:55], vcc
	s_cbranch_execz .LBB132_32
; %bb.31:                               ;   in Loop: Header=BB132_26 Depth=3
	v_mad_u64_u32 v[24:25], s[56:57], v20, 24, v[22:23]
	ds_add_f32 v24, v39 offset:2048
	ds_add_f32 v24, v38 offset:2052
	s_xor_b64 s[56:57], exec, -1
.LBB132_32:                             ;   in Loop: Header=BB132_26 Depth=3
	s_or_b64 exec, exec, s[54:55]
	s_andn2_b64 s[50:51], s[50:51], exec
	s_and_b64 s[54:55], s[56:57], exec
	s_or_b64 s[50:51], s[50:51], s[54:55]
.LBB132_33:                             ;   in Loop: Header=BB132_26 Depth=3
	s_or_b64 exec, exec, s[52:53]
	s_and_b64 s[50:51], s[50:51], exec
                                        ; implicit-def: $vgpr22
.LBB132_34:                             ;   in Loop: Header=BB132_26 Depth=3
	s_andn2_saveexec_b64 s[48:49], s[48:49]
	s_cbranch_execz .LBB132_25
; %bb.35:                               ;   in Loop: Header=BB132_26 Depth=3
	v_mad_u64_u32 v[24:25], s[52:53], v20, 24, v[22:23]
	ds_add_f32 v24, v39 offset:2048
	ds_add_f32 v24, v38 offset:2052
	s_andn2_b64 s[50:51], s[50:51], exec
	s_branch .LBB132_25
.LBB132_36:                             ;   in Loop: Header=BB132_24 Depth=2
	s_or_b64 exec, exec, s[46:47]
	s_waitcnt vmcnt(0)
	v_mul_f32_e64 v20, v15, -v36
	v_mul_f32_e32 v38, v37, v15
	v_fmac_f32_e32 v20, v37, v14
	v_fmac_f32_e32 v38, v36, v14
	;; [unrolled: 1-line block ×4, first 2 shown]
	v_fma_f32 v39, -v31, v13, v20
	v_fmac_f32_e32 v38, v30, v13
	s_mov_b64 s[46:47], 0
	v_pk_mov_b32 v[20:21], v[10:11], v[10:11] op_sel:[0,1]
	s_branch .LBB132_38
.LBB132_37:                             ;   in Loop: Header=BB132_38 Depth=3
	s_or_b64 exec, exec, s[48:49]
	s_xor_b64 s[48:49], s[50:51], -1
	s_and_b64 s[48:49], exec, s[48:49]
	s_or_b64 s[46:47], s[48:49], s[46:47]
	s_andn2_b64 exec, exec, s[46:47]
	s_cbranch_execz .LBB132_48
.LBB132_38:                             ;   Parent Loop BB132_21 Depth=1
                                        ;     Parent Loop BB132_24 Depth=2
                                        ; =>    This Inner Loop Header: Depth=3
	v_lshl_add_u32 v22, v20, 3, 0
	ds_read_b64 v[24:25], v22
                                        ; implicit-def: $sgpr50_sgpr51
	s_waitcnt lgkmcnt(0)
	v_cmp_ne_u64_e32 vcc, v[24:25], v[8:9]
	s_and_saveexec_b64 s[48:49], vcc
	s_xor_b64 s[48:49], exec, s[48:49]
	s_cbranch_execz .LBB132_46
; %bb.39:                               ;   in Loop: Header=BB132_38 Depth=3
	v_cmp_ne_u64_e32 vcc, s[20:21], v[24:25]
                                        ; implicit-def: $sgpr50_sgpr51
	s_and_saveexec_b64 s[52:53], vcc
	s_xor_b64 s[52:53], exec, s[52:53]
; %bb.40:                               ;   in Loop: Header=BB132_38 Depth=3
	v_add_u32_e32 v20, 1, v20
	v_and_b32_e32 v20, 0xff, v20
	s_mov_b64 s[50:51], -1
                                        ; implicit-def: $vgpr22
; %bb.41:                               ;   in Loop: Header=BB132_38 Depth=3
	s_andn2_saveexec_b64 s[52:53], s[52:53]
	s_cbranch_execz .LBB132_45
; %bb.42:                               ;   in Loop: Header=BB132_38 Depth=3
	v_pk_mov_b32 v[24:25], s[20:21], s[20:21] op_sel:[0,1]
	ds_cmpst_rtn_b64 v[24:25], v22, v[24:25], v[8:9]
	s_mov_b64 s[56:57], -1
	s_waitcnt lgkmcnt(0)
	v_cmp_eq_u64_e32 vcc, s[20:21], v[24:25]
	s_and_saveexec_b64 s[54:55], vcc
	s_cbranch_execz .LBB132_44
; %bb.43:                               ;   in Loop: Header=BB132_38 Depth=3
	v_mad_u64_u32 v[24:25], s[56:57], v20, 24, v[22:23]
	ds_add_f32 v24, v39 offset:2056
	ds_add_f32 v24, v38 offset:2060
	s_xor_b64 s[56:57], exec, -1
.LBB132_44:                             ;   in Loop: Header=BB132_38 Depth=3
	s_or_b64 exec, exec, s[54:55]
	s_andn2_b64 s[50:51], s[50:51], exec
	s_and_b64 s[54:55], s[56:57], exec
	s_or_b64 s[50:51], s[50:51], s[54:55]
.LBB132_45:                             ;   in Loop: Header=BB132_38 Depth=3
	s_or_b64 exec, exec, s[52:53]
	s_and_b64 s[50:51], s[50:51], exec
                                        ; implicit-def: $vgpr22
.LBB132_46:                             ;   in Loop: Header=BB132_38 Depth=3
	s_andn2_saveexec_b64 s[48:49], s[48:49]
	s_cbranch_execz .LBB132_37
; %bb.47:                               ;   in Loop: Header=BB132_38 Depth=3
	v_mad_u64_u32 v[24:25], s[52:53], v20, 24, v[22:23]
	ds_add_f32 v24, v39 offset:2056
	ds_add_f32 v24, v38 offset:2060
	s_andn2_b64 s[50:51], s[50:51], exec
	s_branch .LBB132_37
.LBB132_48:                             ;   in Loop: Header=BB132_24 Depth=2
	s_or_b64 exec, exec, s[46:47]
	v_mul_f32_e64 v20, v19, -v34
	v_mul_f32_e32 v19, v35, v19
	v_fmac_f32_e32 v20, v35, v18
	v_fmac_f32_e32 v19, v34, v18
	v_fmac_f32_e32 v20, v32, v16
	v_fmac_f32_e32 v19, v33, v16
	v_fma_f32 v22, -v33, v17, v20
	v_fmac_f32_e32 v19, v32, v17
	s_mov_b64 s[46:47], 0
	v_pk_mov_b32 v[16:17], v[10:11], v[10:11] op_sel:[0,1]
	s_branch .LBB132_50
.LBB132_49:                             ;   in Loop: Header=BB132_50 Depth=3
	s_or_b64 exec, exec, s[48:49]
	s_xor_b64 s[48:49], s[50:51], -1
	s_and_b64 s[48:49], exec, s[48:49]
	s_or_b64 s[46:47], s[48:49], s[46:47]
	s_andn2_b64 exec, exec, s[46:47]
	s_cbranch_execz .LBB132_60
.LBB132_50:                             ;   Parent Loop BB132_21 Depth=1
                                        ;     Parent Loop BB132_24 Depth=2
                                        ; =>    This Inner Loop Header: Depth=3
	v_lshl_add_u32 v18, v16, 3, 0
	ds_read_b64 v[20:21], v18
                                        ; implicit-def: $sgpr50_sgpr51
	s_waitcnt lgkmcnt(0)
	v_cmp_ne_u64_e32 vcc, v[20:21], v[8:9]
	s_and_saveexec_b64 s[48:49], vcc
	s_xor_b64 s[48:49], exec, s[48:49]
	s_cbranch_execz .LBB132_58
; %bb.51:                               ;   in Loop: Header=BB132_50 Depth=3
	v_cmp_ne_u64_e32 vcc, s[20:21], v[20:21]
                                        ; implicit-def: $sgpr50_sgpr51
	s_and_saveexec_b64 s[52:53], vcc
	s_xor_b64 s[52:53], exec, s[52:53]
; %bb.52:                               ;   in Loop: Header=BB132_50 Depth=3
	v_add_u32_e32 v16, 1, v16
	v_and_b32_e32 v16, 0xff, v16
	s_mov_b64 s[50:51], -1
                                        ; implicit-def: $vgpr18
; %bb.53:                               ;   in Loop: Header=BB132_50 Depth=3
	s_andn2_saveexec_b64 s[52:53], s[52:53]
	s_cbranch_execz .LBB132_57
; %bb.54:                               ;   in Loop: Header=BB132_50 Depth=3
	v_pk_mov_b32 v[20:21], s[20:21], s[20:21] op_sel:[0,1]
	ds_cmpst_rtn_b64 v[20:21], v18, v[20:21], v[8:9]
	s_mov_b64 s[56:57], -1
	s_waitcnt lgkmcnt(0)
	v_cmp_eq_u64_e32 vcc, s[20:21], v[20:21]
	s_and_saveexec_b64 s[54:55], vcc
	s_cbranch_execz .LBB132_56
; %bb.55:                               ;   in Loop: Header=BB132_50 Depth=3
	v_mad_u64_u32 v[20:21], s[56:57], v16, 24, v[18:19]
	ds_add_f32 v20, v22 offset:2064
	ds_add_f32 v20, v19 offset:2068
	s_xor_b64 s[56:57], exec, -1
.LBB132_56:                             ;   in Loop: Header=BB132_50 Depth=3
	s_or_b64 exec, exec, s[54:55]
	s_andn2_b64 s[50:51], s[50:51], exec
	s_and_b64 s[54:55], s[56:57], exec
	s_or_b64 s[50:51], s[50:51], s[54:55]
.LBB132_57:                             ;   in Loop: Header=BB132_50 Depth=3
	s_or_b64 exec, exec, s[52:53]
	s_and_b64 s[50:51], s[50:51], exec
                                        ; implicit-def: $vgpr18
.LBB132_58:                             ;   in Loop: Header=BB132_50 Depth=3
	s_andn2_saveexec_b64 s[48:49], s[48:49]
	s_cbranch_execz .LBB132_49
; %bb.59:                               ;   in Loop: Header=BB132_50 Depth=3
	v_mad_u64_u32 v[20:21], s[52:53], v16, 24, v[18:19]
	ds_add_f32 v20, v22 offset:2064
	ds_add_f32 v20, v19 offset:2068
	s_andn2_b64 s[50:51], s[50:51], exec
	s_branch .LBB132_49
.LBB132_60:                             ;   in Loop: Header=BB132_24 Depth=2
	s_or_b64 exec, exec, s[46:47]
	v_mul_f32_e64 v17, v15, -v34
	v_mul_f32_e32 v16, v35, v15
	v_fmac_f32_e32 v17, v35, v14
	v_fmac_f32_e32 v16, v34, v14
	;; [unrolled: 1-line block ×4, first 2 shown]
	v_fma_f32 v17, -v33, v13, v17
	v_fmac_f32_e32 v16, v32, v13
	s_mov_b64 s[46:47], 0
	s_branch .LBB132_62
.LBB132_61:                             ;   in Loop: Header=BB132_62 Depth=3
	s_or_b64 exec, exec, s[48:49]
	s_xor_b64 s[48:49], s[50:51], -1
	s_and_b64 s[48:49], exec, s[48:49]
	s_or_b64 s[46:47], s[48:49], s[46:47]
	s_andn2_b64 exec, exec, s[46:47]
	s_cbranch_execz .LBB132_23
.LBB132_62:                             ;   Parent Loop BB132_21 Depth=1
                                        ;     Parent Loop BB132_24 Depth=2
                                        ; =>    This Inner Loop Header: Depth=3
	v_lshl_add_u32 v12, v10, 3, 0
	ds_read_b64 v[14:15], v12
                                        ; implicit-def: $sgpr50_sgpr51
	s_waitcnt lgkmcnt(0)
	v_cmp_ne_u64_e32 vcc, v[14:15], v[8:9]
	s_and_saveexec_b64 s[48:49], vcc
	s_xor_b64 s[48:49], exec, s[48:49]
	s_cbranch_execz .LBB132_70
; %bb.63:                               ;   in Loop: Header=BB132_62 Depth=3
	v_cmp_ne_u64_e32 vcc, s[20:21], v[14:15]
                                        ; implicit-def: $sgpr50_sgpr51
	s_and_saveexec_b64 s[52:53], vcc
	s_xor_b64 s[52:53], exec, s[52:53]
; %bb.64:                               ;   in Loop: Header=BB132_62 Depth=3
	v_add_u32_e32 v10, 1, v10
	v_and_b32_e32 v10, 0xff, v10
	s_mov_b64 s[50:51], -1
                                        ; implicit-def: $vgpr12
; %bb.65:                               ;   in Loop: Header=BB132_62 Depth=3
	s_andn2_saveexec_b64 s[52:53], s[52:53]
	s_cbranch_execz .LBB132_69
; %bb.66:                               ;   in Loop: Header=BB132_62 Depth=3
	v_pk_mov_b32 v[14:15], s[20:21], s[20:21] op_sel:[0,1]
	ds_cmpst_rtn_b64 v[14:15], v12, v[14:15], v[8:9]
	s_mov_b64 s[56:57], -1
	s_waitcnt lgkmcnt(0)
	v_cmp_eq_u64_e32 vcc, s[20:21], v[14:15]
	s_and_saveexec_b64 s[54:55], vcc
	s_cbranch_execz .LBB132_68
; %bb.67:                               ;   in Loop: Header=BB132_62 Depth=3
	v_mad_u64_u32 v[12:13], s[56:57], v10, 24, v[12:13]
	ds_add_f32 v12, v17 offset:2072
	ds_add_f32 v12, v16 offset:2076
	s_xor_b64 s[56:57], exec, -1
.LBB132_68:                             ;   in Loop: Header=BB132_62 Depth=3
	s_or_b64 exec, exec, s[54:55]
	s_andn2_b64 s[50:51], s[50:51], exec
	s_and_b64 s[54:55], s[56:57], exec
	s_or_b64 s[50:51], s[50:51], s[54:55]
.LBB132_69:                             ;   in Loop: Header=BB132_62 Depth=3
	s_or_b64 exec, exec, s[52:53]
	s_and_b64 s[50:51], s[50:51], exec
                                        ; implicit-def: $vgpr12
.LBB132_70:                             ;   in Loop: Header=BB132_62 Depth=3
	s_andn2_saveexec_b64 s[48:49], s[48:49]
	s_cbranch_execz .LBB132_61
; %bb.71:                               ;   in Loop: Header=BB132_62 Depth=3
	v_mad_u64_u32 v[12:13], s[52:53], v10, 24, v[12:13]
	ds_add_f32 v12, v17 offset:2072
	ds_add_f32 v12, v16 offset:2076
	s_andn2_b64 s[50:51], s[50:51], exec
	s_branch .LBB132_61
.LBB132_72:
	s_or_b64 exec, exec, s[24:25]
.LBB132_73:
	s_andn2_b64 vcc, exec, s[44:45]
	s_waitcnt lgkmcnt(0)
	s_barrier
	s_cbranch_vccnz .LBB132_126
; %bb.74:
	s_lshl_b64 s[4:5], s[6:7], 3
	s_add_u32 s4, s22, s4
	s_addc_u32 s5, s23, s5
	s_load_dwordx4 s[16:19], s[4:5], 0x0
	v_subrev_co_u32_e32 v2, vcc, s39, v0
	s_mov_b32 s22, 0
	s_waitcnt lgkmcnt(0)
	s_sub_u32 s4, s18, s39
	s_subb_u32 s5, s19, 0
	v_subb_co_u32_e64 v3, s[18:19], 0, 0, vcc
	v_mov_b32_e32 v4, s17
	v_add_co_u32_e32 v2, vcc, s16, v2
	v_addc_co_u32_e32 v3, vcc, v4, v3, vcc
	v_cmp_gt_i64_e32 vcc, s[4:5], v[2:3]
	s_and_saveexec_b64 s[16:17], vcc
	s_cbranch_execz .LBB132_125
; %bb.75:
	s_cmp_eq_u32 s33, 0
	s_mov_b32 s36, s39
	s_cselect_b32 s37, 1, 2
	s_cselect_b32 s39, 2, 1
	s_mov_b64 s[18:19], 0
	v_mov_b32_e32 v7, s11
	v_mov_b32_e32 v20, s9
	;; [unrolled: 1-line block ×3, first 2 shown]
	s_movk_i32 s9, 0x89
	s_branch .LBB132_77
.LBB132_76:                             ;   in Loop: Header=BB132_77 Depth=1
	s_or_b64 exec, exec, s[22:23]
	v_add_co_u32_e32 v2, vcc, 0x100, v2
	v_addc_co_u32_e32 v3, vcc, 0, v3, vcc
	v_cmp_le_i64_e32 vcc, s[4:5], v[2:3]
	s_or_b64 s[18:19], vcc, s[18:19]
	s_andn2_b64 exec, exec, s[18:19]
	s_cbranch_execz .LBB132_125
.LBB132_77:                             ; =>This Loop Header: Depth=1
                                        ;     Child Loop BB132_79 Depth 2
                                        ;     Child Loop BB132_91 Depth 2
	;; [unrolled: 1-line block ×4, first 2 shown]
	v_lshlrev_b64 v[8:9], 5, v[2:3]
	v_lshlrev_b64 v[4:5], 2, v[2:3]
	v_add_co_u32_e32 v14, vcc, s10, v8
	v_addc_co_u32_e32 v15, vcc, v7, v9, vcc
	v_or_b32_e32 v9, 0, v5
	v_or_b32_e32 v8, s37, v4
	v_lshlrev_b64 v[8:9], 3, v[8:9]
	v_add_co_u32_e32 v16, vcc, s10, v8
	v_addc_co_u32_e32 v17, vcc, v7, v9, vcc
	v_lshlrev_b64 v[8:9], 3, v[2:3]
	v_add_co_u32_e32 v8, vcc, s8, v8
	v_addc_co_u32_e32 v9, vcc, v20, v9, vcc
	v_or_b32_e32 v5, 0, v5
	global_load_dwordx2 v[24:25], v[8:9], off
	v_or_b32_e32 v4, s39, v4
	v_lshlrev_b64 v[4:5], 3, v[4:5]
	global_load_dwordx2 v[18:19], v[14:15], off
	v_add_co_u32_e32 v4, vcc, s10, v4
	v_addc_co_u32_e32 v5, vcc, v7, v5, vcc
	global_load_dwordx2 v[8:9], v[14:15], off offset:24
	global_load_dwordx2 v[12:13], v[16:17], off
	global_load_dwordx2 v[10:11], v[4:5], off
	s_mov_b64 s[22:23], 0
	s_waitcnt vmcnt(4)
	v_subrev_co_u32_e32 v4, vcc, s36, v24
	v_mul_lo_u32 v6, v4, s9
	s_waitcnt vmcnt(3)
	v_mul_f32_e64 v17, v19, -s59
	v_mul_f32_e32 v22, s58, v19
	v_and_b32_e32 v6, 0xff, v6
	v_subb_co_u32_e32 v5, vcc, v25, v21, vcc
	v_fmac_f32_e32 v17, s58, v18
	v_fmac_f32_e32 v22, s59, v18
	v_pk_mov_b32 v[14:15], v[6:7], v[6:7] op_sel:[0,1]
	s_branch .LBB132_79
.LBB132_78:                             ;   in Loop: Header=BB132_79 Depth=2
	s_or_b64 exec, exec, s[24:25]
	s_xor_b64 s[24:25], s[26:27], -1
	s_and_b64 s[24:25], exec, s[24:25]
	s_or_b64 s[22:23], s[24:25], s[22:23]
	s_andn2_b64 exec, exec, s[22:23]
	s_cbranch_execz .LBB132_89
.LBB132_79:                             ;   Parent Loop BB132_77 Depth=1
                                        ; =>  This Inner Loop Header: Depth=2
	v_lshl_add_u32 v16, v14, 3, 0
	ds_read_b64 v[18:19], v16
                                        ; implicit-def: $sgpr26_sgpr27
	s_waitcnt lgkmcnt(0)
	v_cmp_ne_u64_e32 vcc, v[18:19], v[4:5]
	s_and_saveexec_b64 s[24:25], vcc
	s_xor_b64 s[24:25], exec, s[24:25]
	s_cbranch_execz .LBB132_87
; %bb.80:                               ;   in Loop: Header=BB132_79 Depth=2
	v_cmp_ne_u64_e32 vcc, s[20:21], v[18:19]
                                        ; implicit-def: $sgpr26_sgpr27
	s_and_saveexec_b64 s[28:29], vcc
	s_xor_b64 s[28:29], exec, s[28:29]
; %bb.81:                               ;   in Loop: Header=BB132_79 Depth=2
	v_add_u32_e32 v14, 1, v14
	v_and_b32_e32 v14, 0xff, v14
	s_mov_b64 s[26:27], -1
                                        ; implicit-def: $vgpr16
; %bb.82:                               ;   in Loop: Header=BB132_79 Depth=2
	s_andn2_saveexec_b64 s[28:29], s[28:29]
	s_cbranch_execz .LBB132_86
; %bb.83:                               ;   in Loop: Header=BB132_79 Depth=2
	v_pk_mov_b32 v[18:19], s[20:21], s[20:21] op_sel:[0,1]
	ds_cmpst_rtn_b64 v[18:19], v16, v[18:19], v[4:5]
	s_mov_b64 s[34:35], -1
	s_waitcnt lgkmcnt(0)
	v_cmp_eq_u64_e32 vcc, s[20:21], v[18:19]
	s_and_saveexec_b64 s[30:31], vcc
	s_cbranch_execz .LBB132_85
; %bb.84:                               ;   in Loop: Header=BB132_79 Depth=2
	v_mad_u64_u32 v[18:19], s[34:35], v14, 24, v[16:17]
	ds_add_f32 v18, v17 offset:2048
	ds_add_f32 v18, v22 offset:2052
	s_xor_b64 s[34:35], exec, -1
.LBB132_85:                             ;   in Loop: Header=BB132_79 Depth=2
	s_or_b64 exec, exec, s[30:31]
	s_andn2_b64 s[26:27], s[26:27], exec
	s_and_b64 s[30:31], s[34:35], exec
	s_or_b64 s[26:27], s[26:27], s[30:31]
.LBB132_86:                             ;   in Loop: Header=BB132_79 Depth=2
	s_or_b64 exec, exec, s[28:29]
	s_and_b64 s[26:27], s[26:27], exec
                                        ; implicit-def: $vgpr16
.LBB132_87:                             ;   in Loop: Header=BB132_79 Depth=2
	s_andn2_saveexec_b64 s[24:25], s[24:25]
	s_cbranch_execz .LBB132_78
; %bb.88:                               ;   in Loop: Header=BB132_79 Depth=2
	v_mad_u64_u32 v[18:19], s[28:29], v14, 24, v[16:17]
	ds_add_f32 v18, v17 offset:2048
	ds_add_f32 v18, v22 offset:2052
	s_andn2_b64 s[26:27], s[26:27], exec
	s_branch .LBB132_78
.LBB132_89:                             ;   in Loop: Header=BB132_77 Depth=1
	s_or_b64 exec, exec, s[22:23]
	s_waitcnt vmcnt(1)
	v_mul_f32_e64 v15, v13, -s59
	v_mul_f32_e32 v18, s58, v13
	v_fmac_f32_e32 v15, s58, v12
	v_fmac_f32_e32 v18, s59, v12
	s_mov_b64 s[22:23], 0
	v_pk_mov_b32 v[12:13], v[6:7], v[6:7] op_sel:[0,1]
	s_branch .LBB132_91
.LBB132_90:                             ;   in Loop: Header=BB132_91 Depth=2
	s_or_b64 exec, exec, s[24:25]
	s_xor_b64 s[24:25], s[26:27], -1
	s_and_b64 s[24:25], exec, s[24:25]
	s_or_b64 s[22:23], s[24:25], s[22:23]
	s_andn2_b64 exec, exec, s[22:23]
	s_cbranch_execz .LBB132_101
.LBB132_91:                             ;   Parent Loop BB132_77 Depth=1
                                        ; =>  This Inner Loop Header: Depth=2
	v_lshl_add_u32 v14, v12, 3, 0
	ds_read_b64 v[16:17], v14
                                        ; implicit-def: $sgpr26_sgpr27
	s_waitcnt lgkmcnt(0)
	v_cmp_ne_u64_e32 vcc, v[16:17], v[4:5]
	s_and_saveexec_b64 s[24:25], vcc
	s_xor_b64 s[24:25], exec, s[24:25]
	s_cbranch_execz .LBB132_99
; %bb.92:                               ;   in Loop: Header=BB132_91 Depth=2
	v_cmp_ne_u64_e32 vcc, s[20:21], v[16:17]
                                        ; implicit-def: $sgpr26_sgpr27
	s_and_saveexec_b64 s[28:29], vcc
	s_xor_b64 s[28:29], exec, s[28:29]
; %bb.93:                               ;   in Loop: Header=BB132_91 Depth=2
	v_add_u32_e32 v12, 1, v12
	v_and_b32_e32 v12, 0xff, v12
	s_mov_b64 s[26:27], -1
                                        ; implicit-def: $vgpr14
; %bb.94:                               ;   in Loop: Header=BB132_91 Depth=2
	s_andn2_saveexec_b64 s[28:29], s[28:29]
	s_cbranch_execz .LBB132_98
; %bb.95:                               ;   in Loop: Header=BB132_91 Depth=2
	v_pk_mov_b32 v[16:17], s[20:21], s[20:21] op_sel:[0,1]
	ds_cmpst_rtn_b64 v[16:17], v14, v[16:17], v[4:5]
	s_mov_b64 s[34:35], -1
	s_waitcnt lgkmcnt(0)
	v_cmp_eq_u64_e32 vcc, s[20:21], v[16:17]
	s_and_saveexec_b64 s[30:31], vcc
	s_cbranch_execz .LBB132_97
; %bb.96:                               ;   in Loop: Header=BB132_91 Depth=2
	v_mad_u64_u32 v[16:17], s[34:35], v12, 24, v[14:15]
	ds_add_f32 v16, v15 offset:2056
	ds_add_f32 v16, v18 offset:2060
	s_xor_b64 s[34:35], exec, -1
.LBB132_97:                             ;   in Loop: Header=BB132_91 Depth=2
	s_or_b64 exec, exec, s[30:31]
	s_andn2_b64 s[26:27], s[26:27], exec
	s_and_b64 s[30:31], s[34:35], exec
	s_or_b64 s[26:27], s[26:27], s[30:31]
.LBB132_98:                             ;   in Loop: Header=BB132_91 Depth=2
	s_or_b64 exec, exec, s[28:29]
	s_and_b64 s[26:27], s[26:27], exec
                                        ; implicit-def: $vgpr14
.LBB132_99:                             ;   in Loop: Header=BB132_91 Depth=2
	s_andn2_saveexec_b64 s[24:25], s[24:25]
	s_cbranch_execz .LBB132_90
; %bb.100:                              ;   in Loop: Header=BB132_91 Depth=2
	v_mad_u64_u32 v[16:17], s[28:29], v12, 24, v[14:15]
	ds_add_f32 v16, v15 offset:2056
	ds_add_f32 v16, v18 offset:2060
	s_andn2_b64 s[26:27], s[26:27], exec
	s_branch .LBB132_90
.LBB132_101:                            ;   in Loop: Header=BB132_77 Depth=1
	s_or_b64 exec, exec, s[22:23]
	s_waitcnt vmcnt(0)
	v_mul_f32_e64 v13, v11, -s59
	v_mul_f32_e32 v16, s58, v11
	v_fmac_f32_e32 v13, s58, v10
	v_fmac_f32_e32 v16, s59, v10
	s_mov_b64 s[22:23], 0
	v_pk_mov_b32 v[10:11], v[6:7], v[6:7] op_sel:[0,1]
	s_branch .LBB132_103
.LBB132_102:                            ;   in Loop: Header=BB132_103 Depth=2
	s_or_b64 exec, exec, s[24:25]
	s_xor_b64 s[24:25], s[26:27], -1
	s_and_b64 s[24:25], exec, s[24:25]
	s_or_b64 s[22:23], s[24:25], s[22:23]
	s_andn2_b64 exec, exec, s[22:23]
	s_cbranch_execz .LBB132_113
.LBB132_103:                            ;   Parent Loop BB132_77 Depth=1
                                        ; =>  This Inner Loop Header: Depth=2
	v_lshl_add_u32 v12, v10, 3, 0
	ds_read_b64 v[14:15], v12
                                        ; implicit-def: $sgpr26_sgpr27
	s_waitcnt lgkmcnt(0)
	v_cmp_ne_u64_e32 vcc, v[14:15], v[4:5]
	s_and_saveexec_b64 s[24:25], vcc
	s_xor_b64 s[24:25], exec, s[24:25]
	s_cbranch_execz .LBB132_111
; %bb.104:                              ;   in Loop: Header=BB132_103 Depth=2
	v_cmp_ne_u64_e32 vcc, s[20:21], v[14:15]
                                        ; implicit-def: $sgpr26_sgpr27
	s_and_saveexec_b64 s[28:29], vcc
	s_xor_b64 s[28:29], exec, s[28:29]
; %bb.105:                              ;   in Loop: Header=BB132_103 Depth=2
	v_add_u32_e32 v10, 1, v10
	v_and_b32_e32 v10, 0xff, v10
	s_mov_b64 s[26:27], -1
                                        ; implicit-def: $vgpr12
; %bb.106:                              ;   in Loop: Header=BB132_103 Depth=2
	s_andn2_saveexec_b64 s[28:29], s[28:29]
	s_cbranch_execz .LBB132_110
; %bb.107:                              ;   in Loop: Header=BB132_103 Depth=2
	v_pk_mov_b32 v[14:15], s[20:21], s[20:21] op_sel:[0,1]
	ds_cmpst_rtn_b64 v[14:15], v12, v[14:15], v[4:5]
	s_mov_b64 s[34:35], -1
	s_waitcnt lgkmcnt(0)
	v_cmp_eq_u64_e32 vcc, s[20:21], v[14:15]
	s_and_saveexec_b64 s[30:31], vcc
	s_cbranch_execz .LBB132_109
; %bb.108:                              ;   in Loop: Header=BB132_103 Depth=2
	v_mad_u64_u32 v[14:15], s[34:35], v10, 24, v[12:13]
	ds_add_f32 v14, v13 offset:2064
	ds_add_f32 v14, v16 offset:2068
	s_xor_b64 s[34:35], exec, -1
.LBB132_109:                            ;   in Loop: Header=BB132_103 Depth=2
	s_or_b64 exec, exec, s[30:31]
	s_andn2_b64 s[26:27], s[26:27], exec
	s_and_b64 s[30:31], s[34:35], exec
	s_or_b64 s[26:27], s[26:27], s[30:31]
.LBB132_110:                            ;   in Loop: Header=BB132_103 Depth=2
	s_or_b64 exec, exec, s[28:29]
	s_and_b64 s[26:27], s[26:27], exec
                                        ; implicit-def: $vgpr12
.LBB132_111:                            ;   in Loop: Header=BB132_103 Depth=2
	s_andn2_saveexec_b64 s[24:25], s[24:25]
	s_cbranch_execz .LBB132_102
; %bb.112:                              ;   in Loop: Header=BB132_103 Depth=2
	v_mad_u64_u32 v[14:15], s[28:29], v10, 24, v[12:13]
	ds_add_f32 v14, v13 offset:2064
	ds_add_f32 v14, v16 offset:2068
	s_andn2_b64 s[26:27], s[26:27], exec
	s_branch .LBB132_102
.LBB132_113:                            ;   in Loop: Header=BB132_77 Depth=1
	s_or_b64 exec, exec, s[22:23]
	v_mul_f32_e64 v12, v9, -s59
	v_mul_f32_e32 v9, s58, v9
	v_fmac_f32_e32 v12, s58, v8
	v_fmac_f32_e32 v9, s59, v8
	s_mov_b64 s[22:23], 0
	s_branch .LBB132_115
.LBB132_114:                            ;   in Loop: Header=BB132_115 Depth=2
	s_or_b64 exec, exec, s[24:25]
	s_xor_b64 s[24:25], s[26:27], -1
	s_and_b64 s[24:25], exec, s[24:25]
	s_or_b64 s[22:23], s[24:25], s[22:23]
	s_andn2_b64 exec, exec, s[22:23]
	s_cbranch_execz .LBB132_76
.LBB132_115:                            ;   Parent Loop BB132_77 Depth=1
                                        ; =>  This Inner Loop Header: Depth=2
	v_lshl_add_u32 v8, v6, 3, 0
	ds_read_b64 v[10:11], v8
                                        ; implicit-def: $sgpr26_sgpr27
	s_waitcnt lgkmcnt(0)
	v_cmp_ne_u64_e32 vcc, v[10:11], v[4:5]
	s_and_saveexec_b64 s[24:25], vcc
	s_xor_b64 s[24:25], exec, s[24:25]
	s_cbranch_execz .LBB132_123
; %bb.116:                              ;   in Loop: Header=BB132_115 Depth=2
	v_cmp_ne_u64_e32 vcc, s[20:21], v[10:11]
                                        ; implicit-def: $sgpr26_sgpr27
	s_and_saveexec_b64 s[28:29], vcc
	s_xor_b64 s[28:29], exec, s[28:29]
; %bb.117:                              ;   in Loop: Header=BB132_115 Depth=2
	v_add_u32_e32 v6, 1, v6
	v_and_b32_e32 v6, 0xff, v6
	s_mov_b64 s[26:27], -1
                                        ; implicit-def: $vgpr8
; %bb.118:                              ;   in Loop: Header=BB132_115 Depth=2
	s_andn2_saveexec_b64 s[28:29], s[28:29]
	s_cbranch_execz .LBB132_122
; %bb.119:                              ;   in Loop: Header=BB132_115 Depth=2
	v_pk_mov_b32 v[10:11], s[20:21], s[20:21] op_sel:[0,1]
	ds_cmpst_rtn_b64 v[10:11], v8, v[10:11], v[4:5]
	s_mov_b64 s[34:35], -1
	s_waitcnt lgkmcnt(0)
	v_cmp_eq_u64_e32 vcc, s[20:21], v[10:11]
	s_and_saveexec_b64 s[30:31], vcc
	s_cbranch_execz .LBB132_121
; %bb.120:                              ;   in Loop: Header=BB132_115 Depth=2
	v_mad_u64_u32 v[10:11], s[34:35], v6, 24, v[8:9]
	ds_add_f32 v10, v12 offset:2072
	ds_add_f32 v10, v9 offset:2076
	s_xor_b64 s[34:35], exec, -1
.LBB132_121:                            ;   in Loop: Header=BB132_115 Depth=2
	s_or_b64 exec, exec, s[30:31]
	s_andn2_b64 s[26:27], s[26:27], exec
	s_and_b64 s[30:31], s[34:35], exec
	s_or_b64 s[26:27], s[26:27], s[30:31]
.LBB132_122:                            ;   in Loop: Header=BB132_115 Depth=2
	s_or_b64 exec, exec, s[28:29]
	s_and_b64 s[26:27], s[26:27], exec
                                        ; implicit-def: $vgpr8
.LBB132_123:                            ;   in Loop: Header=BB132_115 Depth=2
	s_andn2_saveexec_b64 s[24:25], s[24:25]
	s_cbranch_execz .LBB132_114
; %bb.124:                              ;   in Loop: Header=BB132_115 Depth=2
	v_mad_u64_u32 v[10:11], s[28:29], v6, 24, v[8:9]
	ds_add_f32 v10, v12 offset:2072
	ds_add_f32 v10, v9 offset:2076
	s_andn2_b64 s[26:27], s[26:27], exec
	s_branch .LBB132_114
.LBB132_125:
	s_or_b64 exec, exec, s[16:17]
.LBB132_126:
	s_waitcnt lgkmcnt(0)
	s_barrier
	s_and_saveexec_b64 s[4:5], s[0:1]
	s_cbranch_execz .LBB132_131
; %bb.127:
	ds_read_b64 v[2:3], v1
	s_mov_b32 s0, 0
	s_waitcnt lgkmcnt(0)
	v_cmp_gt_i64_e32 vcc, s[20:21], v[2:3]
	s_and_b64 exec, exec, vcc
	s_cbranch_execz .LBB132_131
; %bb.128:
	s_lshl_b64 s[4:5], s[6:7], 3
	s_add_u32 s4, s12, s4
	s_addc_u32 s5, s13, s5
	s_load_dwordx2 s[4:5], s[4:5], 0x0
	s_mov_b32 s1, s0
	s_waitcnt lgkmcnt(0)
	s_sub_u32 s4, s4, s38
	s_subb_u32 s5, s5, 0
	v_pk_mov_b32 v[4:5], s[4:5], s[4:5] op_sel:[0,1]
.LBB132_129:                            ; =>This Inner Loop Header: Depth=1
	s_add_i32 s4, s1, 0
	v_mov_b32_e32 v1, s4
	ds_read2_b64 v[6:9], v1 offset1:1
	ds_read2_b64 v[10:13], v1 offset0:2 offset1:3
	ds_read2_b64 v[14:17], v1 offset0:4 offset1:5
	;; [unrolled: 1-line block ×7, first 2 shown]
	s_waitcnt lgkmcnt(7)
	v_cmp_gt_i64_e32 vcc, v[2:3], v[6:7]
	v_cndmask_b32_e64 v1, 0, 1, vcc
	v_cmp_gt_i64_e32 vcc, v[2:3], v[8:9]
	v_cndmask_b32_e64 v6, 0, 1, vcc
	s_waitcnt lgkmcnt(6)
	v_cmp_gt_i64_e32 vcc, v[2:3], v[10:11]
	v_cndmask_b32_e64 v7, 0, 1, vcc
	v_cmp_gt_i64_e32 vcc, v[2:3], v[12:13]
	v_cndmask_b32_e64 v8, 0, 1, vcc
	;; [unrolled: 5-line block ×8, first 2 shown]
	v_add_co_u32_e32 v1, vcc, v4, v1
	v_addc_co_u32_e32 v4, vcc, 0, v5, vcc
	v_add_co_u32_e32 v1, vcc, v1, v6
	v_addc_co_u32_e32 v4, vcc, 0, v4, vcc
	;; [unrolled: 2-line block ×15, first 2 shown]
	s_addk_i32 s1, 0x80
	v_add_co_u32_e32 v4, vcc, v1, v20
	s_cmpk_lg_i32 s1, 0x800
	v_addc_co_u32_e32 v5, vcc, 0, v5, vcc
	s_cbranch_scc1 .LBB132_129
; %bb.130:
	v_mov_b32_e32 v1, s0
	v_add_co_u32_e32 v2, vcc, s38, v2
	v_addc_co_u32_e32 v3, vcc, v3, v1, vcc
	v_lshlrev_b64 v[6:7], 3, v[4:5]
	v_mov_b32_e32 v1, s15
	v_add_co_u32_e32 v6, vcc, s14, v6
	s_add_i32 s1, 0, 0x800
	v_addc_co_u32_e32 v7, vcc, v1, v7, vcc
	s_cmp_eq_u32 s33, 0
	global_store_dwordx2 v[6:7], v[2:3], off
	v_lshlrev_b32_e32 v3, 5, v0
	v_lshlrev_b32_e32 v2, 2, v0
	v_add_u32_e32 v6, s1, v3
	s_cselect_b32 s0, 1, 2
	s_cselect_b32 s1, 2, 1
	v_add_u32_e32 v0, 0, v3
	v_or_b32_e32 v3, s0, v2
	v_or_b32_e32 v2, s1, v2
	v_lshl_add_u32 v3, v3, 3, 0
	v_lshl_add_u32 v2, v2, 3, 0
	v_add_u32_e32 v0, 0x800, v0
	v_add_u32_e32 v3, 0x800, v3
	;; [unrolled: 1-line block ×3, first 2 shown]
	v_lshlrev_b64 v[8:9], 5, v[4:5]
	ds_read2_b32 v[0:1], v0 offset1:1
	ds_read2_b32 v[4:5], v2 offset1:1
	;; [unrolled: 1-line block ×3, first 2 shown]
	ds_read2_b32 v[6:7], v6 offset0:6 offset1:7
	v_mov_b32_e32 v10, s3
	v_add_co_u32_e32 v8, vcc, s2, v8
	v_addc_co_u32_e32 v9, vcc, v10, v9, vcc
	s_waitcnt lgkmcnt(1)
	global_store_dwordx4 v[8:9], v[0:3], off
	s_waitcnt lgkmcnt(0)
	global_store_dwordx4 v[8:9], v[4:7], off offset:16
.LBB132_131:
	s_endpgm
	.section	.rodata,"a",@progbits
	.p2align	6, 0x0
	.amdhsa_kernel _ZN9rocsparseL30bsrgemm_fill_block_per_row_2x2ILj256ELj16ELj256ELj137Ell21rocsparse_complex_numIfEEEv20rocsparse_direction_T4_S4_PKS4_S6_NS_24const_host_device_scalarIT5_EEPKT3_S6_PKS8_SC_S6_SE_S9_SC_S6_SE_SC_PS4_PS8_21rocsparse_index_base_SH_SH_SH_bbb
		.amdhsa_group_segment_fixed_size 0
		.amdhsa_private_segment_fixed_size 0
		.amdhsa_kernarg_size 172
		.amdhsa_user_sgpr_count 6
		.amdhsa_user_sgpr_private_segment_buffer 1
		.amdhsa_user_sgpr_dispatch_ptr 0
		.amdhsa_user_sgpr_queue_ptr 0
		.amdhsa_user_sgpr_kernarg_segment_ptr 1
		.amdhsa_user_sgpr_dispatch_id 0
		.amdhsa_user_sgpr_flat_scratch_init 0
		.amdhsa_user_sgpr_kernarg_preload_length 0
		.amdhsa_user_sgpr_kernarg_preload_offset 0
		.amdhsa_user_sgpr_private_segment_size 0
		.amdhsa_uses_dynamic_stack 0
		.amdhsa_system_sgpr_private_segment_wavefront_offset 0
		.amdhsa_system_sgpr_workgroup_id_x 1
		.amdhsa_system_sgpr_workgroup_id_y 0
		.amdhsa_system_sgpr_workgroup_id_z 0
		.amdhsa_system_sgpr_workgroup_info 0
		.amdhsa_system_vgpr_workitem_id 0
		.amdhsa_next_free_vgpr 40
		.amdhsa_next_free_sgpr 65
		.amdhsa_accum_offset 40
		.amdhsa_reserve_vcc 1
		.amdhsa_reserve_flat_scratch 0
		.amdhsa_float_round_mode_32 0
		.amdhsa_float_round_mode_16_64 0
		.amdhsa_float_denorm_mode_32 3
		.amdhsa_float_denorm_mode_16_64 3
		.amdhsa_dx10_clamp 1
		.amdhsa_ieee_mode 1
		.amdhsa_fp16_overflow 0
		.amdhsa_tg_split 0
		.amdhsa_exception_fp_ieee_invalid_op 0
		.amdhsa_exception_fp_denorm_src 0
		.amdhsa_exception_fp_ieee_div_zero 0
		.amdhsa_exception_fp_ieee_overflow 0
		.amdhsa_exception_fp_ieee_underflow 0
		.amdhsa_exception_fp_ieee_inexact 0
		.amdhsa_exception_int_div_zero 0
	.end_amdhsa_kernel
	.section	.text._ZN9rocsparseL30bsrgemm_fill_block_per_row_2x2ILj256ELj16ELj256ELj137Ell21rocsparse_complex_numIfEEEv20rocsparse_direction_T4_S4_PKS4_S6_NS_24const_host_device_scalarIT5_EEPKT3_S6_PKS8_SC_S6_SE_S9_SC_S6_SE_SC_PS4_PS8_21rocsparse_index_base_SH_SH_SH_bbb,"axG",@progbits,_ZN9rocsparseL30bsrgemm_fill_block_per_row_2x2ILj256ELj16ELj256ELj137Ell21rocsparse_complex_numIfEEEv20rocsparse_direction_T4_S4_PKS4_S6_NS_24const_host_device_scalarIT5_EEPKT3_S6_PKS8_SC_S6_SE_S9_SC_S6_SE_SC_PS4_PS8_21rocsparse_index_base_SH_SH_SH_bbb,comdat
.Lfunc_end132:
	.size	_ZN9rocsparseL30bsrgemm_fill_block_per_row_2x2ILj256ELj16ELj256ELj137Ell21rocsparse_complex_numIfEEEv20rocsparse_direction_T4_S4_PKS4_S6_NS_24const_host_device_scalarIT5_EEPKT3_S6_PKS8_SC_S6_SE_S9_SC_S6_SE_SC_PS4_PS8_21rocsparse_index_base_SH_SH_SH_bbb, .Lfunc_end132-_ZN9rocsparseL30bsrgemm_fill_block_per_row_2x2ILj256ELj16ELj256ELj137Ell21rocsparse_complex_numIfEEEv20rocsparse_direction_T4_S4_PKS4_S6_NS_24const_host_device_scalarIT5_EEPKT3_S6_PKS8_SC_S6_SE_S9_SC_S6_SE_SC_PS4_PS8_21rocsparse_index_base_SH_SH_SH_bbb
                                        ; -- End function
	.section	.AMDGPU.csdata,"",@progbits
; Kernel info:
; codeLenInByte = 4380
; NumSgprs: 69
; NumVgprs: 40
; NumAgprs: 0
; TotalNumVgprs: 40
; ScratchSize: 0
; MemoryBound: 0
; FloatMode: 240
; IeeeMode: 1
; LDSByteSize: 0 bytes/workgroup (compile time only)
; SGPRBlocks: 8
; VGPRBlocks: 4
; NumSGPRsForWavesPerEU: 69
; NumVGPRsForWavesPerEU: 40
; AccumOffset: 40
; Occupancy: 8
; WaveLimiterHint : 1
; COMPUTE_PGM_RSRC2:SCRATCH_EN: 0
; COMPUTE_PGM_RSRC2:USER_SGPR: 6
; COMPUTE_PGM_RSRC2:TRAP_HANDLER: 0
; COMPUTE_PGM_RSRC2:TGID_X_EN: 1
; COMPUTE_PGM_RSRC2:TGID_Y_EN: 0
; COMPUTE_PGM_RSRC2:TGID_Z_EN: 0
; COMPUTE_PGM_RSRC2:TIDIG_COMP_CNT: 0
; COMPUTE_PGM_RSRC3_GFX90A:ACCUM_OFFSET: 9
; COMPUTE_PGM_RSRC3_GFX90A:TG_SPLIT: 0
	.section	.text._ZN9rocsparseL30bsrgemm_fill_block_per_row_2x2ILj256ELj16ELj512ELj137Ell21rocsparse_complex_numIfEEEv20rocsparse_direction_T4_S4_PKS4_S6_NS_24const_host_device_scalarIT5_EEPKT3_S6_PKS8_SC_S6_SE_S9_SC_S6_SE_SC_PS4_PS8_21rocsparse_index_base_SH_SH_SH_bbb,"axG",@progbits,_ZN9rocsparseL30bsrgemm_fill_block_per_row_2x2ILj256ELj16ELj512ELj137Ell21rocsparse_complex_numIfEEEv20rocsparse_direction_T4_S4_PKS4_S6_NS_24const_host_device_scalarIT5_EEPKT3_S6_PKS8_SC_S6_SE_S9_SC_S6_SE_SC_PS4_PS8_21rocsparse_index_base_SH_SH_SH_bbb,comdat
	.globl	_ZN9rocsparseL30bsrgemm_fill_block_per_row_2x2ILj256ELj16ELj512ELj137Ell21rocsparse_complex_numIfEEEv20rocsparse_direction_T4_S4_PKS4_S6_NS_24const_host_device_scalarIT5_EEPKT3_S6_PKS8_SC_S6_SE_S9_SC_S6_SE_SC_PS4_PS8_21rocsparse_index_base_SH_SH_SH_bbb ; -- Begin function _ZN9rocsparseL30bsrgemm_fill_block_per_row_2x2ILj256ELj16ELj512ELj137Ell21rocsparse_complex_numIfEEEv20rocsparse_direction_T4_S4_PKS4_S6_NS_24const_host_device_scalarIT5_EEPKT3_S6_PKS8_SC_S6_SE_S9_SC_S6_SE_SC_PS4_PS8_21rocsparse_index_base_SH_SH_SH_bbb
	.p2align	8
	.type	_ZN9rocsparseL30bsrgemm_fill_block_per_row_2x2ILj256ELj16ELj512ELj137Ell21rocsparse_complex_numIfEEEv20rocsparse_direction_T4_S4_PKS4_S6_NS_24const_host_device_scalarIT5_EEPKT3_S6_PKS8_SC_S6_SE_S9_SC_S6_SE_SC_PS4_PS8_21rocsparse_index_base_SH_SH_SH_bbb,@function
_ZN9rocsparseL30bsrgemm_fill_block_per_row_2x2ILj256ELj16ELj512ELj137Ell21rocsparse_complex_numIfEEEv20rocsparse_direction_T4_S4_PKS4_S6_NS_24const_host_device_scalarIT5_EEPKT3_S6_PKS8_SC_S6_SE_S9_SC_S6_SE_SC_PS4_PS8_21rocsparse_index_base_SH_SH_SH_bbb: ; @_ZN9rocsparseL30bsrgemm_fill_block_per_row_2x2ILj256ELj16ELj512ELj137Ell21rocsparse_complex_numIfEEEv20rocsparse_direction_T4_S4_PKS4_S6_NS_24const_host_device_scalarIT5_EEPKT3_S6_PKS8_SC_S6_SE_S9_SC_S6_SE_SC_PS4_PS8_21rocsparse_index_base_SH_SH_SH_bbb
; %bb.0:
	s_load_dwordx8 s[8:15], s[4:5], 0x70
	s_load_dwordx8 s[16:23], s[4:5], 0x50
	s_load_dword s7, s[4:5], 0xa8
	s_load_dwordx4 s[40:43], s[4:5], 0x18
	s_load_dwordx8 s[24:31], s[4:5], 0x30
	s_load_dwordx2 s[2:3], s[4:5], 0x90
	s_load_dwordx4 s[36:39], s[4:5], 0x98
	s_waitcnt lgkmcnt(0)
	s_bitcmp1_b32 s7, 0
	s_cselect_b64 s[46:47], -1, 0
	s_bitcmp1_b32 s7, 16
	s_cselect_b64 s[0:1], -1, 0
	s_xor_b64 s[0:1], s[0:1], -1
	v_cndmask_b32_e64 v1, 0, 1, s[0:1]
	s_mov_b32 s35, 0
	s_bitcmp0_b32 s7, 0
	v_cmp_ne_u32_e64 s[0:1], 1, v1
	s_mov_b32 s60, 0
	s_cbranch_scc1 .LBB133_5
; %bb.1:
	s_load_dwordx2 s[34:35], s[4:5], 0x28
	s_and_b64 vcc, exec, s[0:1]
	s_waitcnt lgkmcnt(0)
	s_mov_b32 s60, s34
	s_cbranch_vccnz .LBB133_3
; %bb.2:
	s_load_dword s60, s[34:35], 0x0
.LBB133_3:
	s_and_b64 vcc, exec, s[0:1]
	s_cbranch_vccnz .LBB133_5
; %bb.4:
	s_load_dword s35, s[34:35], 0x4
.LBB133_5:
	s_bitcmp1_b32 s7, 8
	s_cselect_b64 s[44:45], -1, 0
	s_bfe_u32 s7, s7, 0x10008
	s_mov_b32 s58, 0
	s_cmp_eq_u32 s7, 0
	s_mov_b32 s33, 0
	s_cbranch_scc1 .LBB133_11
; %bb.6:
	s_and_b64 vcc, exec, s[0:1]
	s_mov_b32 s33, s20
	s_cbranch_vccnz .LBB133_8
; %bb.7:
	s_load_dword s33, s[20:21], 0x0
.LBB133_8:
	s_and_b64 vcc, exec, s[0:1]
	s_cbranch_vccnz .LBB133_10
; %bb.9:
	s_load_dword s21, s[20:21], 0x4
.LBB133_10:
	s_waitcnt lgkmcnt(0)
	s_mov_b32 s58, s21
.LBB133_11:
	s_load_dwordx2 s[20:21], s[4:5], 0x10
	s_movk_i32 s0, 0x200
	s_movk_i32 s7, 0x1ff
	v_cmp_gt_u32_e64 s[0:1], s0, v0
	v_cmp_lt_u32_e32 vcc, s7, v0
	v_lshlrev_b32_e32 v4, 3, v0
                                        ; implicit-def: $vgpr1
	s_and_saveexec_b64 s[48:49], vcc
	s_xor_b64 s[48:49], exec, s[48:49]
; %bb.12:
	v_lshlrev_b32_e32 v4, 3, v0
	v_or_b32_e32 v1, 0xffffff00, v0
; %bb.13:
	s_andn2_saveexec_b64 s[48:49], s[48:49]
	s_cbranch_execz .LBB133_17
; %bb.14:
	v_or_b32_e32 v1, 0xffffff00, v0
	v_add_u32_e32 v5, 0, v4
	s_mov_b64 s[50:51], 0
	s_waitcnt lgkmcnt(0)
	v_pk_mov_b32 v[2:3], s[20:21], s[20:21] op_sel:[0,1]
	v_mov_b32_e32 v6, v1
.LBB133_15:                             ; =>This Inner Loop Header: Depth=1
	v_add_co_u32_e32 v6, vcc, 0x100, v6
	s_xor_b64 s[52:53], vcc, -1
	s_and_b64 s[52:53], exec, s[52:53]
	ds_write_b64 v5, v[2:3]
	s_or_b64 s[50:51], s[52:53], s[50:51]
	v_add_u32_e32 v5, 0x800, v5
	s_andn2_b64 exec, exec, s[50:51]
	s_cbranch_execnz .LBB133_15
; %bb.16:
	s_or_b64 exec, exec, s[50:51]
.LBB133_17:
	s_or_b64 exec, exec, s[48:49]
	v_add_u32_e32 v2, 0, v4
	v_add_u32_e32 v2, 0x1000, v2
	s_mov_b64 s[48:49], 0
	v_mov_b32_e32 v3, 0
	s_movk_i32 s7, 0x6ff
.LBB133_18:                             ; =>This Inner Loop Header: Depth=1
	v_add_u32_e32 v1, 0x100, v1
	v_cmp_lt_u32_e32 vcc, s7, v1
	ds_write2_b32 v2, v3, v3 offset1:1
	s_or_b64 s[48:49], vcc, s[48:49]
	v_add_u32_e32 v2, 0x800, v2
	s_andn2_b64 exec, exec, s[48:49]
	s_cbranch_execnz .LBB133_18
; %bb.19:
	s_or_b64 exec, exec, s[48:49]
	s_cmp_lg_u64 s[42:43], 0
	s_mov_b32 s7, 0
	s_waitcnt lgkmcnt(0)
	s_barrier
	s_cbranch_scc0 .LBB133_21
; %bb.20:
	s_load_dwordx2 s[40:41], s[40:41], 0x0
	s_waitcnt lgkmcnt(0)
	s_lshl_b64 s[40:41], s[40:41], 3
	s_add_u32 s34, s42, s40
	s_addc_u32 s40, s43, s41
	s_lshl_b64 s[6:7], s[6:7], 3
	s_add_u32 s6, s34, s6
	s_addc_u32 s7, s40, s7
	s_load_dwordx2 s[6:7], s[6:7], 0x0
.LBB133_21:
	s_nop 0
	s_load_dword s59, s[4:5], 0x0
	s_andn2_b64 vcc, exec, s[46:47]
	s_cbranch_vccnz .LBB133_77
; %bb.22:
	s_waitcnt lgkmcnt(0)
	s_lshl_b64 s[4:5], s[6:7], 3
	s_add_u32 s4, s24, s4
	s_addc_u32 s5, s25, s5
	s_load_dwordx4 s[48:51], s[4:5], 0x0
	v_lshrrev_b32_e32 v1, 4, v0
	v_subrev_co_u32_e32 v1, vcc, s36, v1
	v_subb_co_u32_e64 v3, s[24:25], 0, 0, vcc
	s_waitcnt lgkmcnt(0)
	s_sub_u32 s4, s50, s36
	v_mov_b32_e32 v4, s49
	v_add_co_u32_e32 v2, vcc, s48, v1
	s_subb_u32 s5, s51, 0
	v_addc_co_u32_e32 v3, vcc, v4, v3, vcc
	s_mov_b32 s40, 0
	v_cmp_gt_i64_e32 vcc, s[4:5], v[2:3]
	s_and_saveexec_b64 s[24:25], vcc
	s_cbranch_execz .LBB133_76
; %bb.23:
	v_and_b32_e32 v1, 15, v0
	v_subrev_co_u32_e32 v1, vcc, s37, v1
	s_mov_b32 s34, s36
	s_cmp_eq_u32 s59, 0
	s_mov_b32 s61, s37
	v_subb_co_u32_e64 v11, s[36:37], 0, 0, vcc
	s_mov_b32 s62, s40
	s_cselect_b32 s63, 2, 1
	s_cselect_b32 s64, 1, 2
	s_mov_b64 s[36:37], 0
	v_mov_b32_e32 v23, s27
	v_mov_b32_e32 v26, s40
	;; [unrolled: 1-line block ×4, first 2 shown]
	s_movk_i32 s27, 0x89
	s_branch .LBB133_25
.LBB133_24:                             ;   in Loop: Header=BB133_25 Depth=1
	s_or_b64 exec, exec, s[40:41]
	v_add_co_u32_e32 v2, vcc, 16, v2
	v_addc_co_u32_e32 v3, vcc, 0, v3, vcc
	v_cmp_le_i64_e32 vcc, s[4:5], v[2:3]
	s_or_b64 s[36:37], vcc, s[36:37]
	s_andn2_b64 exec, exec, s[36:37]
	s_cbranch_execz .LBB133_76
.LBB133_25:                             ; =>This Loop Header: Depth=1
                                        ;     Child Loop BB133_28 Depth 2
                                        ;       Child Loop BB133_30 Depth 3
                                        ;       Child Loop BB133_42 Depth 3
	;; [unrolled: 1-line block ×4, first 2 shown]
	v_lshlrev_b64 v[4:5], 3, v[2:3]
	v_add_co_u32_e32 v4, vcc, s26, v4
	v_addc_co_u32_e32 v5, vcc, v23, v5, vcc
	global_load_dwordx2 v[4:5], v[4:5], off
	s_waitcnt vmcnt(0)
	v_subrev_co_u32_e32 v4, vcc, s34, v4
	v_subb_co_u32_e32 v5, vcc, v5, v26, vcc
	v_lshlrev_b64 v[4:5], 3, v[4:5]
	v_add_co_u32_e32 v4, vcc, s30, v4
	v_addc_co_u32_e32 v5, vcc, v27, v5, vcc
	global_load_dwordx4 v[6:9], v[4:5], off
	s_waitcnt vmcnt(0)
	v_subrev_co_u32_e32 v4, vcc, s61, v8
	v_subb_co_u32_e32 v5, vcc, v9, v28, vcc
	v_add_co_u32_e32 v6, vcc, v6, v1
	v_addc_co_u32_e32 v7, vcc, v7, v11, vcc
	v_cmp_lt_i64_e32 vcc, v[6:7], v[4:5]
	s_and_saveexec_b64 s[40:41], vcc
	s_cbranch_execz .LBB133_24
; %bb.26:                               ;   in Loop: Header=BB133_25 Depth=1
	v_lshlrev_b64 v[8:9], 2, v[2:3]
	v_lshlrev_b64 v[12:13], 5, v[2:3]
	v_mov_b32_e32 v10, s29
	v_add_co_u32_e32 v12, vcc, s28, v12
	v_or_b32_e32 v17, 0, v9
	v_or_b32_e32 v16, s63, v8
	v_addc_co_u32_e32 v13, vcc, v10, v13, vcc
	v_lshlrev_b64 v[16:17], 3, v[16:17]
	v_add_co_u32_e32 v16, vcc, s28, v16
	v_or_b32_e32 v9, 0, v9
	v_or_b32_e32 v8, s64, v8
	v_addc_co_u32_e32 v17, vcc, v10, v17, vcc
	v_lshlrev_b64 v[8:9], 3, v[8:9]
	v_add_co_u32_e32 v8, vcc, s28, v8
	v_addc_co_u32_e32 v9, vcc, v10, v9, vcc
	global_load_dwordx2 v[14:15], v[12:13], off
	s_nop 0
	global_load_dwordx2 v[16:17], v[16:17], off
	s_nop 0
	;; [unrolled: 2-line block ×3, first 2 shown]
	global_load_dwordx2 v[12:13], v[12:13], off offset:24
	s_mov_b64 s[42:43], 0
	s_waitcnt vmcnt(2)
	v_mul_f32_e64 v31, v17, -s35
	v_mul_f32_e64 v29, v15, -s35
	v_mul_f32_e32 v30, s60, v15
	v_mul_f32_e32 v32, s60, v17
	s_waitcnt vmcnt(0)
	v_mul_f32_e32 v33, s60, v13
	v_mul_f32_e64 v34, v13, -s35
	v_mul_f32_e32 v35, s60, v9
	v_mul_f32_e64 v36, v9, -s35
	v_fmac_f32_e32 v29, s60, v14
	v_fmac_f32_e32 v30, s35, v14
	;; [unrolled: 1-line block ×8, first 2 shown]
	s_branch .LBB133_28
.LBB133_27:                             ;   in Loop: Header=BB133_28 Depth=2
	s_or_b64 exec, exec, s[46:47]
	v_add_co_u32_e32 v6, vcc, 16, v6
	v_addc_co_u32_e32 v7, vcc, 0, v7, vcc
	v_cmp_ge_i64_e32 vcc, v[6:7], v[4:5]
	s_or_b64 s[42:43], vcc, s[42:43]
	s_andn2_b64 exec, exec, s[42:43]
	s_cbranch_execz .LBB133_24
.LBB133_28:                             ;   Parent Loop BB133_25 Depth=1
                                        ; =>  This Loop Header: Depth=2
                                        ;       Child Loop BB133_30 Depth 3
                                        ;       Child Loop BB133_42 Depth 3
	;; [unrolled: 1-line block ×4, first 2 shown]
	v_lshlrev_b64 v[8:9], 3, v[6:7]
	v_lshlrev_b64 v[12:13], 2, v[6:7]
	v_mov_b32_e32 v10, s17
	v_add_co_u32_e32 v8, vcc, s16, v8
	v_or_b32_e32 v15, 0, v13
	v_or_b32_e32 v14, s64, v12
	;; [unrolled: 1-line block ×4, first 2 shown]
	v_addc_co_u32_e32 v9, vcc, v10, v9, vcc
	v_lshlrev_b64 v[12:13], 3, v[12:13]
	v_mov_b32_e32 v10, s19
	v_add_co_u32_e32 v12, vcc, s18, v12
	v_lshlrev_b64 v[16:17], 5, v[6:7]
	v_addc_co_u32_e32 v13, vcc, v10, v13, vcc
	v_add_co_u32_e32 v20, vcc, s18, v16
	global_load_dwordx2 v[8:9], v[8:9], off
	v_addc_co_u32_e32 v21, vcc, v10, v17, vcc
	global_load_dwordx2 v[18:19], v[12:13], off
	global_load_dwordx2 v[16:17], v[20:21], off
	v_lshlrev_b64 v[12:13], 3, v[14:15]
	v_add_co_u32_e32 v12, vcc, s18, v12
	v_addc_co_u32_e32 v13, vcc, v10, v13, vcc
	global_load_dwordx2 v[12:13], v[12:13], off
	s_nop 0
	global_load_dwordx2 v[14:15], v[20:21], off offset:24
	v_mov_b32_e32 v10, s62
	s_mov_b64 s[46:47], 0
	s_waitcnt vmcnt(4)
	v_subrev_co_u32_e32 v8, vcc, s61, v8
	v_subb_co_u32_e32 v9, vcc, v9, v10, vcc
	s_waitcnt vmcnt(3)
	v_mul_f32_e64 v20, v19, -v35
	v_mul_f32_e32 v37, v36, v19
	v_mul_lo_u32 v10, v8, s27
	v_fmac_f32_e32 v20, v36, v18
	v_fmac_f32_e32 v37, v35, v18
	v_and_b32_e32 v10, 0x1ff, v10
	s_waitcnt vmcnt(2)
	v_fmac_f32_e32 v20, v29, v16
	v_fmac_f32_e32 v37, v30, v16
	v_fma_f32 v38, -v30, v17, v20
	v_fmac_f32_e32 v37, v29, v17
	v_pk_mov_b32 v[20:21], v[10:11], v[10:11] op_sel:[0,1]
	s_branch .LBB133_30
.LBB133_29:                             ;   in Loop: Header=BB133_30 Depth=3
	s_or_b64 exec, exec, s[48:49]
	s_xor_b64 s[48:49], s[50:51], -1
	s_and_b64 s[48:49], exec, s[48:49]
	s_or_b64 s[46:47], s[48:49], s[46:47]
	s_andn2_b64 exec, exec, s[46:47]
	s_cbranch_execz .LBB133_40
.LBB133_30:                             ;   Parent Loop BB133_25 Depth=1
                                        ;     Parent Loop BB133_28 Depth=2
                                        ; =>    This Inner Loop Header: Depth=3
	v_lshl_add_u32 v22, v20, 3, 0
	ds_read_b64 v[24:25], v22
                                        ; implicit-def: $sgpr50_sgpr51
	s_waitcnt lgkmcnt(0)
	v_cmp_ne_u64_e32 vcc, v[24:25], v[8:9]
	s_and_saveexec_b64 s[48:49], vcc
	s_xor_b64 s[48:49], exec, s[48:49]
	s_cbranch_execz .LBB133_38
; %bb.31:                               ;   in Loop: Header=BB133_30 Depth=3
	v_cmp_ne_u64_e32 vcc, s[20:21], v[24:25]
                                        ; implicit-def: $sgpr50_sgpr51
	s_and_saveexec_b64 s[52:53], vcc
	s_xor_b64 s[52:53], exec, s[52:53]
; %bb.32:                               ;   in Loop: Header=BB133_30 Depth=3
	v_add_u32_e32 v20, 1, v20
	v_and_b32_e32 v20, 0x1ff, v20
	s_mov_b64 s[50:51], -1
                                        ; implicit-def: $vgpr22
; %bb.33:                               ;   in Loop: Header=BB133_30 Depth=3
	s_andn2_saveexec_b64 s[52:53], s[52:53]
	s_cbranch_execz .LBB133_37
; %bb.34:                               ;   in Loop: Header=BB133_30 Depth=3
	v_pk_mov_b32 v[24:25], s[20:21], s[20:21] op_sel:[0,1]
	ds_cmpst_rtn_b64 v[24:25], v22, v[24:25], v[8:9]
	s_mov_b64 s[56:57], -1
	s_waitcnt lgkmcnt(0)
	v_cmp_eq_u64_e32 vcc, s[20:21], v[24:25]
	s_and_saveexec_b64 s[54:55], vcc
	s_cbranch_execz .LBB133_36
; %bb.35:                               ;   in Loop: Header=BB133_30 Depth=3
	v_mad_u64_u32 v[24:25], s[56:57], v20, 24, v[22:23]
	ds_add_f32 v24, v38 offset:4096
	ds_add_f32 v24, v37 offset:4100
	s_xor_b64 s[56:57], exec, -1
.LBB133_36:                             ;   in Loop: Header=BB133_30 Depth=3
	s_or_b64 exec, exec, s[54:55]
	s_andn2_b64 s[50:51], s[50:51], exec
	s_and_b64 s[54:55], s[56:57], exec
	s_or_b64 s[50:51], s[50:51], s[54:55]
.LBB133_37:                             ;   in Loop: Header=BB133_30 Depth=3
	s_or_b64 exec, exec, s[52:53]
	s_and_b64 s[50:51], s[50:51], exec
                                        ; implicit-def: $vgpr22
.LBB133_38:                             ;   in Loop: Header=BB133_30 Depth=3
	s_andn2_saveexec_b64 s[48:49], s[48:49]
	s_cbranch_execz .LBB133_29
; %bb.39:                               ;   in Loop: Header=BB133_30 Depth=3
	v_mad_u64_u32 v[24:25], s[52:53], v20, 24, v[22:23]
	ds_add_f32 v24, v38 offset:4096
	ds_add_f32 v24, v37 offset:4100
	s_andn2_b64 s[50:51], s[50:51], exec
	s_branch .LBB133_29
.LBB133_40:                             ;   in Loop: Header=BB133_28 Depth=2
	s_or_b64 exec, exec, s[46:47]
	s_waitcnt vmcnt(0)
	v_mul_f32_e64 v20, v15, -v35
	v_mul_f32_e32 v37, v36, v15
	v_fmac_f32_e32 v20, v36, v14
	v_fmac_f32_e32 v37, v35, v14
	;; [unrolled: 1-line block ×4, first 2 shown]
	v_fma_f32 v38, -v30, v13, v20
	v_fmac_f32_e32 v37, v29, v13
	s_mov_b64 s[46:47], 0
	v_pk_mov_b32 v[20:21], v[10:11], v[10:11] op_sel:[0,1]
	s_branch .LBB133_42
.LBB133_41:                             ;   in Loop: Header=BB133_42 Depth=3
	s_or_b64 exec, exec, s[48:49]
	s_xor_b64 s[48:49], s[50:51], -1
	s_and_b64 s[48:49], exec, s[48:49]
	s_or_b64 s[46:47], s[48:49], s[46:47]
	s_andn2_b64 exec, exec, s[46:47]
	s_cbranch_execz .LBB133_52
.LBB133_42:                             ;   Parent Loop BB133_25 Depth=1
                                        ;     Parent Loop BB133_28 Depth=2
                                        ; =>    This Inner Loop Header: Depth=3
	v_lshl_add_u32 v22, v20, 3, 0
	ds_read_b64 v[24:25], v22
                                        ; implicit-def: $sgpr50_sgpr51
	s_waitcnt lgkmcnt(0)
	v_cmp_ne_u64_e32 vcc, v[24:25], v[8:9]
	s_and_saveexec_b64 s[48:49], vcc
	s_xor_b64 s[48:49], exec, s[48:49]
	s_cbranch_execz .LBB133_50
; %bb.43:                               ;   in Loop: Header=BB133_42 Depth=3
	v_cmp_ne_u64_e32 vcc, s[20:21], v[24:25]
                                        ; implicit-def: $sgpr50_sgpr51
	s_and_saveexec_b64 s[52:53], vcc
	s_xor_b64 s[52:53], exec, s[52:53]
; %bb.44:                               ;   in Loop: Header=BB133_42 Depth=3
	v_add_u32_e32 v20, 1, v20
	v_and_b32_e32 v20, 0x1ff, v20
	s_mov_b64 s[50:51], -1
                                        ; implicit-def: $vgpr22
; %bb.45:                               ;   in Loop: Header=BB133_42 Depth=3
	s_andn2_saveexec_b64 s[52:53], s[52:53]
	s_cbranch_execz .LBB133_49
; %bb.46:                               ;   in Loop: Header=BB133_42 Depth=3
	v_pk_mov_b32 v[24:25], s[20:21], s[20:21] op_sel:[0,1]
	ds_cmpst_rtn_b64 v[24:25], v22, v[24:25], v[8:9]
	s_mov_b64 s[56:57], -1
	s_waitcnt lgkmcnt(0)
	v_cmp_eq_u64_e32 vcc, s[20:21], v[24:25]
	s_and_saveexec_b64 s[54:55], vcc
	s_cbranch_execz .LBB133_48
; %bb.47:                               ;   in Loop: Header=BB133_42 Depth=3
	v_mad_u64_u32 v[24:25], s[56:57], v20, 24, v[22:23]
	ds_add_f32 v24, v38 offset:4104
	ds_add_f32 v24, v37 offset:4108
	s_xor_b64 s[56:57], exec, -1
.LBB133_48:                             ;   in Loop: Header=BB133_42 Depth=3
	s_or_b64 exec, exec, s[54:55]
	s_andn2_b64 s[50:51], s[50:51], exec
	s_and_b64 s[54:55], s[56:57], exec
	s_or_b64 s[50:51], s[50:51], s[54:55]
.LBB133_49:                             ;   in Loop: Header=BB133_42 Depth=3
	s_or_b64 exec, exec, s[52:53]
	s_and_b64 s[50:51], s[50:51], exec
                                        ; implicit-def: $vgpr22
.LBB133_50:                             ;   in Loop: Header=BB133_42 Depth=3
	s_andn2_saveexec_b64 s[48:49], s[48:49]
	s_cbranch_execz .LBB133_41
; %bb.51:                               ;   in Loop: Header=BB133_42 Depth=3
	v_mad_u64_u32 v[24:25], s[52:53], v20, 24, v[22:23]
	ds_add_f32 v24, v38 offset:4104
	ds_add_f32 v24, v37 offset:4108
	s_andn2_b64 s[50:51], s[50:51], exec
	s_branch .LBB133_41
.LBB133_52:                             ;   in Loop: Header=BB133_28 Depth=2
	s_or_b64 exec, exec, s[46:47]
	v_mul_f32_e64 v20, v19, -v33
	v_mul_f32_e32 v19, v34, v19
	v_fmac_f32_e32 v20, v34, v18
	v_fmac_f32_e32 v19, v33, v18
	v_fmac_f32_e32 v20, v31, v16
	v_fmac_f32_e32 v19, v32, v16
	v_fma_f32 v22, -v32, v17, v20
	v_fmac_f32_e32 v19, v31, v17
	s_mov_b64 s[46:47], 0
	v_pk_mov_b32 v[16:17], v[10:11], v[10:11] op_sel:[0,1]
	s_branch .LBB133_54
.LBB133_53:                             ;   in Loop: Header=BB133_54 Depth=3
	s_or_b64 exec, exec, s[48:49]
	s_xor_b64 s[48:49], s[50:51], -1
	s_and_b64 s[48:49], exec, s[48:49]
	s_or_b64 s[46:47], s[48:49], s[46:47]
	s_andn2_b64 exec, exec, s[46:47]
	s_cbranch_execz .LBB133_64
.LBB133_54:                             ;   Parent Loop BB133_25 Depth=1
                                        ;     Parent Loop BB133_28 Depth=2
                                        ; =>    This Inner Loop Header: Depth=3
	v_lshl_add_u32 v18, v16, 3, 0
	ds_read_b64 v[20:21], v18
                                        ; implicit-def: $sgpr50_sgpr51
	s_waitcnt lgkmcnt(0)
	v_cmp_ne_u64_e32 vcc, v[20:21], v[8:9]
	s_and_saveexec_b64 s[48:49], vcc
	s_xor_b64 s[48:49], exec, s[48:49]
	s_cbranch_execz .LBB133_62
; %bb.55:                               ;   in Loop: Header=BB133_54 Depth=3
	v_cmp_ne_u64_e32 vcc, s[20:21], v[20:21]
                                        ; implicit-def: $sgpr50_sgpr51
	s_and_saveexec_b64 s[52:53], vcc
	s_xor_b64 s[52:53], exec, s[52:53]
; %bb.56:                               ;   in Loop: Header=BB133_54 Depth=3
	v_add_u32_e32 v16, 1, v16
	v_and_b32_e32 v16, 0x1ff, v16
	s_mov_b64 s[50:51], -1
                                        ; implicit-def: $vgpr18
; %bb.57:                               ;   in Loop: Header=BB133_54 Depth=3
	s_andn2_saveexec_b64 s[52:53], s[52:53]
	s_cbranch_execz .LBB133_61
; %bb.58:                               ;   in Loop: Header=BB133_54 Depth=3
	v_pk_mov_b32 v[20:21], s[20:21], s[20:21] op_sel:[0,1]
	ds_cmpst_rtn_b64 v[20:21], v18, v[20:21], v[8:9]
	s_mov_b64 s[56:57], -1
	s_waitcnt lgkmcnt(0)
	v_cmp_eq_u64_e32 vcc, s[20:21], v[20:21]
	s_and_saveexec_b64 s[54:55], vcc
	s_cbranch_execz .LBB133_60
; %bb.59:                               ;   in Loop: Header=BB133_54 Depth=3
	v_mad_u64_u32 v[20:21], s[56:57], v16, 24, v[18:19]
	ds_add_f32 v20, v22 offset:4112
	ds_add_f32 v20, v19 offset:4116
	s_xor_b64 s[56:57], exec, -1
.LBB133_60:                             ;   in Loop: Header=BB133_54 Depth=3
	s_or_b64 exec, exec, s[54:55]
	s_andn2_b64 s[50:51], s[50:51], exec
	s_and_b64 s[54:55], s[56:57], exec
	s_or_b64 s[50:51], s[50:51], s[54:55]
.LBB133_61:                             ;   in Loop: Header=BB133_54 Depth=3
	s_or_b64 exec, exec, s[52:53]
	s_and_b64 s[50:51], s[50:51], exec
                                        ; implicit-def: $vgpr18
.LBB133_62:                             ;   in Loop: Header=BB133_54 Depth=3
	s_andn2_saveexec_b64 s[48:49], s[48:49]
	s_cbranch_execz .LBB133_53
; %bb.63:                               ;   in Loop: Header=BB133_54 Depth=3
	v_mad_u64_u32 v[20:21], s[52:53], v16, 24, v[18:19]
	ds_add_f32 v20, v22 offset:4112
	ds_add_f32 v20, v19 offset:4116
	s_andn2_b64 s[50:51], s[50:51], exec
	s_branch .LBB133_53
.LBB133_64:                             ;   in Loop: Header=BB133_28 Depth=2
	s_or_b64 exec, exec, s[46:47]
	v_mul_f32_e64 v17, v15, -v33
	v_mul_f32_e32 v16, v34, v15
	v_fmac_f32_e32 v17, v34, v14
	v_fmac_f32_e32 v16, v33, v14
	v_fmac_f32_e32 v17, v31, v12
	v_fmac_f32_e32 v16, v32, v12
	v_fma_f32 v17, -v32, v13, v17
	v_fmac_f32_e32 v16, v31, v13
	s_mov_b64 s[46:47], 0
	s_branch .LBB133_66
.LBB133_65:                             ;   in Loop: Header=BB133_66 Depth=3
	s_or_b64 exec, exec, s[48:49]
	s_xor_b64 s[48:49], s[50:51], -1
	s_and_b64 s[48:49], exec, s[48:49]
	s_or_b64 s[46:47], s[48:49], s[46:47]
	s_andn2_b64 exec, exec, s[46:47]
	s_cbranch_execz .LBB133_27
.LBB133_66:                             ;   Parent Loop BB133_25 Depth=1
                                        ;     Parent Loop BB133_28 Depth=2
                                        ; =>    This Inner Loop Header: Depth=3
	v_lshl_add_u32 v12, v10, 3, 0
	ds_read_b64 v[14:15], v12
                                        ; implicit-def: $sgpr50_sgpr51
	s_waitcnt lgkmcnt(0)
	v_cmp_ne_u64_e32 vcc, v[14:15], v[8:9]
	s_and_saveexec_b64 s[48:49], vcc
	s_xor_b64 s[48:49], exec, s[48:49]
	s_cbranch_execz .LBB133_74
; %bb.67:                               ;   in Loop: Header=BB133_66 Depth=3
	v_cmp_ne_u64_e32 vcc, s[20:21], v[14:15]
                                        ; implicit-def: $sgpr50_sgpr51
	s_and_saveexec_b64 s[52:53], vcc
	s_xor_b64 s[52:53], exec, s[52:53]
; %bb.68:                               ;   in Loop: Header=BB133_66 Depth=3
	v_add_u32_e32 v10, 1, v10
	v_and_b32_e32 v10, 0x1ff, v10
	s_mov_b64 s[50:51], -1
                                        ; implicit-def: $vgpr12
; %bb.69:                               ;   in Loop: Header=BB133_66 Depth=3
	s_andn2_saveexec_b64 s[52:53], s[52:53]
	s_cbranch_execz .LBB133_73
; %bb.70:                               ;   in Loop: Header=BB133_66 Depth=3
	v_pk_mov_b32 v[14:15], s[20:21], s[20:21] op_sel:[0,1]
	ds_cmpst_rtn_b64 v[14:15], v12, v[14:15], v[8:9]
	s_mov_b64 s[56:57], -1
	s_waitcnt lgkmcnt(0)
	v_cmp_eq_u64_e32 vcc, s[20:21], v[14:15]
	s_and_saveexec_b64 s[54:55], vcc
	s_cbranch_execz .LBB133_72
; %bb.71:                               ;   in Loop: Header=BB133_66 Depth=3
	v_mad_u64_u32 v[12:13], s[56:57], v10, 24, v[12:13]
	ds_add_f32 v12, v17 offset:4120
	ds_add_f32 v12, v16 offset:4124
	s_xor_b64 s[56:57], exec, -1
.LBB133_72:                             ;   in Loop: Header=BB133_66 Depth=3
	s_or_b64 exec, exec, s[54:55]
	s_andn2_b64 s[50:51], s[50:51], exec
	s_and_b64 s[54:55], s[56:57], exec
	s_or_b64 s[50:51], s[50:51], s[54:55]
.LBB133_73:                             ;   in Loop: Header=BB133_66 Depth=3
	s_or_b64 exec, exec, s[52:53]
	s_and_b64 s[50:51], s[50:51], exec
                                        ; implicit-def: $vgpr12
.LBB133_74:                             ;   in Loop: Header=BB133_66 Depth=3
	s_andn2_saveexec_b64 s[48:49], s[48:49]
	s_cbranch_execz .LBB133_65
; %bb.75:                               ;   in Loop: Header=BB133_66 Depth=3
	v_mad_u64_u32 v[12:13], s[52:53], v10, 24, v[12:13]
	ds_add_f32 v12, v17 offset:4120
	ds_add_f32 v12, v16 offset:4124
	s_andn2_b64 s[50:51], s[50:51], exec
	s_branch .LBB133_65
.LBB133_76:
	s_or_b64 exec, exec, s[24:25]
.LBB133_77:
	s_andn2_b64 vcc, exec, s[44:45]
	s_waitcnt lgkmcnt(0)
	s_barrier
	s_cbranch_vccnz .LBB133_130
; %bb.78:
	s_lshl_b64 s[4:5], s[6:7], 3
	s_add_u32 s4, s22, s4
	s_addc_u32 s5, s23, s5
	s_load_dwordx4 s[16:19], s[4:5], 0x0
	v_subrev_co_u32_e32 v1, vcc, s39, v0
	s_mov_b32 s22, 0
	s_waitcnt lgkmcnt(0)
	s_sub_u32 s4, s18, s39
	s_subb_u32 s5, s19, 0
	v_subb_co_u32_e64 v3, s[18:19], 0, 0, vcc
	v_mov_b32_e32 v4, s17
	v_add_co_u32_e32 v2, vcc, s16, v1
	v_addc_co_u32_e32 v3, vcc, v4, v3, vcc
	v_cmp_gt_i64_e32 vcc, s[4:5], v[2:3]
	s_and_saveexec_b64 s[16:17], vcc
	s_cbranch_execz .LBB133_129
; %bb.79:
	s_cmp_eq_u32 s59, 0
	s_mov_b32 s36, s39
	s_cselect_b32 s37, 1, 2
	s_cselect_b32 s39, 2, 1
	s_mov_b64 s[18:19], 0
	v_mov_b32_e32 v1, s11
	v_mov_b32_e32 v7, s9
	;; [unrolled: 1-line block ×3, first 2 shown]
	s_movk_i32 s9, 0x89
	s_branch .LBB133_81
.LBB133_80:                             ;   in Loop: Header=BB133_81 Depth=1
	s_or_b64 exec, exec, s[22:23]
	v_add_co_u32_e32 v2, vcc, 0x100, v2
	v_addc_co_u32_e32 v3, vcc, 0, v3, vcc
	v_cmp_le_i64_e32 vcc, s[4:5], v[2:3]
	s_or_b64 s[18:19], vcc, s[18:19]
	s_andn2_b64 exec, exec, s[18:19]
	s_cbranch_execz .LBB133_129
.LBB133_81:                             ; =>This Loop Header: Depth=1
                                        ;     Child Loop BB133_83 Depth 2
                                        ;     Child Loop BB133_95 Depth 2
	;; [unrolled: 1-line block ×4, first 2 shown]
	v_lshlrev_b64 v[8:9], 5, v[2:3]
	v_lshlrev_b64 v[4:5], 2, v[2:3]
	v_add_co_u32_e32 v14, vcc, s10, v8
	v_addc_co_u32_e32 v15, vcc, v1, v9, vcc
	v_or_b32_e32 v9, 0, v5
	v_or_b32_e32 v8, s37, v4
	v_lshlrev_b64 v[8:9], 3, v[8:9]
	v_add_co_u32_e32 v16, vcc, s10, v8
	v_addc_co_u32_e32 v17, vcc, v1, v9, vcc
	v_lshlrev_b64 v[8:9], 3, v[2:3]
	v_add_co_u32_e32 v8, vcc, s8, v8
	v_addc_co_u32_e32 v9, vcc, v7, v9, vcc
	v_or_b32_e32 v5, 0, v5
	global_load_dwordx2 v[22:23], v[8:9], off
	v_or_b32_e32 v4, s39, v4
	v_lshlrev_b64 v[4:5], 3, v[4:5]
	global_load_dwordx2 v[18:19], v[14:15], off
	v_add_co_u32_e32 v4, vcc, s10, v4
	v_addc_co_u32_e32 v5, vcc, v1, v5, vcc
	global_load_dwordx2 v[8:9], v[14:15], off offset:24
	global_load_dwordx2 v[12:13], v[16:17], off
	global_load_dwordx2 v[10:11], v[4:5], off
	s_mov_b64 s[22:23], 0
	s_waitcnt vmcnt(4)
	v_subrev_co_u32_e32 v4, vcc, s36, v22
	v_mul_lo_u32 v6, v4, s9
	s_waitcnt vmcnt(3)
	v_mul_f32_e64 v17, v19, -s58
	v_mul_f32_e32 v21, s33, v19
	v_and_b32_e32 v6, 0x1ff, v6
	v_subb_co_u32_e32 v5, vcc, v23, v20, vcc
	v_fmac_f32_e32 v17, s33, v18
	v_fmac_f32_e32 v21, s58, v18
	v_pk_mov_b32 v[14:15], v[6:7], v[6:7] op_sel:[0,1]
	s_branch .LBB133_83
.LBB133_82:                             ;   in Loop: Header=BB133_83 Depth=2
	s_or_b64 exec, exec, s[24:25]
	s_xor_b64 s[24:25], s[26:27], -1
	s_and_b64 s[24:25], exec, s[24:25]
	s_or_b64 s[22:23], s[24:25], s[22:23]
	s_andn2_b64 exec, exec, s[22:23]
	s_cbranch_execz .LBB133_93
.LBB133_83:                             ;   Parent Loop BB133_81 Depth=1
                                        ; =>  This Inner Loop Header: Depth=2
	v_lshl_add_u32 v16, v14, 3, 0
	ds_read_b64 v[18:19], v16
                                        ; implicit-def: $sgpr26_sgpr27
	s_waitcnt lgkmcnt(0)
	v_cmp_ne_u64_e32 vcc, v[18:19], v[4:5]
	s_and_saveexec_b64 s[24:25], vcc
	s_xor_b64 s[24:25], exec, s[24:25]
	s_cbranch_execz .LBB133_91
; %bb.84:                               ;   in Loop: Header=BB133_83 Depth=2
	v_cmp_ne_u64_e32 vcc, s[20:21], v[18:19]
                                        ; implicit-def: $sgpr26_sgpr27
	s_and_saveexec_b64 s[28:29], vcc
	s_xor_b64 s[28:29], exec, s[28:29]
; %bb.85:                               ;   in Loop: Header=BB133_83 Depth=2
	v_add_u32_e32 v14, 1, v14
	v_and_b32_e32 v14, 0x1ff, v14
	s_mov_b64 s[26:27], -1
                                        ; implicit-def: $vgpr16
; %bb.86:                               ;   in Loop: Header=BB133_83 Depth=2
	s_andn2_saveexec_b64 s[28:29], s[28:29]
	s_cbranch_execz .LBB133_90
; %bb.87:                               ;   in Loop: Header=BB133_83 Depth=2
	v_pk_mov_b32 v[18:19], s[20:21], s[20:21] op_sel:[0,1]
	ds_cmpst_rtn_b64 v[18:19], v16, v[18:19], v[4:5]
	s_mov_b64 s[34:35], -1
	s_waitcnt lgkmcnt(0)
	v_cmp_eq_u64_e32 vcc, s[20:21], v[18:19]
	s_and_saveexec_b64 s[30:31], vcc
	s_cbranch_execz .LBB133_89
; %bb.88:                               ;   in Loop: Header=BB133_83 Depth=2
	v_mad_u64_u32 v[18:19], s[34:35], v14, 24, v[16:17]
	ds_add_f32 v18, v17 offset:4096
	ds_add_f32 v18, v21 offset:4100
	s_xor_b64 s[34:35], exec, -1
.LBB133_89:                             ;   in Loop: Header=BB133_83 Depth=2
	s_or_b64 exec, exec, s[30:31]
	s_andn2_b64 s[26:27], s[26:27], exec
	s_and_b64 s[30:31], s[34:35], exec
	s_or_b64 s[26:27], s[26:27], s[30:31]
.LBB133_90:                             ;   in Loop: Header=BB133_83 Depth=2
	s_or_b64 exec, exec, s[28:29]
	s_and_b64 s[26:27], s[26:27], exec
                                        ; implicit-def: $vgpr16
.LBB133_91:                             ;   in Loop: Header=BB133_83 Depth=2
	s_andn2_saveexec_b64 s[24:25], s[24:25]
	s_cbranch_execz .LBB133_82
; %bb.92:                               ;   in Loop: Header=BB133_83 Depth=2
	v_mad_u64_u32 v[18:19], s[28:29], v14, 24, v[16:17]
	ds_add_f32 v18, v17 offset:4096
	ds_add_f32 v18, v21 offset:4100
	s_andn2_b64 s[26:27], s[26:27], exec
	s_branch .LBB133_82
.LBB133_93:                             ;   in Loop: Header=BB133_81 Depth=1
	s_or_b64 exec, exec, s[22:23]
	s_waitcnt vmcnt(1)
	v_mul_f32_e64 v15, v13, -s58
	v_mul_f32_e32 v18, s33, v13
	v_fmac_f32_e32 v15, s33, v12
	v_fmac_f32_e32 v18, s58, v12
	s_mov_b64 s[22:23], 0
	v_pk_mov_b32 v[12:13], v[6:7], v[6:7] op_sel:[0,1]
	s_branch .LBB133_95
.LBB133_94:                             ;   in Loop: Header=BB133_95 Depth=2
	s_or_b64 exec, exec, s[24:25]
	s_xor_b64 s[24:25], s[26:27], -1
	s_and_b64 s[24:25], exec, s[24:25]
	s_or_b64 s[22:23], s[24:25], s[22:23]
	s_andn2_b64 exec, exec, s[22:23]
	s_cbranch_execz .LBB133_105
.LBB133_95:                             ;   Parent Loop BB133_81 Depth=1
                                        ; =>  This Inner Loop Header: Depth=2
	v_lshl_add_u32 v14, v12, 3, 0
	ds_read_b64 v[16:17], v14
                                        ; implicit-def: $sgpr26_sgpr27
	s_waitcnt lgkmcnt(0)
	v_cmp_ne_u64_e32 vcc, v[16:17], v[4:5]
	s_and_saveexec_b64 s[24:25], vcc
	s_xor_b64 s[24:25], exec, s[24:25]
	s_cbranch_execz .LBB133_103
; %bb.96:                               ;   in Loop: Header=BB133_95 Depth=2
	v_cmp_ne_u64_e32 vcc, s[20:21], v[16:17]
                                        ; implicit-def: $sgpr26_sgpr27
	s_and_saveexec_b64 s[28:29], vcc
	s_xor_b64 s[28:29], exec, s[28:29]
; %bb.97:                               ;   in Loop: Header=BB133_95 Depth=2
	v_add_u32_e32 v12, 1, v12
	v_and_b32_e32 v12, 0x1ff, v12
	s_mov_b64 s[26:27], -1
                                        ; implicit-def: $vgpr14
; %bb.98:                               ;   in Loop: Header=BB133_95 Depth=2
	s_andn2_saveexec_b64 s[28:29], s[28:29]
	s_cbranch_execz .LBB133_102
; %bb.99:                               ;   in Loop: Header=BB133_95 Depth=2
	v_pk_mov_b32 v[16:17], s[20:21], s[20:21] op_sel:[0,1]
	ds_cmpst_rtn_b64 v[16:17], v14, v[16:17], v[4:5]
	s_mov_b64 s[34:35], -1
	s_waitcnt lgkmcnt(0)
	v_cmp_eq_u64_e32 vcc, s[20:21], v[16:17]
	s_and_saveexec_b64 s[30:31], vcc
	s_cbranch_execz .LBB133_101
; %bb.100:                              ;   in Loop: Header=BB133_95 Depth=2
	v_mad_u64_u32 v[16:17], s[34:35], v12, 24, v[14:15]
	ds_add_f32 v16, v15 offset:4104
	ds_add_f32 v16, v18 offset:4108
	s_xor_b64 s[34:35], exec, -1
.LBB133_101:                            ;   in Loop: Header=BB133_95 Depth=2
	s_or_b64 exec, exec, s[30:31]
	s_andn2_b64 s[26:27], s[26:27], exec
	s_and_b64 s[30:31], s[34:35], exec
	s_or_b64 s[26:27], s[26:27], s[30:31]
.LBB133_102:                            ;   in Loop: Header=BB133_95 Depth=2
	s_or_b64 exec, exec, s[28:29]
	s_and_b64 s[26:27], s[26:27], exec
                                        ; implicit-def: $vgpr14
.LBB133_103:                            ;   in Loop: Header=BB133_95 Depth=2
	s_andn2_saveexec_b64 s[24:25], s[24:25]
	s_cbranch_execz .LBB133_94
; %bb.104:                              ;   in Loop: Header=BB133_95 Depth=2
	v_mad_u64_u32 v[16:17], s[28:29], v12, 24, v[14:15]
	ds_add_f32 v16, v15 offset:4104
	ds_add_f32 v16, v18 offset:4108
	s_andn2_b64 s[26:27], s[26:27], exec
	s_branch .LBB133_94
.LBB133_105:                            ;   in Loop: Header=BB133_81 Depth=1
	s_or_b64 exec, exec, s[22:23]
	s_waitcnt vmcnt(0)
	v_mul_f32_e64 v13, v11, -s58
	v_mul_f32_e32 v16, s33, v11
	v_fmac_f32_e32 v13, s33, v10
	v_fmac_f32_e32 v16, s58, v10
	s_mov_b64 s[22:23], 0
	v_pk_mov_b32 v[10:11], v[6:7], v[6:7] op_sel:[0,1]
	s_branch .LBB133_107
.LBB133_106:                            ;   in Loop: Header=BB133_107 Depth=2
	s_or_b64 exec, exec, s[24:25]
	s_xor_b64 s[24:25], s[26:27], -1
	s_and_b64 s[24:25], exec, s[24:25]
	s_or_b64 s[22:23], s[24:25], s[22:23]
	s_andn2_b64 exec, exec, s[22:23]
	s_cbranch_execz .LBB133_117
.LBB133_107:                            ;   Parent Loop BB133_81 Depth=1
                                        ; =>  This Inner Loop Header: Depth=2
	v_lshl_add_u32 v12, v10, 3, 0
	ds_read_b64 v[14:15], v12
                                        ; implicit-def: $sgpr26_sgpr27
	s_waitcnt lgkmcnt(0)
	v_cmp_ne_u64_e32 vcc, v[14:15], v[4:5]
	s_and_saveexec_b64 s[24:25], vcc
	s_xor_b64 s[24:25], exec, s[24:25]
	s_cbranch_execz .LBB133_115
; %bb.108:                              ;   in Loop: Header=BB133_107 Depth=2
	v_cmp_ne_u64_e32 vcc, s[20:21], v[14:15]
                                        ; implicit-def: $sgpr26_sgpr27
	s_and_saveexec_b64 s[28:29], vcc
	s_xor_b64 s[28:29], exec, s[28:29]
; %bb.109:                              ;   in Loop: Header=BB133_107 Depth=2
	v_add_u32_e32 v10, 1, v10
	v_and_b32_e32 v10, 0x1ff, v10
	s_mov_b64 s[26:27], -1
                                        ; implicit-def: $vgpr12
; %bb.110:                              ;   in Loop: Header=BB133_107 Depth=2
	s_andn2_saveexec_b64 s[28:29], s[28:29]
	s_cbranch_execz .LBB133_114
; %bb.111:                              ;   in Loop: Header=BB133_107 Depth=2
	v_pk_mov_b32 v[14:15], s[20:21], s[20:21] op_sel:[0,1]
	ds_cmpst_rtn_b64 v[14:15], v12, v[14:15], v[4:5]
	s_mov_b64 s[34:35], -1
	s_waitcnt lgkmcnt(0)
	v_cmp_eq_u64_e32 vcc, s[20:21], v[14:15]
	s_and_saveexec_b64 s[30:31], vcc
	s_cbranch_execz .LBB133_113
; %bb.112:                              ;   in Loop: Header=BB133_107 Depth=2
	v_mad_u64_u32 v[14:15], s[34:35], v10, 24, v[12:13]
	ds_add_f32 v14, v13 offset:4112
	ds_add_f32 v14, v16 offset:4116
	s_xor_b64 s[34:35], exec, -1
.LBB133_113:                            ;   in Loop: Header=BB133_107 Depth=2
	s_or_b64 exec, exec, s[30:31]
	s_andn2_b64 s[26:27], s[26:27], exec
	s_and_b64 s[30:31], s[34:35], exec
	s_or_b64 s[26:27], s[26:27], s[30:31]
.LBB133_114:                            ;   in Loop: Header=BB133_107 Depth=2
	s_or_b64 exec, exec, s[28:29]
	s_and_b64 s[26:27], s[26:27], exec
                                        ; implicit-def: $vgpr12
.LBB133_115:                            ;   in Loop: Header=BB133_107 Depth=2
	s_andn2_saveexec_b64 s[24:25], s[24:25]
	s_cbranch_execz .LBB133_106
; %bb.116:                              ;   in Loop: Header=BB133_107 Depth=2
	v_mad_u64_u32 v[14:15], s[28:29], v10, 24, v[12:13]
	ds_add_f32 v14, v13 offset:4112
	ds_add_f32 v14, v16 offset:4116
	s_andn2_b64 s[26:27], s[26:27], exec
	s_branch .LBB133_106
.LBB133_117:                            ;   in Loop: Header=BB133_81 Depth=1
	s_or_b64 exec, exec, s[22:23]
	v_mul_f32_e64 v12, v9, -s58
	v_mul_f32_e32 v9, s33, v9
	v_fmac_f32_e32 v12, s33, v8
	v_fmac_f32_e32 v9, s58, v8
	s_mov_b64 s[22:23], 0
	s_branch .LBB133_119
.LBB133_118:                            ;   in Loop: Header=BB133_119 Depth=2
	s_or_b64 exec, exec, s[24:25]
	s_xor_b64 s[24:25], s[26:27], -1
	s_and_b64 s[24:25], exec, s[24:25]
	s_or_b64 s[22:23], s[24:25], s[22:23]
	s_andn2_b64 exec, exec, s[22:23]
	s_cbranch_execz .LBB133_80
.LBB133_119:                            ;   Parent Loop BB133_81 Depth=1
                                        ; =>  This Inner Loop Header: Depth=2
	v_lshl_add_u32 v8, v6, 3, 0
	ds_read_b64 v[10:11], v8
                                        ; implicit-def: $sgpr26_sgpr27
	s_waitcnt lgkmcnt(0)
	v_cmp_ne_u64_e32 vcc, v[10:11], v[4:5]
	s_and_saveexec_b64 s[24:25], vcc
	s_xor_b64 s[24:25], exec, s[24:25]
	s_cbranch_execz .LBB133_127
; %bb.120:                              ;   in Loop: Header=BB133_119 Depth=2
	v_cmp_ne_u64_e32 vcc, s[20:21], v[10:11]
                                        ; implicit-def: $sgpr26_sgpr27
	s_and_saveexec_b64 s[28:29], vcc
	s_xor_b64 s[28:29], exec, s[28:29]
; %bb.121:                              ;   in Loop: Header=BB133_119 Depth=2
	v_add_u32_e32 v6, 1, v6
	v_and_b32_e32 v6, 0x1ff, v6
	s_mov_b64 s[26:27], -1
                                        ; implicit-def: $vgpr8
; %bb.122:                              ;   in Loop: Header=BB133_119 Depth=2
	s_andn2_saveexec_b64 s[28:29], s[28:29]
	s_cbranch_execz .LBB133_126
; %bb.123:                              ;   in Loop: Header=BB133_119 Depth=2
	v_pk_mov_b32 v[10:11], s[20:21], s[20:21] op_sel:[0,1]
	ds_cmpst_rtn_b64 v[10:11], v8, v[10:11], v[4:5]
	s_mov_b64 s[34:35], -1
	s_waitcnt lgkmcnt(0)
	v_cmp_eq_u64_e32 vcc, s[20:21], v[10:11]
	s_and_saveexec_b64 s[30:31], vcc
	s_cbranch_execz .LBB133_125
; %bb.124:                              ;   in Loop: Header=BB133_119 Depth=2
	v_mad_u64_u32 v[10:11], s[34:35], v6, 24, v[8:9]
	ds_add_f32 v10, v12 offset:4120
	ds_add_f32 v10, v9 offset:4124
	s_xor_b64 s[34:35], exec, -1
.LBB133_125:                            ;   in Loop: Header=BB133_119 Depth=2
	s_or_b64 exec, exec, s[30:31]
	s_andn2_b64 s[26:27], s[26:27], exec
	s_and_b64 s[30:31], s[34:35], exec
	s_or_b64 s[26:27], s[26:27], s[30:31]
.LBB133_126:                            ;   in Loop: Header=BB133_119 Depth=2
	s_or_b64 exec, exec, s[28:29]
	s_and_b64 s[26:27], s[26:27], exec
                                        ; implicit-def: $vgpr8
.LBB133_127:                            ;   in Loop: Header=BB133_119 Depth=2
	s_andn2_saveexec_b64 s[24:25], s[24:25]
	s_cbranch_execz .LBB133_118
; %bb.128:                              ;   in Loop: Header=BB133_119 Depth=2
	v_mad_u64_u32 v[10:11], s[28:29], v6, 24, v[8:9]
	ds_add_f32 v10, v12 offset:4120
	ds_add_f32 v10, v9 offset:4124
	s_andn2_b64 s[26:27], s[26:27], exec
	s_branch .LBB133_118
.LBB133_129:
	s_or_b64 exec, exec, s[16:17]
.LBB133_130:
	s_waitcnt lgkmcnt(0)
	s_barrier
	s_and_saveexec_b64 s[4:5], s[0:1]
	s_cbranch_execz .LBB133_137
; %bb.131:
	s_lshl_b64 s[0:1], s[6:7], 3
	s_add_u32 s0, s12, s0
	s_addc_u32 s1, s13, s1
	s_load_dwordx2 s[4:5], s[0:1], 0x0
	s_mov_b32 s8, 0
	s_mov_b64 s[0:1], 0
	s_movk_i32 s12, 0xff
	s_waitcnt lgkmcnt(0)
	s_sub_u32 s4, s4, s38
	s_subb_u32 s5, s5, 0
	s_cmp_eq_u32 s59, 0
	s_cselect_b32 s9, 1, 2
	s_cselect_b32 s10, 2, 1
	s_add_i32 s11, 0, 0x1000
	s_branch .LBB133_133
.LBB133_132:                            ;   in Loop: Header=BB133_133 Depth=1
	s_or_b64 exec, exec, s[6:7]
	v_add_u32_e32 v1, 0x100, v0
	v_cmp_lt_u32_e32 vcc, s12, v0
	s_or_b64 s[0:1], vcc, s[0:1]
	v_mov_b32_e32 v0, v1
	s_andn2_b64 exec, exec, s[0:1]
	s_cbranch_execz .LBB133_137
.LBB133_133:                            ; =>This Loop Header: Depth=1
                                        ;     Child Loop BB133_135 Depth 2
	v_lshl_add_u32 v1, v0, 3, 0
	ds_read_b64 v[2:3], v1
	s_waitcnt lgkmcnt(0)
	v_cmp_gt_i64_e32 vcc, s[20:21], v[2:3]
	s_and_saveexec_b64 s[6:7], vcc
	s_cbranch_execz .LBB133_132
; %bb.134:                              ;   in Loop: Header=BB133_133 Depth=1
	s_mov_b32 s13, 0
	v_pk_mov_b32 v[4:5], s[4:5], s[4:5] op_sel:[0,1]
.LBB133_135:                            ;   Parent Loop BB133_133 Depth=1
                                        ; =>  This Inner Loop Header: Depth=2
	s_add_i32 s16, s13, 0
	v_mov_b32_e32 v1, s16
	ds_read2_b64 v[6:9], v1 offset1:1
	ds_read2_b64 v[10:13], v1 offset0:2 offset1:3
	ds_read2_b64 v[14:17], v1 offset0:4 offset1:5
	;; [unrolled: 1-line block ×7, first 2 shown]
	s_waitcnt lgkmcnt(7)
	v_cmp_gt_i64_e32 vcc, v[2:3], v[6:7]
	v_cndmask_b32_e64 v1, 0, 1, vcc
	v_cmp_gt_i64_e32 vcc, v[2:3], v[8:9]
	v_cndmask_b32_e64 v6, 0, 1, vcc
	s_waitcnt lgkmcnt(6)
	v_cmp_gt_i64_e32 vcc, v[2:3], v[10:11]
	v_cndmask_b32_e64 v7, 0, 1, vcc
	v_cmp_gt_i64_e32 vcc, v[2:3], v[12:13]
	v_cndmask_b32_e64 v8, 0, 1, vcc
	;; [unrolled: 5-line block ×8, first 2 shown]
	v_add_co_u32_e32 v1, vcc, v4, v1
	v_addc_co_u32_e32 v4, vcc, 0, v5, vcc
	v_add_co_u32_e32 v1, vcc, v1, v6
	v_addc_co_u32_e32 v4, vcc, 0, v4, vcc
	;; [unrolled: 2-line block ×15, first 2 shown]
	s_addk_i32 s13, 0x80
	v_add_co_u32_e32 v4, vcc, v1, v20
	s_cmpk_lg_i32 s13, 0x1000
	v_addc_co_u32_e32 v5, vcc, 0, v5, vcc
	s_cbranch_scc1 .LBB133_135
; %bb.136:                              ;   in Loop: Header=BB133_133 Depth=1
	v_mov_b32_e32 v1, s8
	v_add_co_u32_e32 v2, vcc, s38, v2
	v_addc_co_u32_e32 v3, vcc, v3, v1, vcc
	v_lshlrev_b64 v[6:7], 3, v[4:5]
	v_mov_b32_e32 v1, s15
	v_add_co_u32_e32 v6, vcc, s14, v6
	v_addc_co_u32_e32 v7, vcc, v1, v7, vcc
	v_lshlrev_b32_e32 v1, 2, v0
	v_lshlrev_b64 v[10:11], 5, v[4:5]
	v_or_b32_e32 v4, s9, v1
	v_or_b32_e32 v1, s10, v1
	global_store_dwordx2 v[6:7], v[2:3], off
	v_lshl_add_u32 v8, v0, 5, s11
	v_lshl_add_u32 v4, v4, 3, s11
	v_lshl_add_u32 v1, v1, 3, s11
	ds_read2_b32 v[2:3], v8 offset1:1
	ds_read2_b32 v[6:7], v1 offset1:1
	;; [unrolled: 1-line block ×3, first 2 shown]
	ds_read2_b32 v[8:9], v8 offset0:6 offset1:7
	v_mov_b32_e32 v12, s3
	v_add_co_u32_e32 v10, vcc, s2, v10
	v_addc_co_u32_e32 v11, vcc, v12, v11, vcc
	s_waitcnt lgkmcnt(1)
	global_store_dwordx4 v[10:11], v[2:5], off
	s_waitcnt lgkmcnt(0)
	global_store_dwordx4 v[10:11], v[6:9], off offset:16
	s_branch .LBB133_132
.LBB133_137:
	s_endpgm
	.section	.rodata,"a",@progbits
	.p2align	6, 0x0
	.amdhsa_kernel _ZN9rocsparseL30bsrgemm_fill_block_per_row_2x2ILj256ELj16ELj512ELj137Ell21rocsparse_complex_numIfEEEv20rocsparse_direction_T4_S4_PKS4_S6_NS_24const_host_device_scalarIT5_EEPKT3_S6_PKS8_SC_S6_SE_S9_SC_S6_SE_SC_PS4_PS8_21rocsparse_index_base_SH_SH_SH_bbb
		.amdhsa_group_segment_fixed_size 0
		.amdhsa_private_segment_fixed_size 0
		.amdhsa_kernarg_size 172
		.amdhsa_user_sgpr_count 6
		.amdhsa_user_sgpr_private_segment_buffer 1
		.amdhsa_user_sgpr_dispatch_ptr 0
		.amdhsa_user_sgpr_queue_ptr 0
		.amdhsa_user_sgpr_kernarg_segment_ptr 1
		.amdhsa_user_sgpr_dispatch_id 0
		.amdhsa_user_sgpr_flat_scratch_init 0
		.amdhsa_user_sgpr_kernarg_preload_length 0
		.amdhsa_user_sgpr_kernarg_preload_offset 0
		.amdhsa_user_sgpr_private_segment_size 0
		.amdhsa_uses_dynamic_stack 0
		.amdhsa_system_sgpr_private_segment_wavefront_offset 0
		.amdhsa_system_sgpr_workgroup_id_x 1
		.amdhsa_system_sgpr_workgroup_id_y 0
		.amdhsa_system_sgpr_workgroup_id_z 0
		.amdhsa_system_sgpr_workgroup_info 0
		.amdhsa_system_vgpr_workitem_id 0
		.amdhsa_next_free_vgpr 39
		.amdhsa_next_free_sgpr 65
		.amdhsa_accum_offset 40
		.amdhsa_reserve_vcc 1
		.amdhsa_reserve_flat_scratch 0
		.amdhsa_float_round_mode_32 0
		.amdhsa_float_round_mode_16_64 0
		.amdhsa_float_denorm_mode_32 3
		.amdhsa_float_denorm_mode_16_64 3
		.amdhsa_dx10_clamp 1
		.amdhsa_ieee_mode 1
		.amdhsa_fp16_overflow 0
		.amdhsa_tg_split 0
		.amdhsa_exception_fp_ieee_invalid_op 0
		.amdhsa_exception_fp_denorm_src 0
		.amdhsa_exception_fp_ieee_div_zero 0
		.amdhsa_exception_fp_ieee_overflow 0
		.amdhsa_exception_fp_ieee_underflow 0
		.amdhsa_exception_fp_ieee_inexact 0
		.amdhsa_exception_int_div_zero 0
	.end_amdhsa_kernel
	.section	.text._ZN9rocsparseL30bsrgemm_fill_block_per_row_2x2ILj256ELj16ELj512ELj137Ell21rocsparse_complex_numIfEEEv20rocsparse_direction_T4_S4_PKS4_S6_NS_24const_host_device_scalarIT5_EEPKT3_S6_PKS8_SC_S6_SE_S9_SC_S6_SE_SC_PS4_PS8_21rocsparse_index_base_SH_SH_SH_bbb,"axG",@progbits,_ZN9rocsparseL30bsrgemm_fill_block_per_row_2x2ILj256ELj16ELj512ELj137Ell21rocsparse_complex_numIfEEEv20rocsparse_direction_T4_S4_PKS4_S6_NS_24const_host_device_scalarIT5_EEPKT3_S6_PKS8_SC_S6_SE_S9_SC_S6_SE_SC_PS4_PS8_21rocsparse_index_base_SH_SH_SH_bbb,comdat
.Lfunc_end133:
	.size	_ZN9rocsparseL30bsrgemm_fill_block_per_row_2x2ILj256ELj16ELj512ELj137Ell21rocsparse_complex_numIfEEEv20rocsparse_direction_T4_S4_PKS4_S6_NS_24const_host_device_scalarIT5_EEPKT3_S6_PKS8_SC_S6_SE_S9_SC_S6_SE_SC_PS4_PS8_21rocsparse_index_base_SH_SH_SH_bbb, .Lfunc_end133-_ZN9rocsparseL30bsrgemm_fill_block_per_row_2x2ILj256ELj16ELj512ELj137Ell21rocsparse_complex_numIfEEEv20rocsparse_direction_T4_S4_PKS4_S6_NS_24const_host_device_scalarIT5_EEPKT3_S6_PKS8_SC_S6_SE_S9_SC_S6_SE_SC_PS4_PS8_21rocsparse_index_base_SH_SH_SH_bbb
                                        ; -- End function
	.section	.AMDGPU.csdata,"",@progbits
; Kernel info:
; codeLenInByte = 4488
; NumSgprs: 69
; NumVgprs: 39
; NumAgprs: 0
; TotalNumVgprs: 39
; ScratchSize: 0
; MemoryBound: 0
; FloatMode: 240
; IeeeMode: 1
; LDSByteSize: 0 bytes/workgroup (compile time only)
; SGPRBlocks: 8
; VGPRBlocks: 4
; NumSGPRsForWavesPerEU: 69
; NumVGPRsForWavesPerEU: 39
; AccumOffset: 40
; Occupancy: 8
; WaveLimiterHint : 1
; COMPUTE_PGM_RSRC2:SCRATCH_EN: 0
; COMPUTE_PGM_RSRC2:USER_SGPR: 6
; COMPUTE_PGM_RSRC2:TRAP_HANDLER: 0
; COMPUTE_PGM_RSRC2:TGID_X_EN: 1
; COMPUTE_PGM_RSRC2:TGID_Y_EN: 0
; COMPUTE_PGM_RSRC2:TGID_Z_EN: 0
; COMPUTE_PGM_RSRC2:TIDIG_COMP_CNT: 0
; COMPUTE_PGM_RSRC3_GFX90A:ACCUM_OFFSET: 9
; COMPUTE_PGM_RSRC3_GFX90A:TG_SPLIT: 0
	.section	.text._ZN9rocsparseL38bsrgemm_block_per_row_atomic_multipassILj256ELj256ELj2Ell21rocsparse_complex_numIfEEEv20rocsparse_direction_T3_S4_PKS4_S6_NS_24const_host_device_scalarIT4_EEPKT2_S6_PKS8_SC_S6_SE_S9_SC_S6_SE_SC_PS4_PS8_PSA_21rocsparse_index_base_SI_SI_SI_bbb,"axG",@progbits,_ZN9rocsparseL38bsrgemm_block_per_row_atomic_multipassILj256ELj256ELj2Ell21rocsparse_complex_numIfEEEv20rocsparse_direction_T3_S4_PKS4_S6_NS_24const_host_device_scalarIT4_EEPKT2_S6_PKS8_SC_S6_SE_S9_SC_S6_SE_SC_PS4_PS8_PSA_21rocsparse_index_base_SI_SI_SI_bbb,comdat
	.globl	_ZN9rocsparseL38bsrgemm_block_per_row_atomic_multipassILj256ELj256ELj2Ell21rocsparse_complex_numIfEEEv20rocsparse_direction_T3_S4_PKS4_S6_NS_24const_host_device_scalarIT4_EEPKT2_S6_PKS8_SC_S6_SE_S9_SC_S6_SE_SC_PS4_PS8_PSA_21rocsparse_index_base_SI_SI_SI_bbb ; -- Begin function _ZN9rocsparseL38bsrgemm_block_per_row_atomic_multipassILj256ELj256ELj2Ell21rocsparse_complex_numIfEEEv20rocsparse_direction_T3_S4_PKS4_S6_NS_24const_host_device_scalarIT4_EEPKT2_S6_PKS8_SC_S6_SE_S9_SC_S6_SE_SC_PS4_PS8_PSA_21rocsparse_index_base_SI_SI_SI_bbb
	.p2align	8
	.type	_ZN9rocsparseL38bsrgemm_block_per_row_atomic_multipassILj256ELj256ELj2Ell21rocsparse_complex_numIfEEEv20rocsparse_direction_T3_S4_PKS4_S6_NS_24const_host_device_scalarIT4_EEPKT2_S6_PKS8_SC_S6_SE_S9_SC_S6_SE_SC_PS4_PS8_PSA_21rocsparse_index_base_SI_SI_SI_bbb,@function
_ZN9rocsparseL38bsrgemm_block_per_row_atomic_multipassILj256ELj256ELj2Ell21rocsparse_complex_numIfEEEv20rocsparse_direction_T3_S4_PKS4_S6_NS_24const_host_device_scalarIT4_EEPKT2_S6_PKS8_SC_S6_SE_S9_SC_S6_SE_SC_PS4_PS8_PSA_21rocsparse_index_base_SI_SI_SI_bbb: ; @_ZN9rocsparseL38bsrgemm_block_per_row_atomic_multipassILj256ELj256ELj2Ell21rocsparse_complex_numIfEEEv20rocsparse_direction_T3_S4_PKS4_S6_NS_24const_host_device_scalarIT4_EEPKT2_S6_PKS8_SC_S6_SE_S9_SC_S6_SE_SC_PS4_PS8_PSA_21rocsparse_index_base_SI_SI_SI_bbb
; %bb.0:
	s_load_dwordx8 s[36:43], s[4:5], 0x90
	s_load_dword s7, s[4:5], 0xb0
	s_load_dwordx8 s[8:15], s[4:5], 0x70
                                        ; implicit-def: $vgpr66 : SGPR spill to VGPR lane
	s_mov_b32 s35, 0
	s_mov_b32 s33, 0
	s_waitcnt lgkmcnt(0)
	s_bitcmp1_b32 s7, 0
	v_writelane_b32 v66, s8, 0
	v_writelane_b32 v66, s9, 1
	;; [unrolled: 1-line block ×8, first 2 shown]
	s_load_dwordx8 s[52:59], s[4:5], 0x50
	s_load_dwordx4 s[8:11], s[4:5], 0x18
	s_load_dwordx8 s[60:67], s[4:5], 0x30
	s_cselect_b64 s[12:13], -1, 0
	s_bitcmp1_b32 s7, 16
	s_cselect_b64 s[0:1], -1, 0
	s_xor_b64 s[2:3], s[0:1], -1
	s_bitcmp0_b32 s7, 0
	s_cbranch_scc1 .LBB134_5
; %bb.1:
	s_load_dwordx2 s[34:35], s[4:5], 0x28
	v_cndmask_b32_e64 v1, 0, 1, s[2:3]
	v_cmp_ne_u32_e64 s[0:1], 1, v1
	s_andn2_b64 vcc, exec, s[2:3]
	s_waitcnt lgkmcnt(0)
	s_mov_b32 s33, s34
	s_cbranch_vccnz .LBB134_3
; %bb.2:
	s_load_dword s33, s[34:35], 0x0
.LBB134_3:
	s_and_b64 vcc, exec, s[0:1]
	s_cbranch_vccnz .LBB134_5
; %bb.4:
	s_load_dword s35, s[34:35], 0x4
.LBB134_5:
	s_bitcmp1_b32 s7, 8
	s_cselect_b64 s[0:1], -1, 0
	v_writelane_b32 v66, s0, 8
	v_writelane_b32 v66, s1, 9
	s_bfe_u32 s0, s7, 0x10008
	s_mov_b32 s94, 0
	s_cmp_eq_u32 s0, 0
	s_mov_b32 s34, 0
	s_cbranch_scc1 .LBB134_11
; %bb.6:
	v_cndmask_b32_e64 v1, 0, 1, s[2:3]
	v_cmp_ne_u32_e64 s[0:1], 1, v1
	s_andn2_b64 vcc, exec, s[2:3]
	s_waitcnt lgkmcnt(0)
	s_mov_b32 s34, s56
	s_cbranch_vccnz .LBB134_8
; %bb.7:
	s_load_dword s34, s[56:57], 0x0
.LBB134_8:
	s_and_b64 vcc, exec, s[0:1]
	s_cbranch_vccnz .LBB134_10
; %bb.9:
	s_load_dword s57, s[56:57], 0x4
.LBB134_10:
	s_waitcnt lgkmcnt(0)
	s_mov_b32 s94, s57
.LBB134_11:
	s_mov_b64 s[0:1], 0
	v_writelane_b32 v66, s0, 10
	s_waitcnt lgkmcnt(0)
	s_cmp_eq_u64 s[10:11], 0
	s_mov_b32 s7, 0
	v_writelane_b32 v66, s1, 11
	s_cbranch_scc1 .LBB134_13
; %bb.12:
	s_load_dwordx2 s[0:1], s[8:9], 0x0
	s_waitcnt lgkmcnt(0)
	s_lshl_b64 s[0:1], s[0:1], 3
	s_add_u32 s2, s10, s0
	s_addc_u32 s3, s11, s1
	s_lshl_b64 s[0:1], s[6:7], 3
	s_add_u32 s0, s2, s0
	s_addc_u32 s1, s3, s1
	s_load_dwordx2 s[6:7], s[0:1], 0x0
.LBB134_13:
	v_cndmask_b32_e64 v1, 0, 1, s[12:13]
	v_cmp_ne_u32_e64 s[0:1], 1, v1
	s_andn2_b64 vcc, exec, s[12:13]
	s_cbranch_vccz .LBB134_16
; %bb.14:
	s_and_b64 vcc, exec, s[0:1]
	s_mov_b64 s[70:71], 0
	s_cbranch_vccz .LBB134_17
.LBB134_15:
	s_load_dwordx4 s[28:31], s[4:5], 0x8
	s_waitcnt lgkmcnt(0)
	v_cmp_lt_i64_e64 s[0:1], s[28:29], 1
	s_and_b64 vcc, exec, s[0:1]
	s_cbranch_vccz .LBB134_18
	s_branch .LBB134_104
.LBB134_16:
	s_waitcnt lgkmcnt(0)
	s_lshl_b64 s[2:3], s[6:7], 3
	s_add_u32 s2, s60, s2
	s_addc_u32 s3, s61, s3
	s_load_dwordx2 s[2:3], s[2:3], 0x0
	s_waitcnt lgkmcnt(0)
	s_sub_u32 s2, s2, s40
	s_subb_u32 s3, s3, 0
	v_writelane_b32 v66, s2, 10
	v_writelane_b32 v66, s3, 11
	s_and_b64 vcc, exec, s[0:1]
	s_mov_b64 s[70:71], 0
	s_cbranch_vccnz .LBB134_15
.LBB134_17:
	s_waitcnt lgkmcnt(0)
	s_lshl_b64 s[0:1], s[6:7], 3
	s_add_u32 s0, s60, s0
	s_addc_u32 s1, s61, s1
	s_load_dwordx2 s[0:1], s[0:1], 0x8
	s_waitcnt lgkmcnt(0)
	s_sub_u32 s70, s0, s40
	s_subb_u32 s71, s1, 0
	s_load_dwordx4 s[28:31], s[4:5], 0x8
	s_waitcnt lgkmcnt(0)
	v_cmp_lt_i64_e64 s[0:1], s[28:29], 1
	s_and_b64 vcc, exec, s[0:1]
	s_cbranch_vccnz .LBB134_104
.LBB134_18:
	s_load_dwordx8 s[44:51], s[4:5], 0x70
	s_lshl_b64 s[6:7], s[6:7], 3
	s_load_dword s14, s[4:5], 0x0
	v_readlane_b32 s4, v66, 10
	v_pk_mov_b32 v[6:7], s[70:71], s[70:71] op_sel:[0,1]
	s_waitcnt lgkmcnt(0)
	s_add_u32 s0, s48, s6
	s_addc_u32 s1, s49, s7
	s_load_dwordx2 s[0:1], s[0:1], 0x0
	v_readlane_b32 s5, v66, 11
	v_cmp_lt_i64_e32 vcc, s[4:5], v[6:7]
	s_mul_i32 s4, s30, s31
	s_mul_hi_u32 s5, s30, s30
	s_waitcnt lgkmcnt(0)
	s_sub_u32 s26, s0, s42
	v_bfe_u32 v16, v0, 1, 1
	s_subb_u32 s27, s1, 0
	s_add_i32 s5, s5, s4
	s_add_i32 s49, s5, s4
	v_mad_u64_u32 v[6:7], s[4:5], v16, s30, 0
	v_lshlrev_b32_e32 v9, 3, v0
	v_mov_b32_e32 v8, v7
	v_mad_u64_u32 v[10:11], s[4:5], v16, s31, v[8:9]
	v_mov_b32_e32 v7, v10
	v_lshlrev_b64 v[10:11], 3, v[6:7]
	v_and_b32_e32 v4, 1, v0
	v_mov_b32_e32 v6, s65
	v_add_co_u32_e64 v8, s[4:5], s64, v10
	v_addc_co_u32_e64 v12, s[4:5], v6, v11, s[4:5]
	v_lshlrev_b32_e32 v6, 3, v4
	v_mov_b32_e32 v3, 0
	v_add_co_u32_e64 v39, s[4:5], v8, v6
	v_mov_b32_e32 v5, v3
	v_mov_b32_e32 v17, v3
	v_addc_co_u32_e64 v40, s[4:5], 0, v12, s[4:5]
	v_mul_lo_u32 v13, v4, s31
	v_mul_lo_u32 v12, v4, s30
	v_cmp_gt_i64_e64 s[10:11], s[30:31], v[4:5]
	v_cmp_gt_i64_e64 s[4:5], s[30:31], v[16:17]
	v_lshlrev_b64 v[12:13], 3, v[12:13]
	s_and_b64 s[60:61], s[10:11], s[4:5]
	v_mov_b32_e32 v5, s37
	v_add_co_u32_e64 v8, s[4:5], s36, v12
	v_cmp_gt_u64_e64 s[8:9], s[30:31], v[16:17]
	v_lshlrev_b64 v[14:15], 3, v[16:17]
	v_addc_co_u32_e64 v17, s[4:5], v5, v13, s[4:5]
	v_add_co_u32_e64 v8, s[4:5], v8, v14
	v_addc_co_u32_e64 v17, s[4:5], v17, v15, s[4:5]
	v_add_co_u32_e64 v18, s[4:5], s36, v10
	v_addc_co_u32_e64 v5, s[4:5], v5, v11, s[4:5]
	s_cmp_eq_u32 s14, 0
	v_add_co_u32_e64 v18, s[4:5], v18, v6
	v_addc_co_u32_e64 v5, s[4:5], 0, v5, s[4:5]
	s_cselect_b64 s[24:25], -1, 0
	s_cmp_lg_u32 s14, 0
	s_cselect_b64 s[36:37], -1, 0
	s_add_u32 s4, s58, s6
	s_addc_u32 s5, s59, s7
	v_lshrrev_b32_e32 v2, 2, v0
	v_writelane_b32 v66, s4, 12
	v_writelane_b32 v66, s5, 13
	v_subrev_co_u32_e64 v42, s[4:5], s43, v2
	v_subb_co_u32_e64 v43, s[4:5], 0, 0, s[4:5]
	v_mov_b32_e32 v19, s47
	v_add_co_u32_e64 v12, s[4:5], s46, v12
	v_addc_co_u32_e64 v13, s[4:5], v19, v13, s[4:5]
	v_add_co_u32_e64 v12, s[4:5], v12, v14
	v_addc_co_u32_e64 v13, s[4:5], v13, v15, s[4:5]
	v_add_co_u32_e64 v10, s[4:5], s46, v10
	s_and_b64 s[46:47], s[12:13], vcc
	s_and_b64 s[64:65], s[10:11], s[8:9]
	s_mov_b32 s45, s43
	s_add_u32 s43, s66, 8
	s_addc_u32 s57, s67, 0
	v_addc_co_u32_e64 v11, s[4:5], v19, v11, s[4:5]
	s_add_u32 s58, s50, -8
	v_add_co_u32_e64 v10, s[4:5], v10, v6
	s_addc_u32 s59, s51, -1
	v_and_b32_e32 v1, 3, v0
	v_addc_co_u32_e64 v11, s[4:5], 0, v11, s[4:5]
	s_add_u32 s50, s54, 4
	v_cmp_eq_u32_e64 s[4:5], 3, v1
	v_lshlrev_b32_e32 v1, 2, v0
	s_addc_u32 s51, s55, 0
	v_or_b32_e32 v44, 0x2800, v1
	v_add_u32_e32 v46, 0x27f8, v1
	v_add_u32_e32 v47, 0x27f0, v1
	;; [unrolled: 1-line block ×7, first 2 shown]
	v_cndmask_b32_e64 v1, v17, v5, s[24:25]
	v_cndmask_b32_e64 v5, v13, v11, s[24:25]
	;; [unrolled: 1-line block ×3, first 2 shown]
	v_mov_b32_e32 v11, s51
	v_add_co_u32_e32 v10, vcc, s50, v6
	v_addc_co_u32_e32 v11, vcc, 0, v11, vcc
	v_add_co_u32_e32 v12, vcc, 4, v12
	v_addc_co_u32_e32 v13, vcc, 0, v5, vcc
	v_lshlrev_b32_e32 v5, 3, v16
	s_movk_i32 s0, 0x100
	s_movk_i32 s22, 0x7f
	v_lshl_or_b32 v5, v2, 5, v5
	v_cmp_gt_u32_e64 s[0:1], s0, v0
	v_cmp_eq_u32_e64 s[2:3], 0, v0
	v_and_b32_e32 v41, 2, v0
	v_add_co_u32_e64 v14, s[6:7], -1, v0
	v_cmp_ne_u32_e64 s[8:9], 0, v0
	v_cmp_lt_u32_e64 s[10:11], 1, v0
	v_cmp_lt_u32_e64 s[12:13], 3, v0
	v_cmp_lt_u32_e64 s[14:15], 7, v0
	v_cmp_lt_u32_e64 s[16:17], 15, v0
	v_cmp_lt_u32_e64 s[18:19], 31, v0
	v_cmp_lt_u32_e64 s[20:21], 63, v0
	v_cmp_lt_u32_e64 s[22:23], s22, v0
	v_or_b32_e32 v53, 0xffffff00, v0
	v_add_u32_e32 v56, 0x2000, v5
	v_and_b32_e32 v5, 0x7f0, v9
	v_and_b32_e32 v0, 0xfc, v0
	s_mov_b32 s95, 0
	s_mul_i32 s48, s30, s30
	v_mov_b32_e32 v15, 0x2800
	v_cndmask_b32_e64 v8, v8, v18, s[24:25]
	v_add_co_u32_e32 v54, vcc, 64, v42
	v_or_b32_e32 v57, 0x2000, v5
	v_or3_b32 v5, v0, v41, v4
	v_mov_b32_e32 v18, 0x100
	v_or_b32_e32 v38, 0x2000, v9
	v_mov_b32_e32 v7, v3
	s_mov_b32 s44, s95
	s_mov_b32 s56, s95
	v_lshl_add_u32 v45, v14, 2, v15
	v_addc_co_u32_e32 v55, vcc, 0, v43, vcc
	s_lshl_b64 s[54:55], s[30:31], 3
	v_pk_mov_b32 v[14:15], s[26:27], s[26:27] op_sel:[0,1]
	s_lshl_b64 s[72:73], s[48:49], 3
	v_lshlrev_b32_e32 v58, 3, v5
	v_or_b32_e32 v59, 0x2800, v0
	v_mov_b32_e32 v19, 0
	s_movk_i32 s68, 0x2ff
	v_mov_b32_e32 v60, 1
	s_movk_i32 s69, 0xbf
	v_mov_b32_e32 v16, v3
	v_mov_b32_e32 v17, v3
	s_lshl_b64 s[74:75], s[48:49], 9
	s_mov_b64 s[76:77], 0
	s_branch .LBB134_20
.LBB134_19:                             ;   in Loop: Header=BB134_20 Depth=1
	s_or_b64 exec, exec, s[24:25]
	s_barrier
	ds_read_b64 v[22:23], v3 offset:11264
	v_ashrrev_i32_e32 v0, 31, v20
	v_add_co_u32_e32 v14, vcc, v14, v20
	v_addc_co_u32_e32 v15, vcc, v15, v0, vcc
	s_waitcnt lgkmcnt(0)
	v_add_co_u32_e32 v18, vcc, 0x100, v22
	v_addc_co_u32_e32 v19, vcc, 0, v23, vcc
	v_cmp_le_i64_e32 vcc, s[28:29], v[22:23]
	v_readfirstlane_b32 s76, v22
	v_readfirstlane_b32 s77, v23
	s_barrier
	s_cbranch_vccnz .LBB134_104
.LBB134_20:                             ; =>This Loop Header: Depth=1
                                        ;     Child Loop BB134_23 Depth 2
                                        ;     Child Loop BB134_29 Depth 2
                                        ;       Child Loop BB134_45 Depth 3
                                        ;         Child Loop BB134_57 Depth 4
                                        ;         Child Loop BB134_53 Depth 4
                                        ;     Child Loop BB134_67 Depth 2
                                        ;     Child Loop BB134_76 Depth 2
	;; [unrolled: 1-line block ×3, first 2 shown]
	s_and_saveexec_b64 s[24:25], s[0:1]
	s_cbranch_execz .LBB134_22
; %bb.21:                               ;   in Loop: Header=BB134_20 Depth=1
	ds_write_b32 v44, v3
.LBB134_22:                             ;   in Loop: Header=BB134_20 Depth=1
	s_or_b64 exec, exec, s[24:25]
	s_mov_b64 s[24:25], 0
	v_mov_b32_e32 v0, v9
	v_mov_b32_e32 v5, v53
.LBB134_23:                             ;   Parent Loop BB134_20 Depth=1
                                        ; =>  This Inner Loop Header: Depth=2
	v_add_u32_e32 v5, 0x100, v5
	v_cmp_lt_u32_e32 vcc, s68, v5
	ds_write_b64 v0, v[16:17]
	s_or_b64 s[24:25], vcc, s[24:25]
	v_add_u32_e32 v0, 0x800, v0
	s_andn2_b64 exec, exec, s[24:25]
	s_cbranch_execnz .LBB134_23
; %bb.24:                               ;   in Loop: Header=BB134_20 Depth=1
	s_or_b64 exec, exec, s[24:25]
	s_and_saveexec_b64 s[24:25], s[2:3]
	s_cbranch_execz .LBB134_26
; %bb.25:                               ;   in Loop: Header=BB134_20 Depth=1
	v_pk_mov_b32 v[20:21], s[28:29], s[28:29] op_sel:[0,1]
	ds_write_b64 v3, v[20:21] offset:11264
.LBB134_26:                             ;   in Loop: Header=BB134_20 Depth=1
	s_or_b64 exec, exec, s[24:25]
	s_andn2_b64 vcc, exec, s[46:47]
	v_pk_mov_b32 v[20:21], s[28:29], s[28:29] op_sel:[0,1]
	s_waitcnt lgkmcnt(0)
	s_barrier
	s_cbranch_vccnz .LBB134_62
; %bb.27:                               ;   in Loop: Header=BB134_20 Depth=1
	s_cmp_lg_u64 s[76:77], 0
	v_readlane_b32 s80, v66, 10
	s_cselect_b64 s[78:79], -1, 0
	v_pk_mov_b32 v[20:21], s[28:29], s[28:29] op_sel:[0,1]
	v_readlane_b32 s81, v66, 11
	s_branch .LBB134_29
.LBB134_28:                             ;   in Loop: Header=BB134_29 Depth=2
	s_or_b64 exec, exec, s[26:27]
	s_add_u32 s80, s80, 64
	s_addc_u32 s81, s81, 0
	v_pk_mov_b32 v[22:23], s[70:71], s[70:71] op_sel:[0,1]
	v_cmp_lt_i64_e32 vcc, s[80:81], v[22:23]
	s_cbranch_vccz .LBB134_62
.LBB134_29:                             ;   Parent Loop BB134_20 Depth=1
                                        ; =>  This Loop Header: Depth=2
                                        ;       Child Loop BB134_45 Depth 3
                                        ;         Child Loop BB134_57 Depth 4
                                        ;         Child Loop BB134_53 Depth 4
	v_mov_b32_e32 v0, s81
	v_add_co_u32_e32 v22, vcc, s80, v2
	v_addc_co_u32_e32 v23, vcc, 0, v0, vcc
	v_cmp_gt_i64_e64 s[24:25], s[70:71], v[22:23]
	s_barrier
	s_and_saveexec_b64 s[26:27], s[24:25]
	s_cbranch_execz .LBB134_34
; %bb.30:                               ;   in Loop: Header=BB134_29 Depth=2
	s_and_saveexec_b64 s[82:83], s[64:65]
	s_xor_b64 s[82:83], exec, s[82:83]
	s_cbranch_execz .LBB134_32
; %bb.31:                               ;   in Loop: Header=BB134_29 Depth=2
	v_mul_lo_u32 v0, v23, s48
	v_mul_lo_u32 v5, v22, s49
	v_mad_u64_u32 v[24:25], s[84:85], v22, s48, 0
	v_add3_u32 v25, v25, v5, v0
	v_lshlrev_b64 v[24:25], 3, v[24:25]
	v_add_co_u32_e32 v24, vcc, v39, v24
	v_addc_co_u32_e32 v25, vcc, v40, v25, vcc
	global_load_dwordx2 v[24:25], v[24:25], off
	s_waitcnt vmcnt(0)
	ds_write_b64 v38, v[24:25]
.LBB134_32:                             ;   in Loop: Header=BB134_29 Depth=2
	s_andn2_saveexec_b64 s[82:83], s[82:83]
	s_cbranch_execz .LBB134_34
; %bb.33:                               ;   in Loop: Header=BB134_29 Depth=2
	ds_write_b64 v38, v[16:17]
.LBB134_34:                             ;   in Loop: Header=BB134_29 Depth=2
	s_or_b64 exec, exec, s[26:27]
	v_pk_mov_b32 v[24:25], 0, 0
	v_lshlrev_b64 v[22:23], 3, v[22:23]
	s_waitcnt lgkmcnt(0)
	s_barrier
	s_and_saveexec_b64 s[82:83], s[24:25]
	s_cbranch_execz .LBB134_60
; %bb.35:                               ;   in Loop: Header=BB134_29 Depth=2
	v_mov_b32_e32 v0, s63
	v_add_co_u32_e32 v24, vcc, s62, v22
	v_addc_co_u32_e32 v25, vcc, v0, v23, vcc
	global_load_dwordx2 v[26:27], v[24:25], off
	s_and_b64 vcc, exec, s[78:79]
	s_cbranch_vccz .LBB134_37
; %bb.36:                               ;   in Loop: Header=BB134_29 Depth=2
	v_mov_b32_e32 v0, s39
	v_add_co_u32_e32 v24, vcc, s38, v22
	v_addc_co_u32_e32 v25, vcc, v0, v23, vcc
	global_load_dwordx2 v[24:25], v[24:25], off
	s_mov_b64 s[26:27], 0
	s_branch .LBB134_38
.LBB134_37:                             ;   in Loop: Header=BB134_29 Depth=2
	s_mov_b64 s[26:27], -1
                                        ; implicit-def: $vgpr24_vgpr25
.LBB134_38:                             ;   in Loop: Header=BB134_29 Depth=2
	v_mov_b32_e32 v0, s44
	s_waitcnt vmcnt(0)
	v_subrev_co_u32_e32 v26, vcc, s40, v26
	v_subb_co_u32_e32 v27, vcc, v27, v0, vcc
	s_andn2_b64 vcc, exec, s[26:27]
	v_lshlrev_b64 v[26:27], 3, v[26:27]
	s_cbranch_vccnz .LBB134_40
; %bb.39:                               ;   in Loop: Header=BB134_29 Depth=2
	v_mov_b32_e32 v0, s67
	v_add_co_u32_e32 v24, vcc, s66, v26
	v_addc_co_u32_e32 v25, vcc, v0, v27, vcc
	global_load_dwordx2 v[24:25], v[24:25], off
	v_mov_b32_e32 v0, s95
	s_waitcnt vmcnt(0)
	v_subrev_co_u32_e32 v24, vcc, s41, v24
	v_subb_co_u32_e32 v25, vcc, v25, v0, vcc
.LBB134_40:                             ;   in Loop: Header=BB134_29 Depth=2
	v_mov_b32_e32 v0, s57
	v_add_co_u32_e32 v26, vcc, s43, v26
	v_addc_co_u32_e32 v27, vcc, v0, v27, vcc
	global_load_dwordx2 v[26:27], v[26:27], off
	v_mov_b32_e32 v0, s95
	s_waitcnt vmcnt(0)
	v_subrev_co_u32_e32 v26, vcc, s41, v26
	v_subb_co_u32_e32 v27, vcc, v27, v0, vcc
	v_cmp_lt_i64_e32 vcc, v[24:25], v[26:27]
	s_and_saveexec_b64 s[84:85], vcc
	s_cbranch_execz .LBB134_59
; %bb.41:                               ;   in Loop: Header=BB134_29 Depth=2
	v_mad_u64_u32 v[28:29], s[26:27], s54, v24, v[6:7]
	v_mul_lo_u32 v0, s54, v25
	v_mul_lo_u32 v5, s55, v24
	v_add3_u32 v0, v5, v29, v0
	v_pk_mov_b32 v[30:31], s[50:51], s[50:51] op_sel:[0,1]
	v_mul_lo_u32 v5, s31, v28
	v_mul_lo_u32 v0, s30, v0
	v_mad_u64_u32 v[28:29], s[26:27], s30, v28, v[30:31]
	v_add3_u32 v29, v5, v29, v0
	v_mad_u64_u32 v[30:31], s[26:27], s72, v24, v[10:11]
	v_mul_lo_u32 v0, s72, v25
	v_mul_lo_u32 v5, s73, v24
	v_add3_u32 v31, v5, v31, v0
	s_mov_b64 s[86:87], 0
	v_pk_mov_b32 v[32:33], v[24:25], v[24:25] op_sel:[0,1]
	s_branch .LBB134_45
.LBB134_42:                             ;   in Loop: Header=BB134_45 Depth=3
	v_or3_b32 v0, v0, v41, v4
	v_mul_f32_e64 v5, v35, -s35
	v_lshlrev_b32_e32 v0, 3, v0
	v_fmac_f32_e32 v5, s33, v34
	v_mul_f32_e32 v35, s33, v35
	v_fmac_f32_e32 v35, s35, v34
	ds_add_f32 v0, v5
	ds_add_f32 v0, v35 offset:4
.LBB134_43:                             ;   in Loop: Header=BB134_45 Depth=3
	s_or_b64 exec, exec, s[90:91]
	s_or_b64 s[26:27], s[26:27], exec
.LBB134_44:                             ;   in Loop: Header=BB134_45 Depth=3
	s_or_b64 exec, exec, s[88:89]
	v_add_co_u32_e32 v32, vcc, 1, v32
	v_addc_co_u32_e32 v33, vcc, 0, v33, vcc
	v_cmp_ge_i64_e32 vcc, v[32:33], v[26:27]
	s_xor_b64 s[26:27], s[26:27], -1
	s_or_b64 s[26:27], s[26:27], vcc
	v_mov_b32_e32 v0, s73
	v_add_co_u32_e32 v28, vcc, s72, v28
	v_addc_co_u32_e32 v29, vcc, v29, v0, vcc
	s_and_b64 s[26:27], exec, s[26:27]
	v_add_co_u32_e32 v30, vcc, s72, v30
	s_or_b64 s[86:87], s[26:27], s[86:87]
	v_addc_co_u32_e32 v31, vcc, v31, v0, vcc
	s_andn2_b64 exec, exec, s[86:87]
	s_cbranch_execz .LBB134_58
.LBB134_45:                             ;   Parent Loop BB134_20 Depth=1
                                        ;     Parent Loop BB134_29 Depth=2
                                        ; =>    This Loop Header: Depth=3
                                        ;         Child Loop BB134_57 Depth 4
                                        ;         Child Loop BB134_53 Depth 4
	v_lshlrev_b64 v[34:35], 3, v[32:33]
	v_mov_b32_e32 v0, s53
	v_add_co_u32_e32 v34, vcc, s52, v34
	v_addc_co_u32_e32 v35, vcc, v0, v35, vcc
	global_load_dwordx2 v[34:35], v[34:35], off
	v_mov_b32_e32 v0, s95
	s_waitcnt vmcnt(0)
	v_subrev_co_u32_e32 v34, vcc, s41, v34
	v_subb_co_u32_e32 v35, vcc, v35, v0, vcc
	v_cmp_gt_i64_e64 s[26:27], s[76:77], v[34:35]
	v_cmp_ge_i64_e32 vcc, v[34:35], v[18:19]
	s_or_b64 s[88:89], s[26:27], vcc
                                        ; implicit-def: $sgpr26_sgpr27
	s_and_saveexec_b64 s[90:91], s[88:89]
	s_xor_b64 s[88:89], exec, s[90:91]
	s_cbranch_execz .LBB134_49
; %bb.46:                               ;   in Loop: Header=BB134_45 Depth=3
	s_mov_b64 s[26:27], -1
	s_and_saveexec_b64 s[90:91], vcc
; %bb.47:                               ;   in Loop: Header=BB134_45 Depth=3
	v_cmp_lt_i64_e32 vcc, v[34:35], v[20:21]
	v_cndmask_b32_e32 v21, v21, v35, vcc
	v_cndmask_b32_e32 v20, v20, v34, vcc
	s_xor_b64 s[26:27], exec, -1
	v_pk_mov_b32 v[24:25], v[32:33], v[32:33] op_sel:[0,1]
; %bb.48:                               ;   in Loop: Header=BB134_45 Depth=3
	s_or_b64 exec, exec, s[90:91]
	s_and_b64 s[26:27], s[26:27], exec
                                        ; implicit-def: $vgpr34_vgpr35
.LBB134_49:                             ;   in Loop: Header=BB134_45 Depth=3
	s_andn2_saveexec_b64 s[88:89], s[88:89]
	s_cbranch_execz .LBB134_44
; %bb.50:                               ;   in Loop: Header=BB134_45 Depth=3
	v_subrev_u32_e32 v0, s76, v34
	v_lshlrev_b32_e32 v0, 2, v0
	ds_write_b32 v0, v60 offset:10240
	s_and_saveexec_b64 s[90:91], s[60:61]
	s_cbranch_execz .LBB134_43
; %bb.51:                               ;   in Loop: Header=BB134_45 Depth=3
	s_andn2_b64 vcc, exec, s[36:37]
	s_cbranch_vccnz .LBB134_55
; %bb.52:                               ;   in Loop: Header=BB134_45 Depth=3
	v_mov_b32_e32 v34, 0
	v_mov_b32_e32 v5, v56
	s_mov_b64 s[92:93], s[30:31]
	v_pk_mov_b32 v[36:37], v[28:29], v[28:29] op_sel:[0,1]
	v_mov_b32_e32 v35, v34
.LBB134_53:                             ;   Parent Loop BB134_20 Depth=1
                                        ;     Parent Loop BB134_29 Depth=2
                                        ;       Parent Loop BB134_45 Depth=3
                                        ; =>      This Inner Loop Header: Depth=4
	global_load_dwordx2 v[62:63], v[36:37], off offset:-4
	ds_read_b64 v[64:65], v5
	s_add_u32 s92, s92, -1
	v_add_co_u32_e32 v36, vcc, 8, v36
	s_addc_u32 s93, s93, -1
	v_add_u32_e32 v5, 16, v5
	v_addc_co_u32_e32 v37, vcc, 0, v37, vcc
	s_cmp_lg_u64 s[92:93], 0
	s_waitcnt vmcnt(0) lgkmcnt(0)
	v_pk_fma_f32 v[34:35], v[64:65], v[62:63], v[34:35] op_sel_hi:[1,0,1]
	v_pk_fma_f32 v[34:35], v[64:65], v[62:63], v[34:35] op_sel:[1,1,0] op_sel_hi:[0,1,1] neg_lo:[1,0,0]
	s_cbranch_scc1 .LBB134_53
; %bb.54:                               ;   in Loop: Header=BB134_45 Depth=3
	s_branch .LBB134_42
.LBB134_55:                             ;   in Loop: Header=BB134_45 Depth=3
                                        ; implicit-def: $vgpr35
	s_cbranch_execz .LBB134_42
; %bb.56:                               ;   in Loop: Header=BB134_45 Depth=3
	v_mov_b32_e32 v34, 0
	v_mov_b32_e32 v5, v57
	v_pk_mov_b32 v[36:37], v[30:31], v[30:31] op_sel:[0,1]
	s_mov_b64 s[92:93], s[30:31]
	v_mov_b32_e32 v35, v34
.LBB134_57:                             ;   Parent Loop BB134_20 Depth=1
                                        ;     Parent Loop BB134_29 Depth=2
                                        ;       Parent Loop BB134_45 Depth=3
                                        ; =>      This Inner Loop Header: Depth=4
	global_load_dwordx2 v[62:63], v[36:37], off offset:-4
	ds_read_b64 v[64:65], v5
	s_add_u32 s92, s92, -1
	v_mov_b32_e32 v61, s55
	v_add_co_u32_e32 v36, vcc, s54, v36
	s_addc_u32 s93, s93, -1
	v_add_u32_e32 v5, 8, v5
	v_addc_co_u32_e32 v37, vcc, v37, v61, vcc
	s_cmp_eq_u64 s[92:93], 0
	s_waitcnt vmcnt(0) lgkmcnt(0)
	v_pk_fma_f32 v[34:35], v[64:65], v[62:63], v[34:35] op_sel_hi:[1,0,1]
	v_pk_fma_f32 v[34:35], v[64:65], v[62:63], v[34:35] op_sel:[1,1,0] op_sel_hi:[0,1,1] neg_lo:[1,0,0]
	s_cbranch_scc0 .LBB134_57
	s_branch .LBB134_42
.LBB134_58:                             ;   in Loop: Header=BB134_29 Depth=2
	s_or_b64 exec, exec, s[86:87]
.LBB134_59:                             ;   in Loop: Header=BB134_29 Depth=2
	s_or_b64 exec, exec, s[84:85]
.LBB134_60:                             ;   in Loop: Header=BB134_29 Depth=2
	s_or_b64 exec, exec, s[82:83]
	s_waitcnt lgkmcnt(0)
	s_barrier
	s_and_saveexec_b64 s[26:27], s[24:25]
	s_cbranch_execz .LBB134_28
; %bb.61:                               ;   in Loop: Header=BB134_29 Depth=2
	v_mov_b32_e32 v0, s39
	v_add_co_u32_e32 v22, vcc, s38, v22
	v_addc_co_u32_e32 v23, vcc, v0, v23, vcc
	global_store_dwordx2 v[22:23], v[24:25], off
	s_branch .LBB134_28
.LBB134_62:                             ;   in Loop: Header=BB134_20 Depth=1
	v_readlane_b32 s24, v66, 8
	v_readlane_b32 s25, v66, 9
	s_andn2_b64 vcc, exec, s[24:25]
	s_cbranch_vccnz .LBB134_74
; %bb.63:                               ;   in Loop: Header=BB134_20 Depth=1
	v_readlane_b32 s24, v66, 12
	v_readlane_b32 s25, v66, 13
	s_load_dwordx4 s[24:27], s[24:25], 0x0
	s_waitcnt lgkmcnt(0)
	s_sub_u32 s26, s26, s45
	v_mov_b32_e32 v0, s25
	v_add_co_u32_e32 v26, vcc, s24, v42
	s_subb_u32 s27, s27, 0
	v_addc_co_u32_e32 v27, vcc, v0, v43, vcc
	v_cmp_gt_i64_e32 vcc, s[26:27], v[26:27]
	s_and_saveexec_b64 s[78:79], vcc
	s_cbranch_execz .LBB134_73
; %bb.64:                               ;   in Loop: Header=BB134_20 Depth=1
	v_readlane_b32 s80, v66, 0
	v_lshlrev_b64 v[22:23], 3, v[26:27]
	v_readlane_b32 s81, v66, 1
	v_mov_b32_e32 v0, s81
	v_add_co_u32_e32 v22, vcc, s80, v22
	v_addc_co_u32_e32 v23, vcc, v0, v23, vcc
	v_mad_u64_u32 v[24:25], s[80:81], s72, v26, v[12:13]
	v_mul_lo_u32 v0, s72, v27
	v_mul_lo_u32 v5, s73, v26
	v_add3_u32 v25, v5, v25, v0
	v_mov_b32_e32 v0, s25
	v_add_co_u32_e32 v26, vcc, s24, v54
	v_addc_co_u32_e32 v27, vcc, v55, v0, vcc
	s_mov_b64 s[80:81], 0
	v_readlane_b32 s82, v66, 2
	v_readlane_b32 s83, v66, 3
	;; [unrolled: 1-line block ×6, first 2 shown]
	s_branch .LBB134_67
.LBB134_65:                             ;   in Loop: Header=BB134_67 Depth=2
	s_or_b64 exec, exec, s[84:85]
	s_or_b64 s[24:25], s[24:25], exec
.LBB134_66:                             ;   in Loop: Header=BB134_67 Depth=2
	s_or_b64 exec, exec, s[82:83]
	v_cmp_le_i64_e32 vcc, s[26:27], v[26:27]
	s_xor_b64 s[24:25], s[24:25], -1
	s_or_b64 s[24:25], s[24:25], vcc
	v_add_co_u32_e32 v22, vcc, 0x200, v22
	v_addc_co_u32_e32 v23, vcc, 0, v23, vcc
	v_mov_b32_e32 v0, s75
	v_add_co_u32_e32 v24, vcc, s74, v24
	v_addc_co_u32_e32 v25, vcc, v25, v0, vcc
	s_and_b64 s[24:25], exec, s[24:25]
	v_add_co_u32_e32 v26, vcc, 64, v26
	s_or_b64 s[80:81], s[24:25], s[80:81]
	v_addc_co_u32_e32 v27, vcc, 0, v27, vcc
	s_andn2_b64 exec, exec, s[80:81]
	s_cbranch_execz .LBB134_72
.LBB134_67:                             ;   Parent Loop BB134_20 Depth=1
                                        ; =>  This Inner Loop Header: Depth=2
	global_load_dwordx2 v[28:29], v[22:23], off
	v_mov_b32_e32 v0, s56
	s_waitcnt vmcnt(0)
	v_subrev_co_u32_e32 v28, vcc, s45, v28
	v_subb_co_u32_e32 v29, vcc, v29, v0, vcc
	v_cmp_lt_i64_e32 vcc, v[28:29], v[18:19]
	v_cmp_gt_i64_e64 s[24:25], s[76:77], v[28:29]
	s_xor_b64 s[82:83], vcc, -1
	s_or_b64 s[82:83], s[24:25], s[82:83]
                                        ; implicit-def: $sgpr24_sgpr25
	s_and_saveexec_b64 s[84:85], s[82:83]
	s_xor_b64 s[82:83], exec, s[84:85]
; %bb.68:                               ;   in Loop: Header=BB134_67 Depth=2
	v_cmp_lt_i64_e64 s[24:25], v[28:29], v[20:21]
	v_cndmask_b32_e64 v0, v20, v28, s[24:25]
	v_cndmask_b32_e64 v5, v21, v29, s[24:25]
	v_cndmask_b32_e32 v21, v5, v21, vcc
	v_cndmask_b32_e32 v20, v0, v20, vcc
	s_and_b64 s[24:25], vcc, exec
                                        ; implicit-def: $vgpr28
; %bb.69:                               ;   in Loop: Header=BB134_67 Depth=2
	s_andn2_saveexec_b64 s[82:83], s[82:83]
	s_cbranch_execz .LBB134_66
; %bb.70:                               ;   in Loop: Header=BB134_67 Depth=2
	v_subrev_u32_e32 v0, s76, v28
	v_lshlrev_b32_e32 v0, 2, v0
	ds_write_b32 v0, v60 offset:10240
	s_and_saveexec_b64 s[84:85], s[64:65]
	s_cbranch_execz .LBB134_65
; %bb.71:                               ;   in Loop: Header=BB134_67 Depth=2
	global_load_dwordx2 v[28:29], v[24:25], off offset:-4
	v_or3_b32 v0, v0, v41, v4
	v_lshlrev_b32_e32 v0, 3, v0
	s_waitcnt vmcnt(0)
	v_mul_f32_e64 v5, v29, -s94
	v_mul_f32_e32 v29, s34, v29
	v_fmac_f32_e32 v5, s34, v28
	v_fmac_f32_e32 v29, s94, v28
	ds_add_f32 v0, v5
	ds_add_f32 v0, v29 offset:4
	s_branch .LBB134_65
.LBB134_72:                             ;   in Loop: Header=BB134_20 Depth=1
	s_or_b64 exec, exec, s[80:81]
.LBB134_73:                             ;   in Loop: Header=BB134_20 Depth=1
	s_or_b64 exec, exec, s[78:79]
.LBB134_74:                             ;   in Loop: Header=BB134_20 Depth=1
	s_and_saveexec_b64 s[24:25], s[4:5]
	s_cbranch_execz .LBB134_79
; %bb.75:                               ;   in Loop: Header=BB134_20 Depth=1
	s_mov_b64 s[78:79], exec
	s_mov_b64 s[26:27], -1
.LBB134_76:                             ;   Parent Loop BB134_20 Depth=1
                                        ; =>  This Inner Loop Header: Depth=2
	s_ff1_i32_b64 s82, s[78:79]
	v_readlane_b32 s83, v21, s82
	v_readlane_b32 s84, v20, s82
	v_mov_b32_e32 v18, s84
	v_mov_b32_e32 v19, s83
	v_cmp_lt_u64_e32 vcc, s[26:27], v[18:19]
	s_and_b64 s[80:81], vcc, exec
	s_cselect_b32 s27, s27, s83
	s_cselect_b32 s26, s26, s84
	s_lshl_b64 s[80:81], 1, s82
	s_andn2_b64 s[78:79], s[78:79], s[80:81]
	s_cmp_lg_u64 s[78:79], 0
	s_cbranch_scc1 .LBB134_76
; %bb.77:                               ;   in Loop: Header=BB134_20 Depth=1
	v_mbcnt_lo_u32_b32 v0, exec_lo, 0
	v_mbcnt_hi_u32_b32 v0, exec_hi, v0
	v_cmp_eq_u32_e32 vcc, 0, v0
	s_and_saveexec_b64 s[78:79], vcc
	s_xor_b64 s[78:79], exec, s[78:79]
	s_cbranch_execz .LBB134_79
; %bb.78:                               ;   in Loop: Header=BB134_20 Depth=1
	v_pk_mov_b32 v[18:19], s[26:27], s[26:27] op_sel:[0,1]
	ds_min_u64 v3, v[18:19] offset:11264
.LBB134_79:                             ;   in Loop: Header=BB134_20 Depth=1
	s_or_b64 exec, exec, s[24:25]
	s_waitcnt lgkmcnt(0)
	s_barrier
	ds_read_b32 v0, v44
	s_waitcnt lgkmcnt(0)
	s_barrier
	s_and_saveexec_b64 s[24:25], s[8:9]
	s_cbranch_execz .LBB134_81
; %bb.80:                               ;   in Loop: Header=BB134_20 Depth=1
	ds_read_b32 v5, v45
	s_waitcnt lgkmcnt(0)
	v_add_u32_e32 v0, v5, v0
.LBB134_81:                             ;   in Loop: Header=BB134_20 Depth=1
	s_or_b64 exec, exec, s[24:25]
	s_barrier
	ds_write_b32 v44, v0
	s_waitcnt lgkmcnt(0)
	s_barrier
	s_and_saveexec_b64 s[24:25], s[10:11]
	s_cbranch_execz .LBB134_83
; %bb.82:                               ;   in Loop: Header=BB134_20 Depth=1
	ds_read_b32 v5, v46
	s_waitcnt lgkmcnt(0)
	v_add_u32_e32 v0, v5, v0
.LBB134_83:                             ;   in Loop: Header=BB134_20 Depth=1
	s_or_b64 exec, exec, s[24:25]
	s_barrier
	ds_write_b32 v44, v0
	;; [unrolled: 12-line block ×8, first 2 shown]
	s_waitcnt lgkmcnt(0)
	s_barrier
	ds_read_b32 v20, v3 offset:11260
	v_mov_b32_e32 v5, 0
	s_and_saveexec_b64 s[24:25], s[6:7]
	s_cbranch_execz .LBB134_97
; %bb.96:                               ;   in Loop: Header=BB134_20 Depth=1
	ds_read_b32 v5, v45
.LBB134_97:                             ;   in Loop: Header=BB134_20 Depth=1
	s_or_b64 exec, exec, s[24:25]
	s_waitcnt lgkmcnt(0)
	v_cmp_eq_u32_e32 vcc, v0, v5
	s_and_b64 s[26:27], s[6:7], vcc
	s_barrier
	s_and_saveexec_b64 s[24:25], s[26:27]
	s_cbranch_execz .LBB134_99
; %bb.98:                               ;   in Loop: Header=BB134_20 Depth=1
	ds_write_b32 v44, v3
.LBB134_99:                             ;   in Loop: Header=BB134_20 Depth=1
	s_or_b64 exec, exec, s[24:25]
	v_add_co_u32_e32 v21, vcc, -1, v14
	s_add_u32 s76, s42, s76
	v_addc_co_u32_e32 v22, vcc, -1, v15, vcc
	s_addc_u32 s77, 0, s77
	s_mov_b64 s[24:25], 0
	v_mov_b32_e32 v23, v59
	v_mov_b32_e32 v24, v58
	v_pk_mov_b32 v[18:19], v[2:3], v[2:3] op_sel:[0,1]
	s_waitcnt lgkmcnt(0)
	s_barrier
	s_branch .LBB134_101
.LBB134_100:                            ;   in Loop: Header=BB134_101 Depth=2
	s_or_b64 exec, exec, s[26:27]
	v_add_co_u32_e32 v18, vcc, 64, v18
	v_addc_co_u32_e32 v19, vcc, 0, v19, vcc
	v_subrev_u32_e32 v0, 64, v18
	v_cmp_lt_u32_e32 vcc, s69, v0
	v_add_u32_e32 v24, 0x800, v24
	s_or_b64 s[24:25], vcc, s[24:25]
	v_add_u32_e32 v23, 0x100, v23
	s_andn2_b64 exec, exec, s[24:25]
	s_cbranch_execz .LBB134_19
.LBB134_101:                            ;   Parent Loop BB134_20 Depth=1
                                        ; =>  This Inner Loop Header: Depth=2
	ds_read_b32 v0, v23
	s_waitcnt lgkmcnt(0)
	v_cmp_ne_u32_e32 vcc, 0, v0
	s_and_saveexec_b64 s[26:27], vcc
	s_cbranch_execz .LBB134_100
; %bb.102:                              ;   in Loop: Header=BB134_101 Depth=2
	v_mov_b32_e32 v25, s77
	v_add_co_u32_e32 v26, vcc, s76, v18
	v_addc_co_u32_e32 v27, vcc, v25, v19, vcc
	v_ashrrev_i32_e32 v5, 31, v0
	v_add_co_u32_e32 v28, vcc, v14, v0
	v_addc_co_u32_e32 v29, vcc, v15, v5, vcc
	v_lshlrev_b64 v[28:29], 3, v[28:29]
	v_mov_b32_e32 v25, s59
	v_add_co_u32_e32 v28, vcc, s58, v28
	v_addc_co_u32_e32 v29, vcc, v25, v29, vcc
	global_store_dwordx2 v[28:29], v[26:27], off
	s_and_b64 exec, exec, s[64:65]
	s_cbranch_execz .LBB134_100
; %bb.103:                              ;   in Loop: Header=BB134_101 Depth=2
	v_add_co_u32_e32 v0, vcc, v21, v0
	v_addc_co_u32_e32 v5, vcc, v22, v5, vcc
	v_mul_lo_u32 v5, v5, s48
	v_mul_lo_u32 v25, v0, s49
	v_mad_u64_u32 v[26:27], s[78:79], v0, s48, 0
	ds_read_b64 v[28:29], v24
	v_add3_u32 v27, v27, v25, v5
	v_lshlrev_b64 v[26:27], 3, v[26:27]
	v_add_co_u32_e32 v26, vcc, v8, v26
	v_addc_co_u32_e32 v27, vcc, v1, v27, vcc
	s_waitcnt lgkmcnt(0)
	global_store_dwordx2 v[26:27], v[28:29], off
	s_branch .LBB134_100
.LBB134_104:
	s_endpgm
	.section	.rodata,"a",@progbits
	.p2align	6, 0x0
	.amdhsa_kernel _ZN9rocsparseL38bsrgemm_block_per_row_atomic_multipassILj256ELj256ELj2Ell21rocsparse_complex_numIfEEEv20rocsparse_direction_T3_S4_PKS4_S6_NS_24const_host_device_scalarIT4_EEPKT2_S6_PKS8_SC_S6_SE_S9_SC_S6_SE_SC_PS4_PS8_PSA_21rocsparse_index_base_SI_SI_SI_bbb
		.amdhsa_group_segment_fixed_size 11272
		.amdhsa_private_segment_fixed_size 0
		.amdhsa_kernarg_size 180
		.amdhsa_user_sgpr_count 6
		.amdhsa_user_sgpr_private_segment_buffer 1
		.amdhsa_user_sgpr_dispatch_ptr 0
		.amdhsa_user_sgpr_queue_ptr 0
		.amdhsa_user_sgpr_kernarg_segment_ptr 1
		.amdhsa_user_sgpr_dispatch_id 0
		.amdhsa_user_sgpr_flat_scratch_init 0
		.amdhsa_user_sgpr_kernarg_preload_length 0
		.amdhsa_user_sgpr_kernarg_preload_offset 0
		.amdhsa_user_sgpr_private_segment_size 0
		.amdhsa_uses_dynamic_stack 0
		.amdhsa_system_sgpr_private_segment_wavefront_offset 0
		.amdhsa_system_sgpr_workgroup_id_x 1
		.amdhsa_system_sgpr_workgroup_id_y 0
		.amdhsa_system_sgpr_workgroup_id_z 0
		.amdhsa_system_sgpr_workgroup_info 0
		.amdhsa_system_vgpr_workitem_id 0
		.amdhsa_next_free_vgpr 67
		.amdhsa_next_free_sgpr 96
		.amdhsa_accum_offset 68
		.amdhsa_reserve_vcc 1
		.amdhsa_reserve_flat_scratch 0
		.amdhsa_float_round_mode_32 0
		.amdhsa_float_round_mode_16_64 0
		.amdhsa_float_denorm_mode_32 3
		.amdhsa_float_denorm_mode_16_64 3
		.amdhsa_dx10_clamp 1
		.amdhsa_ieee_mode 1
		.amdhsa_fp16_overflow 0
		.amdhsa_tg_split 0
		.amdhsa_exception_fp_ieee_invalid_op 0
		.amdhsa_exception_fp_denorm_src 0
		.amdhsa_exception_fp_ieee_div_zero 0
		.amdhsa_exception_fp_ieee_overflow 0
		.amdhsa_exception_fp_ieee_underflow 0
		.amdhsa_exception_fp_ieee_inexact 0
		.amdhsa_exception_int_div_zero 0
	.end_amdhsa_kernel
	.section	.text._ZN9rocsparseL38bsrgemm_block_per_row_atomic_multipassILj256ELj256ELj2Ell21rocsparse_complex_numIfEEEv20rocsparse_direction_T3_S4_PKS4_S6_NS_24const_host_device_scalarIT4_EEPKT2_S6_PKS8_SC_S6_SE_S9_SC_S6_SE_SC_PS4_PS8_PSA_21rocsparse_index_base_SI_SI_SI_bbb,"axG",@progbits,_ZN9rocsparseL38bsrgemm_block_per_row_atomic_multipassILj256ELj256ELj2Ell21rocsparse_complex_numIfEEEv20rocsparse_direction_T3_S4_PKS4_S6_NS_24const_host_device_scalarIT4_EEPKT2_S6_PKS8_SC_S6_SE_S9_SC_S6_SE_SC_PS4_PS8_PSA_21rocsparse_index_base_SI_SI_SI_bbb,comdat
.Lfunc_end134:
	.size	_ZN9rocsparseL38bsrgemm_block_per_row_atomic_multipassILj256ELj256ELj2Ell21rocsparse_complex_numIfEEEv20rocsparse_direction_T3_S4_PKS4_S6_NS_24const_host_device_scalarIT4_EEPKT2_S6_PKS8_SC_S6_SE_S9_SC_S6_SE_SC_PS4_PS8_PSA_21rocsparse_index_base_SI_SI_SI_bbb, .Lfunc_end134-_ZN9rocsparseL38bsrgemm_block_per_row_atomic_multipassILj256ELj256ELj2Ell21rocsparse_complex_numIfEEEv20rocsparse_direction_T3_S4_PKS4_S6_NS_24const_host_device_scalarIT4_EEPKT2_S6_PKS8_SC_S6_SE_S9_SC_S6_SE_SC_PS4_PS8_PSA_21rocsparse_index_base_SI_SI_SI_bbb
                                        ; -- End function
	.section	.AMDGPU.csdata,"",@progbits
; Kernel info:
; codeLenInByte = 4088
; NumSgprs: 100
; NumVgprs: 67
; NumAgprs: 0
; TotalNumVgprs: 67
; ScratchSize: 0
; MemoryBound: 0
; FloatMode: 240
; IeeeMode: 1
; LDSByteSize: 11272 bytes/workgroup (compile time only)
; SGPRBlocks: 12
; VGPRBlocks: 8
; NumSGPRsForWavesPerEU: 100
; NumVGPRsForWavesPerEU: 67
; AccumOffset: 68
; Occupancy: 5
; WaveLimiterHint : 1
; COMPUTE_PGM_RSRC2:SCRATCH_EN: 0
; COMPUTE_PGM_RSRC2:USER_SGPR: 6
; COMPUTE_PGM_RSRC2:TRAP_HANDLER: 0
; COMPUTE_PGM_RSRC2:TGID_X_EN: 1
; COMPUTE_PGM_RSRC2:TGID_Y_EN: 0
; COMPUTE_PGM_RSRC2:TGID_Z_EN: 0
; COMPUTE_PGM_RSRC2:TIDIG_COMP_CNT: 0
; COMPUTE_PGM_RSRC3_GFX90A:ACCUM_OFFSET: 16
; COMPUTE_PGM_RSRC3_GFX90A:TG_SPLIT: 0
	.section	.text._ZN9rocsparseL23bsrgemm_fill_wf_per_rowILj256ELj64ELj8ELj137ELj4Ell21rocsparse_complex_numIfEEEv20rocsparse_direction_T5_S4_S4_PKS4_S6_NS_24const_host_device_scalarIT6_EEPKT4_S6_PKS8_SC_S6_SE_S9_SC_S6_SE_SC_PS4_PS8_21rocsparse_index_base_SH_SH_SH_bbb,"axG",@progbits,_ZN9rocsparseL23bsrgemm_fill_wf_per_rowILj256ELj64ELj8ELj137ELj4Ell21rocsparse_complex_numIfEEEv20rocsparse_direction_T5_S4_S4_PKS4_S6_NS_24const_host_device_scalarIT6_EEPKT4_S6_PKS8_SC_S6_SE_S9_SC_S6_SE_SC_PS4_PS8_21rocsparse_index_base_SH_SH_SH_bbb,comdat
	.globl	_ZN9rocsparseL23bsrgemm_fill_wf_per_rowILj256ELj64ELj8ELj137ELj4Ell21rocsparse_complex_numIfEEEv20rocsparse_direction_T5_S4_S4_PKS4_S6_NS_24const_host_device_scalarIT6_EEPKT4_S6_PKS8_SC_S6_SE_S9_SC_S6_SE_SC_PS4_PS8_21rocsparse_index_base_SH_SH_SH_bbb ; -- Begin function _ZN9rocsparseL23bsrgemm_fill_wf_per_rowILj256ELj64ELj8ELj137ELj4Ell21rocsparse_complex_numIfEEEv20rocsparse_direction_T5_S4_S4_PKS4_S6_NS_24const_host_device_scalarIT6_EEPKT4_S6_PKS8_SC_S6_SE_S9_SC_S6_SE_SC_PS4_PS8_21rocsparse_index_base_SH_SH_SH_bbb
	.p2align	8
	.type	_ZN9rocsparseL23bsrgemm_fill_wf_per_rowILj256ELj64ELj8ELj137ELj4Ell21rocsparse_complex_numIfEEEv20rocsparse_direction_T5_S4_S4_PKS4_S6_NS_24const_host_device_scalarIT6_EEPKT4_S6_PKS8_SC_S6_SE_S9_SC_S6_SE_SC_PS4_PS8_21rocsparse_index_base_SH_SH_SH_bbb,@function
_ZN9rocsparseL23bsrgemm_fill_wf_per_rowILj256ELj64ELj8ELj137ELj4Ell21rocsparse_complex_numIfEEEv20rocsparse_direction_T5_S4_S4_PKS4_S6_NS_24const_host_device_scalarIT6_EEPKT4_S6_PKS8_SC_S6_SE_S9_SC_S6_SE_SC_PS4_PS8_21rocsparse_index_base_SH_SH_SH_bbb: ; @_ZN9rocsparseL23bsrgemm_fill_wf_per_rowILj256ELj64ELj8ELj137ELj4Ell21rocsparse_complex_numIfEEEv20rocsparse_direction_T5_S4_S4_PKS4_S6_NS_24const_host_device_scalarIT6_EEPKT4_S6_PKS8_SC_S6_SE_S9_SC_S6_SE_SC_PS4_PS8_21rocsparse_index_base_SH_SH_SH_bbb
; %bb.0:
	s_load_dwordx8 s[8:15], s[4:5], 0x78
	s_load_dwordx8 s[16:23], s[4:5], 0x58
	s_load_dword s7, s[4:5], 0xb0
	s_load_dwordx4 s[44:47], s[4:5], 0x20
	s_load_dwordx8 s[24:31], s[4:5], 0x38
	s_load_dwordx2 s[34:35], s[4:5], 0x98
	s_load_dwordx4 s[36:39], s[4:5], 0xa0
	s_waitcnt lgkmcnt(0)
	s_bitcmp1_b32 s7, 0
	s_cselect_b64 s[50:51], -1, 0
	s_bitcmp1_b32 s7, 16
	s_cselect_b64 s[0:1], -1, 0
	s_xor_b64 s[0:1], s[0:1], -1
	v_cndmask_b32_e64 v1, 0, 1, s[0:1]
	s_mov_b32 s3, 0
	s_bitcmp0_b32 s7, 0
	v_cmp_ne_u32_e64 s[0:1], 1, v1
	s_mov_b32 s70, 0
	s_cbranch_scc1 .LBB135_5
; %bb.1:
	s_load_dwordx2 s[2:3], s[4:5], 0x30
	s_and_b64 vcc, exec, s[0:1]
	s_waitcnt lgkmcnt(0)
	s_mov_b32 s70, s2
	s_cbranch_vccnz .LBB135_3
; %bb.2:
	s_load_dword s70, s[2:3], 0x0
.LBB135_3:
	s_and_b64 vcc, exec, s[0:1]
	s_cbranch_vccnz .LBB135_5
; %bb.4:
	s_load_dword s3, s[2:3], 0x4
.LBB135_5:
	s_bitcmp1_b32 s7, 8
	s_cselect_b64 s[48:49], -1, 0
	s_bfe_u32 s2, s7, 0x10008
	s_mov_b32 s66, 0
	s_cmp_eq_u32 s2, 0
	s_mov_b32 s33, 0
	s_cbranch_scc1 .LBB135_11
; %bb.6:
	s_and_b64 vcc, exec, s[0:1]
	s_mov_b32 s33, s20
	s_cbranch_vccnz .LBB135_8
; %bb.7:
	s_load_dword s33, s[20:21], 0x0
.LBB135_8:
	s_and_b64 vcc, exec, s[0:1]
	s_cbranch_vccnz .LBB135_10
; %bb.9:
	s_load_dword s21, s[20:21], 0x4
.LBB135_10:
	s_waitcnt lgkmcnt(0)
	s_mov_b32 s66, s21
.LBB135_11:
	s_load_dwordx4 s[40:43], s[4:5], 0x8
	s_load_dwordx2 s[20:21], s[4:5], 0x18
	v_and_b32_e32 v1, 63, v0
	v_and_b32_e32 v2, 0xc0, v0
	v_lshrrev_b32_e32 v36, 6, v0
	v_or_b32_e32 v34, 0x1000, v2
	v_cmp_gt_u32_e32 vcc, 8, v1
	s_and_saveexec_b64 s[0:1], vcc
	s_cbranch_execz .LBB135_13
; %bb.12:
	v_lshl_add_u32 v4, v1, 3, v34
	s_waitcnt lgkmcnt(0)
	v_pk_mov_b32 v[2:3], s[42:43], s[42:43] op_sel:[0,1]
	ds_write_b64 v4, v[2:3]
.LBB135_13:
	s_or_b64 exec, exec, s[0:1]
	v_lshlrev_b32_e32 v35, 10, v36
	v_mov_b32_e32 v2, 0
	v_or_b32_e32 v4, 0xffffffc0, v1
	v_lshl_or_b32 v5, v1, 3, v35
	s_mov_b64 s[0:1], 0
	v_mov_b32_e32 v3, v2
.LBB135_14:                             ; =>This Inner Loop Header: Depth=1
	v_add_co_u32_e32 v4, vcc, 64, v4
	s_xor_b64 s[52:53], vcc, -1
	s_and_b64 s[52:53], exec, s[52:53]
	ds_write_b64 v5, v[2:3]
	s_or_b64 s[0:1], s[52:53], s[0:1]
	v_add_u32_e32 v5, 0x200, v5
	s_andn2_b64 exec, exec, s[0:1]
	s_cbranch_execnz .LBB135_14
; %bb.15:
	s_or_b64 exec, exec, s[0:1]
	v_lshl_or_b32 v2, s6, 2, v36
	v_mov_b32_e32 v3, 0
	s_waitcnt lgkmcnt(0)
	v_cmp_gt_i64_e32 vcc, s[40:41], v[2:3]
	s_barrier
	s_and_saveexec_b64 s[0:1], vcc
	s_cbranch_execz .LBB135_69
; %bb.16:
	s_cmp_eq_u64 s[46:47], 0
	s_cbranch_scc1 .LBB135_18
; %bb.17:
	s_load_dwordx2 s[0:1], s[44:45], 0x0
	v_lshlrev_b64 v[2:3], 3, v[2:3]
	s_waitcnt lgkmcnt(0)
	s_lshl_b64 s[0:1], s[0:1], 3
	s_add_u32 s0, s46, s0
	s_addc_u32 s1, s47, s1
	v_mov_b32_e32 v4, s1
	v_add_co_u32_e32 v2, vcc, s0, v2
	v_addc_co_u32_e32 v3, vcc, v4, v3, vcc
	global_load_dwordx2 v[2:3], v[2:3], off
.LBB135_18:
	s_load_dword s69, s[4:5], 0x0
	v_lshrrev_b32_e32 v37, 4, v1
	v_and_b32_e32 v4, 3, v0
	v_bfe_u32 v6, v0, 2, 2
	s_andn2_b64 vcc, exec, s[50:51]
	s_waitcnt vmcnt(0)
	v_lshlrev_b64 v[8:9], 3, v[2:3]
	s_mul_i32 s67, s20, s21
	s_mul_hi_u32 s68, s20, s20
	s_mul_i32 s4, s20, s20
	s_cbranch_vccnz .LBB135_46
; %bb.19:
	v_mov_b32_e32 v1, s25
	v_add_co_u32_e32 v0, vcc, s24, v8
	v_addc_co_u32_e32 v1, vcc, v1, v9, vcc
	global_load_dwordx4 v[0:3], v[0:1], off
	v_subrev_co_u32_e32 v5, vcc, s36, v37
	v_subb_co_u32_e64 v7, s[0:1], 0, 0, vcc
	s_mov_b32 s46, 0
	s_waitcnt vmcnt(0)
	v_subrev_co_u32_e32 v10, vcc, s36, v2
	v_subbrev_co_u32_e32 v11, vcc, 0, v3, vcc
	v_add_co_u32_e32 v12, vcc, v0, v5
	v_addc_co_u32_e32 v13, vcc, v1, v7, vcc
	v_cmp_lt_i64_e32 vcc, v[12:13], v[10:11]
	s_and_saveexec_b64 s[6:7], vcc
	s_cbranch_execz .LBB135_45
; %bb.20:
	v_mov_b32_e32 v5, 0
	v_mov_b32_e32 v7, v5
	v_cmp_gt_i64_e32 vcc, s[20:21], v[4:5]
	v_cmp_gt_u64_e64 s[0:1], s[20:21], v[6:7]
	s_waitcnt lgkmcnt(0)
	s_cmp_lg_u32 s69, 0
	s_cselect_b64 s[24:25], -1, 0
	s_and_b64 s[0:1], vcc, s[0:1]
	s_add_u32 s18, s18, 4
	s_addc_u32 s19, s19, 0
	s_add_i32 s5, s68, s67
	v_lshlrev_b32_e32 v14, 3, v4
	v_lshlrev_b32_e32 v0, 5, v6
	s_add_i32 s5, s5, s67
	v_add3_u32 v7, v35, v14, v0
	v_mul_lo_u32 v2, s5, v12
	v_mul_lo_u32 v3, s4, v13
	v_mad_u64_u32 v[0:1], s[44:45], s4, v12, 0
	v_add3_u32 v1, v1, v3, v2
	v_lshlrev_b64 v[0:1], 3, v[0:1]
	v_lshlrev_b32_e32 v2, 3, v6
	v_add_co_u32_e32 v0, vcc, v0, v2
	v_addc_co_u32_e32 v1, vcc, 0, v1, vcc
	v_mov_b32_e32 v3, s29
	v_add_co_u32_e32 v16, vcc, s28, v0
	v_mov_b32_e32 v15, v5
	v_addc_co_u32_e32 v17, vcc, v3, v1, vcc
	v_mul_lo_u32 v3, s21, v12
	v_mul_lo_u32 v5, s20, v13
	v_mad_u64_u32 v[0:1], s[50:51], s20, v12, 0
	v_add3_u32 v1, v1, v5, v3
	v_lshlrev_b64 v[0:1], 3, v[0:1]
	v_add_co_u32_e32 v2, vcc, v0, v2
	v_addc_co_u32_e32 v0, vcc, 0, v1, vcc
	v_mul_lo_u32 v3, s20, v0
	v_pk_mov_b32 v[0:1], s[28:29], s[28:29] op_sel:[0,1]
	v_mul_lo_u32 v5, s21, v2
	v_mad_u64_u32 v[18:19], s[28:29], s20, v2, v[0:1]
	v_mov_b32_e32 v0, s19
	v_add_co_u32_e32 v20, vcc, s18, v14
	s_mov_b32 s2, s36
	s_mov_b32 s71, s37
	;; [unrolled: 1-line block ×3, first 2 shown]
	s_lshl_b64 s[36:37], s[20:21], 3
	s_lshl_b64 s[40:41], s[4:5], 3
	s_lshl_b64 s[44:45], s[4:5], 5
	v_add3_u32 v19, v5, v19, v3
	v_addc_co_u32_e32 v21, vcc, 0, v0, vcc
	s_mov_b64 s[28:29], 0
	v_mov_b32_e32 v5, s27
	v_mov_b32_e32 v38, s46
	;; [unrolled: 1-line block ×3, first 2 shown]
	s_branch .LBB135_22
.LBB135_21:                             ;   in Loop: Header=BB135_22 Depth=1
	s_or_b64 exec, exec, s[46:47]
	v_add_co_u32_e32 v12, vcc, 4, v12
	v_addc_co_u32_e32 v13, vcc, 0, v13, vcc
	v_mov_b32_e32 v0, s45
	v_add_co_u32_e32 v16, vcc, s44, v16
	v_addc_co_u32_e32 v17, vcc, v17, v0, vcc
	v_cmp_ge_i64_e32 vcc, v[12:13], v[10:11]
	s_or_b64 s[28:29], vcc, s[28:29]
	v_add_co_u32_e32 v18, vcc, s44, v18
	v_addc_co_u32_e32 v19, vcc, v19, v0, vcc
	s_andn2_b64 exec, exec, s[28:29]
	s_cbranch_execz .LBB135_45
.LBB135_22:                             ; =>This Loop Header: Depth=1
                                        ;     Child Loop BB135_25 Depth 2
                                        ;       Child Loop BB135_32 Depth 3
                                        ;       Child Loop BB135_28 Depth 3
	;; [unrolled: 1-line block ×3, first 2 shown]
	v_lshlrev_b64 v[0:1], 3, v[12:13]
	v_add_co_u32_e32 v0, vcc, s26, v0
	v_addc_co_u32_e32 v1, vcc, v5, v1, vcc
	global_load_dwordx2 v[0:1], v[0:1], off
	s_waitcnt vmcnt(0)
	v_subrev_co_u32_e32 v0, vcc, s2, v0
	v_subb_co_u32_e32 v1, vcc, v1, v38, vcc
	v_lshlrev_b64 v[0:1], 3, v[0:1]
	v_add_co_u32_e32 v0, vcc, s30, v0
	v_addc_co_u32_e32 v1, vcc, v39, v1, vcc
	global_load_dwordx4 v[0:3], v[0:1], off
	s_waitcnt vmcnt(0)
	v_cmp_lt_i64_e32 vcc, v[0:1], v[2:3]
	s_and_saveexec_b64 s[46:47], vcc
	s_cbranch_execz .LBB135_21
; %bb.23:                               ;   in Loop: Header=BB135_22 Depth=1
	v_mov_b32_e32 v22, s72
	v_subrev_co_u32_e32 v2, vcc, s71, v2
	v_subb_co_u32_e32 v3, vcc, v3, v22, vcc
	v_subrev_co_u32_e32 v0, vcc, s71, v0
	v_subb_co_u32_e32 v1, vcc, v1, v22, vcc
	v_mul_lo_u32 v24, s36, v1
	v_mul_lo_u32 v25, s37, v0
	v_mad_u64_u32 v[22:23], s[50:51], s36, v0, v[14:15]
	v_add3_u32 v23, v25, v23, v24
	v_pk_mov_b32 v[24:25], s[18:19], s[18:19] op_sel:[0,1]
	v_mul_lo_u32 v26, s20, v23
	v_mul_lo_u32 v27, s21, v22
	v_mad_u64_u32 v[22:23], s[50:51], s20, v22, v[24:25]
	v_add3_u32 v23, v27, v23, v26
	v_mul_lo_u32 v26, s40, v1
	v_mul_lo_u32 v27, s41, v0
	v_mad_u64_u32 v[24:25], s[50:51], s40, v0, v[20:21]
	v_add3_u32 v25, v27, v25, v26
	s_mov_b64 s[50:51], 0
	s_branch .LBB135_25
.LBB135_24:                             ;   in Loop: Header=BB135_25 Depth=2
	s_or_b64 exec, exec, s[52:53]
	v_add_co_u32_e32 v0, vcc, 1, v0
	v_addc_co_u32_e32 v1, vcc, 0, v1, vcc
	v_mov_b32_e32 v26, s41
	v_add_co_u32_e32 v22, vcc, s40, v22
	v_addc_co_u32_e32 v23, vcc, v23, v26, vcc
	v_cmp_ge_i64_e32 vcc, v[0:1], v[2:3]
	s_or_b64 s[50:51], vcc, s[50:51]
	v_add_co_u32_e32 v24, vcc, s40, v24
	v_addc_co_u32_e32 v25, vcc, v25, v26, vcc
	s_andn2_b64 exec, exec, s[50:51]
	s_cbranch_execz .LBB135_21
.LBB135_25:                             ;   Parent Loop BB135_22 Depth=1
                                        ; =>  This Loop Header: Depth=2
                                        ;       Child Loop BB135_32 Depth 3
                                        ;       Child Loop BB135_28 Depth 3
	;; [unrolled: 1-line block ×3, first 2 shown]
	s_and_saveexec_b64 s[52:53], s[0:1]
	s_cbranch_execz .LBB135_24
; %bb.26:                               ;   in Loop: Header=BB135_25 Depth=2
	v_lshlrev_b64 v[26:27], 3, v[0:1]
	v_mov_b32_e32 v28, s17
	v_add_co_u32_e32 v26, vcc, s16, v26
	v_addc_co_u32_e32 v27, vcc, v28, v27, vcc
	global_load_dwordx2 v[26:27], v[26:27], off
	s_andn2_b64 vcc, exec, s[24:25]
	s_cbranch_vccnz .LBB135_30
; %bb.27:                               ;   in Loop: Header=BB135_25 Depth=2
	v_mov_b32_e32 v28, 0
	v_pk_mov_b32 v[30:31], v[16:17], v[16:17] op_sel:[0,1]
	s_mov_b64 s[54:55], s[20:21]
	v_pk_mov_b32 v[32:33], v[22:23], v[22:23] op_sel:[0,1]
	v_mov_b32_e32 v29, v28
.LBB135_28:                             ;   Parent Loop BB135_22 Depth=1
                                        ;     Parent Loop BB135_25 Depth=2
                                        ; =>    This Inner Loop Header: Depth=3
	global_load_dwordx2 v[40:41], v[32:33], off offset:-4
	global_load_dwordx2 v[42:43], v[30:31], off
	v_add_co_u32_e32 v32, vcc, 8, v32
	v_addc_co_u32_e32 v33, vcc, 0, v33, vcc
	s_add_u32 s54, s54, -1
	v_mov_b32_e32 v44, s37
	v_add_co_u32_e32 v30, vcc, s36, v30
	s_addc_u32 s55, s55, -1
	v_addc_co_u32_e32 v31, vcc, v31, v44, vcc
	s_cmp_lg_u64 s[54:55], 0
	s_waitcnt vmcnt(0)
	v_pk_fma_f32 v[28:29], v[42:43], v[40:41], v[28:29] op_sel_hi:[1,0,1]
	v_pk_fma_f32 v[28:29], v[42:43], v[40:41], v[28:29] op_sel:[1,1,0] op_sel_hi:[0,1,1] neg_lo:[1,0,0]
	s_cbranch_scc1 .LBB135_28
; %bb.29:                               ;   in Loop: Header=BB135_25 Depth=2
	s_branch .LBB135_33
.LBB135_30:                             ;   in Loop: Header=BB135_25 Depth=2
                                        ; implicit-def: $vgpr29
	s_cbranch_execz .LBB135_33
; %bb.31:                               ;   in Loop: Header=BB135_25 Depth=2
	v_mov_b32_e32 v28, 0
	v_pk_mov_b32 v[30:31], v[24:25], v[24:25] op_sel:[0,1]
	s_mov_b64 s[54:55], s[20:21]
	v_pk_mov_b32 v[32:33], v[18:19], v[18:19] op_sel:[0,1]
	v_mov_b32_e32 v29, v28
.LBB135_32:                             ;   Parent Loop BB135_22 Depth=1
                                        ;     Parent Loop BB135_25 Depth=2
                                        ; =>    This Inner Loop Header: Depth=3
	global_load_dwordx2 v[40:41], v[30:31], off offset:-4
	global_load_dwordx2 v[42:43], v[32:33], off
	v_add_co_u32_e32 v32, vcc, 8, v32
	v_addc_co_u32_e32 v33, vcc, 0, v33, vcc
	s_add_u32 s54, s54, -1
	v_mov_b32_e32 v44, s37
	v_add_co_u32_e32 v30, vcc, s36, v30
	s_addc_u32 s55, s55, -1
	v_addc_co_u32_e32 v31, vcc, v31, v44, vcc
	s_cmp_eq_u64 s[54:55], 0
	s_waitcnt vmcnt(0)
	v_pk_fma_f32 v[28:29], v[42:43], v[40:41], v[28:29] op_sel_hi:[1,0,1]
	v_pk_fma_f32 v[28:29], v[42:43], v[40:41], v[28:29] op_sel:[1,1,0] op_sel_hi:[0,1,1] neg_lo:[1,0,0]
	s_cbranch_scc0 .LBB135_32
.LBB135_33:                             ;   in Loop: Header=BB135_25 Depth=2
	v_mov_b32_e32 v30, s72
	s_waitcnt vmcnt(0)
	v_subrev_co_u32_e32 v26, vcc, s71, v26
	v_mul_f32_e64 v32, v29, -s3
	v_mul_f32_e32 v29, s70, v29
	v_subb_co_u32_e32 v27, vcc, v27, v30, vcc
	v_fmac_f32_e32 v32, s70, v28
	v_fmac_f32_e32 v29, s3, v28
	v_and_b32_e32 v28, 7, v26
	s_mov_b64 s[54:55], 0
	s_branch .LBB135_35
.LBB135_34:                             ;   in Loop: Header=BB135_35 Depth=3
	s_or_b64 exec, exec, s[56:57]
	s_xor_b64 s[56:57], s[58:59], -1
	s_and_b64 s[56:57], exec, s[56:57]
	s_or_b64 s[54:55], s[56:57], s[54:55]
	s_andn2_b64 exec, exec, s[54:55]
	s_cbranch_execz .LBB135_24
.LBB135_35:                             ;   Parent Loop BB135_22 Depth=1
                                        ;     Parent Loop BB135_25 Depth=2
                                        ; =>    This Inner Loop Header: Depth=3
	v_lshl_add_u32 v33, v28, 3, v34
	ds_read_b64 v[30:31], v33
                                        ; implicit-def: $sgpr58_sgpr59
	s_waitcnt lgkmcnt(0)
	v_cmp_ne_u64_e32 vcc, v[30:31], v[26:27]
	s_and_saveexec_b64 s[56:57], vcc
	s_xor_b64 s[56:57], exec, s[56:57]
	s_cbranch_execz .LBB135_43
; %bb.36:                               ;   in Loop: Header=BB135_35 Depth=3
	v_cmp_ne_u64_e32 vcc, s[42:43], v[30:31]
                                        ; implicit-def: $sgpr58_sgpr59
	s_and_saveexec_b64 s[60:61], vcc
	s_xor_b64 s[60:61], exec, s[60:61]
; %bb.37:                               ;   in Loop: Header=BB135_35 Depth=3
	v_add_u32_e32 v28, 1, v28
	v_and_b32_e32 v28, 7, v28
	s_mov_b64 s[58:59], -1
                                        ; implicit-def: $vgpr33
; %bb.38:                               ;   in Loop: Header=BB135_35 Depth=3
	s_andn2_saveexec_b64 s[60:61], s[60:61]
	s_cbranch_execz .LBB135_42
; %bb.39:                               ;   in Loop: Header=BB135_35 Depth=3
	v_pk_mov_b32 v[30:31], s[42:43], s[42:43] op_sel:[0,1]
	ds_cmpst_rtn_b64 v[30:31], v33, v[30:31], v[26:27]
	s_mov_b64 s[62:63], -1
	s_waitcnt lgkmcnt(0)
	v_cmp_eq_u64_e32 vcc, s[42:43], v[30:31]
	s_and_saveexec_b64 s[64:65], vcc
	s_cbranch_execz .LBB135_41
; %bb.40:                               ;   in Loop: Header=BB135_35 Depth=3
	v_lshl_add_u32 v30, v28, 7, v7
	ds_add_f32 v30, v32
	ds_add_f32 v30, v29 offset:4
	s_xor_b64 s[62:63], exec, -1
.LBB135_41:                             ;   in Loop: Header=BB135_35 Depth=3
	s_or_b64 exec, exec, s[64:65]
	s_andn2_b64 s[58:59], s[58:59], exec
	s_and_b64 s[62:63], s[62:63], exec
	s_or_b64 s[58:59], s[58:59], s[62:63]
.LBB135_42:                             ;   in Loop: Header=BB135_35 Depth=3
	s_or_b64 exec, exec, s[60:61]
	s_and_b64 s[58:59], s[58:59], exec
.LBB135_43:                             ;   in Loop: Header=BB135_35 Depth=3
	s_andn2_saveexec_b64 s[56:57], s[56:57]
	s_cbranch_execz .LBB135_34
; %bb.44:                               ;   in Loop: Header=BB135_35 Depth=3
	v_lshl_add_u32 v30, v28, 7, v7
	ds_add_f32 v30, v32
	ds_add_f32 v30, v29 offset:4
	s_andn2_b64 s[58:59], s[58:59], exec
	s_branch .LBB135_34
.LBB135_45:
	s_or_b64 exec, exec, s[6:7]
.LBB135_46:
	s_andn2_b64 vcc, exec, s[48:49]
	s_waitcnt lgkmcnt(0)
	s_barrier
	s_cbranch_vccnz .LBB135_64
; %bb.47:
	v_mov_b32_e32 v1, s23
	v_add_co_u32_e32 v0, vcc, s22, v8
	v_addc_co_u32_e32 v1, vcc, v1, v9, vcc
	global_load_dwordx4 v[10:13], v[0:1], off
	v_subrev_co_u32_e32 v2, vcc, s39, v37
	v_subb_co_u32_e64 v3, s[0:1], 0, 0, vcc
	s_mov_b32 s5, 0
	s_waitcnt vmcnt(0)
	v_subrev_co_u32_e32 v0, vcc, s39, v12
	v_subbrev_co_u32_e32 v1, vcc, 0, v13, vcc
	v_add_co_u32_e32 v2, vcc, v10, v2
	v_addc_co_u32_e32 v3, vcc, v11, v3, vcc
	v_cmp_lt_i64_e32 vcc, v[2:3], v[0:1]
	s_and_saveexec_b64 s[6:7], vcc
	s_cbranch_execz .LBB135_63
; %bb.48:
	v_mad_u64_u32 v[10:11], s[2:3], v4, s20, 0
	v_mov_b32_e32 v12, v11
	v_mad_u64_u32 v[12:13], s[2:3], v4, s21, v[12:13]
	v_mov_b32_e32 v11, v12
	v_mov_b32_e32 v5, 0
	v_lshlrev_b64 v[10:11], 3, v[10:11]
	v_cmp_gt_i64_e32 vcc, s[20:21], v[4:5]
	v_mov_b32_e32 v7, v5
	v_mov_b32_e32 v5, s11
	v_add_co_u32_e64 v12, s[2:3], s10, v10
	v_addc_co_u32_e64 v13, s[2:3], v5, v11, s[2:3]
	v_lshlrev_b64 v[10:11], 3, v[6:7]
	v_add_co_u32_e64 v15, s[2:3], v12, v10
	v_addc_co_u32_e64 v16, s[2:3], v13, v11, s[2:3]
	v_mad_u64_u32 v[10:11], s[2:3], v6, s20, 0
	v_mov_b32_e32 v12, v11
	v_mad_u64_u32 v[12:13], s[2:3], v6, s21, v[12:13]
	v_mov_b32_e32 v11, v12
	v_lshlrev_b64 v[10:11], 3, v[10:11]
	v_cmp_gt_u64_e64 s[0:1], s[20:21], v[6:7]
	v_add_co_u32_e64 v7, s[2:3], s10, v10
	v_lshlrev_b32_e32 v14, 3, v4
	v_addc_co_u32_e64 v5, s[2:3], v5, v11, s[2:3]
	v_add_co_u32_e64 v10, s[2:3], v7, v14
	s_cmp_eq_u32 s69, 0
	v_addc_co_u32_e64 v5, s[2:3], 0, v5, s[2:3]
	s_cselect_b64 s[2:3], -1, 0
	s_add_i32 s10, s68, s67
	v_lshlrev_b32_e32 v7, 5, v6
	s_mov_b32 s30, s39
	s_add_i32 s31, s10, s67
	v_add3_u32 v7, v35, v14, v7
	s_and_b64 s[0:1], vcc, s[0:1]
	v_cndmask_b32_e64 v5, v16, v5, s[2:3]
	v_cndmask_b32_e64 v10, v15, v10, s[2:3]
	s_mov_b64 s[2:3], 0
	s_branch .LBB135_50
.LBB135_49:                             ;   in Loop: Header=BB135_50 Depth=1
	s_or_b64 exec, exec, s[10:11]
	v_add_co_u32_e32 v2, vcc, 4, v2
	v_addc_co_u32_e32 v3, vcc, 0, v3, vcc
	v_cmp_ge_i64_e32 vcc, v[2:3], v[0:1]
	s_or_b64 s[2:3], vcc, s[2:3]
	s_andn2_b64 exec, exec, s[2:3]
	s_cbranch_execz .LBB135_63
.LBB135_50:                             ; =>This Loop Header: Depth=1
                                        ;     Child Loop BB135_53 Depth 2
	s_and_saveexec_b64 s[10:11], s[0:1]
	s_cbranch_execz .LBB135_49
; %bb.51:                               ;   in Loop: Header=BB135_50 Depth=1
	v_lshlrev_b64 v[12:13], 3, v[2:3]
	v_mov_b32_e32 v11, s9
	v_add_co_u32_e32 v12, vcc, s8, v12
	v_addc_co_u32_e32 v13, vcc, v11, v13, vcc
	v_mul_lo_u32 v11, s31, v2
	v_mul_lo_u32 v16, s4, v3
	v_mad_u64_u32 v[14:15], s[16:17], s4, v2, 0
	v_add3_u32 v15, v15, v16, v11
	v_lshlrev_b64 v[14:15], 3, v[14:15]
	v_add_co_u32_e32 v14, vcc, v10, v14
	global_load_dwordx2 v[12:13], v[12:13], off
	v_addc_co_u32_e32 v15, vcc, v5, v15, vcc
	global_load_dwordx2 v[16:17], v[14:15], off
	v_mov_b32_e32 v11, s5
	s_mov_b64 s[16:17], 0
	s_waitcnt vmcnt(1)
	v_subrev_co_u32_e32 v12, vcc, s30, v12
	v_subb_co_u32_e32 v13, vcc, v13, v11, vcc
	s_waitcnt vmcnt(0)
	v_mul_f32_e64 v11, v17, -s66
	v_mul_f32_e32 v15, s33, v17
	v_and_b32_e32 v14, 7, v12
	v_fmac_f32_e32 v11, s33, v16
	v_fmac_f32_e32 v15, s66, v16
	s_branch .LBB135_53
.LBB135_52:                             ;   in Loop: Header=BB135_53 Depth=2
	s_or_b64 exec, exec, s[18:19]
	s_xor_b64 s[18:19], s[22:23], -1
	s_and_b64 s[18:19], exec, s[18:19]
	s_or_b64 s[16:17], s[18:19], s[16:17]
	s_andn2_b64 exec, exec, s[16:17]
	s_cbranch_execz .LBB135_49
.LBB135_53:                             ;   Parent Loop BB135_50 Depth=1
                                        ; =>  This Inner Loop Header: Depth=2
	v_lshl_add_u32 v18, v14, 3, v34
	ds_read_b64 v[16:17], v18
                                        ; implicit-def: $sgpr22_sgpr23
	s_waitcnt lgkmcnt(0)
	v_cmp_ne_u64_e32 vcc, v[16:17], v[12:13]
	s_and_saveexec_b64 s[18:19], vcc
	s_xor_b64 s[18:19], exec, s[18:19]
	s_cbranch_execz .LBB135_61
; %bb.54:                               ;   in Loop: Header=BB135_53 Depth=2
	v_cmp_ne_u64_e32 vcc, s[42:43], v[16:17]
                                        ; implicit-def: $sgpr22_sgpr23
	s_and_saveexec_b64 s[24:25], vcc
	s_xor_b64 s[24:25], exec, s[24:25]
; %bb.55:                               ;   in Loop: Header=BB135_53 Depth=2
	v_add_u32_e32 v14, 1, v14
	v_and_b32_e32 v14, 7, v14
	s_mov_b64 s[22:23], -1
                                        ; implicit-def: $vgpr18
; %bb.56:                               ;   in Loop: Header=BB135_53 Depth=2
	s_andn2_saveexec_b64 s[24:25], s[24:25]
	s_cbranch_execz .LBB135_60
; %bb.57:                               ;   in Loop: Header=BB135_53 Depth=2
	v_pk_mov_b32 v[16:17], s[42:43], s[42:43] op_sel:[0,1]
	ds_cmpst_rtn_b64 v[16:17], v18, v[16:17], v[12:13]
	s_mov_b64 s[26:27], -1
	s_waitcnt lgkmcnt(0)
	v_cmp_eq_u64_e32 vcc, s[42:43], v[16:17]
	s_and_saveexec_b64 s[28:29], vcc
	s_cbranch_execz .LBB135_59
; %bb.58:                               ;   in Loop: Header=BB135_53 Depth=2
	v_lshl_add_u32 v16, v14, 7, v7
	ds_add_f32 v16, v11
	ds_add_f32 v16, v15 offset:4
	s_xor_b64 s[26:27], exec, -1
.LBB135_59:                             ;   in Loop: Header=BB135_53 Depth=2
	s_or_b64 exec, exec, s[28:29]
	s_andn2_b64 s[22:23], s[22:23], exec
	s_and_b64 s[26:27], s[26:27], exec
	s_or_b64 s[22:23], s[22:23], s[26:27]
.LBB135_60:                             ;   in Loop: Header=BB135_53 Depth=2
	s_or_b64 exec, exec, s[24:25]
	s_and_b64 s[22:23], s[22:23], exec
.LBB135_61:                             ;   in Loop: Header=BB135_53 Depth=2
	s_andn2_saveexec_b64 s[18:19], s[18:19]
	s_cbranch_execz .LBB135_52
; %bb.62:                               ;   in Loop: Header=BB135_53 Depth=2
	v_lshl_add_u32 v16, v14, 7, v7
	ds_add_f32 v16, v11
	ds_add_f32 v16, v15 offset:4
	s_andn2_b64 s[22:23], s[22:23], exec
	s_branch .LBB135_52
.LBB135_63:
	s_or_b64 exec, exec, s[6:7]
.LBB135_64:
	v_mov_b32_e32 v1, s13
	v_add_co_u32_e32 v0, vcc, s12, v8
	v_addc_co_u32_e32 v1, vcc, v1, v9, vcc
	s_waitcnt lgkmcnt(0)
	s_barrier
	global_load_dwordx2 v[0:1], v[0:1], off
	s_cmp_eq_u32 s69, 0
	v_mad_u64_u32 v[2:3], s[0:1], v6, s20, 0
	v_mov_b32_e32 v5, 0
	v_lshlrev_b32_e32 v11, 6, v36
	v_lshlrev_b32_e32 v13, 3, v37
	s_movk_i32 s2, 0x1000
	s_cselect_b64 s[0:1], -1, 0
	s_add_i32 s6, s68, s67
	v_mov_b32_e32 v10, v3
	v_cmp_gt_i64_e32 vcc, s[20:21], v[4:5]
	v_mov_b32_e32 v7, v5
	v_or3_b32 v5, v11, v13, s2
	s_add_i32 s8, s6, s67
	v_mad_u64_u32 v[10:11], s[6:7], v6, s21, v[10:11]
	v_mov_b32_e32 v3, v10
	v_lshlrev_b32_e32 v12, 3, v4
	v_cndmask_b32_e64 v14, v4, v6, s[0:1]
	v_cmp_gt_u64_e64 s[2:3], s[20:21], v[6:7]
	v_cndmask_b32_e64 v4, v6, v4, s[0:1]
	v_lshlrev_b64 v[2:3], 3, v[2:3]
	v_mov_b32_e32 v9, s35
	s_and_b64 s[0:1], vcc, s[2:3]
	v_lshlrev_b32_e32 v4, 3, v4
	v_add_co_u32_e32 v2, vcc, s34, v2
	v_lshl_or_b32 v4, v37, 7, v4
	v_addc_co_u32_e32 v3, vcc, v9, v3, vcc
	v_lshl_or_b32 v7, v14, 5, v4
	v_add_co_u32_e32 v4, vcc, v2, v12
	v_addc_co_u32_e32 v6, vcc, 0, v3, vcc
	s_mov_b32 s5, 0
	v_or_b32_e32 v8, -4, v37
	v_add_u32_e32 v7, v35, v7
	s_mov_b64 s[2:3], 0
	s_waitcnt vmcnt(0)
	v_subrev_co_u32_e32 v9, vcc, s38, v0
	v_subbrev_co_u32_e32 v10, vcc, 0, v1, vcc
	s_branch .LBB135_66
.LBB135_65:                             ;   in Loop: Header=BB135_66 Depth=1
	s_or_b64 exec, exec, s[6:7]
	v_add_co_u32_e32 v8, vcc, 4, v8
	s_xor_b64 s[6:7], vcc, -1
	s_and_b64 s[6:7], exec, s[6:7]
	v_add_u32_e32 v7, 0x200, v7
	s_or_b64 s[2:3], s[6:7], s[2:3]
	v_add_u32_e32 v5, 32, v5
	s_andn2_b64 exec, exec, s[2:3]
	s_cbranch_execz .LBB135_69
.LBB135_66:                             ; =>This Inner Loop Header: Depth=1
	ds_read_b64 v[0:1], v5
	s_waitcnt lgkmcnt(0)
	v_cmp_gt_i64_e32 vcc, s[42:43], v[0:1]
	s_and_saveexec_b64 s[6:7], vcc
	s_cbranch_execz .LBB135_65
; %bb.67:                               ;   in Loop: Header=BB135_66 Depth=1
	ds_read_b128 v[12:15], v34
	ds_read_b128 v[16:19], v34 offset:16
	ds_read_b128 v[20:23], v34 offset:32
	;; [unrolled: 1-line block ×3, first 2 shown]
	s_waitcnt lgkmcnt(3)
	v_cmp_gt_i64_e32 vcc, v[0:1], v[12:13]
	v_cndmask_b32_e64 v2, 0, 1, vcc
	v_add_co_u32_e32 v2, vcc, v9, v2
	v_addc_co_u32_e32 v3, vcc, 0, v10, vcc
	v_cmp_gt_i64_e32 vcc, v[0:1], v[14:15]
	v_cndmask_b32_e64 v11, 0, 1, vcc
	v_add_co_u32_e32 v2, vcc, v2, v11
	v_addc_co_u32_e32 v3, vcc, 0, v3, vcc
	s_waitcnt lgkmcnt(2)
	v_cmp_gt_i64_e32 vcc, v[0:1], v[16:17]
	v_cndmask_b32_e64 v11, 0, 1, vcc
	v_add_co_u32_e32 v2, vcc, v2, v11
	v_addc_co_u32_e32 v3, vcc, 0, v3, vcc
	v_cmp_gt_i64_e32 vcc, v[0:1], v[18:19]
	v_cndmask_b32_e64 v11, 0, 1, vcc
	v_add_co_u32_e32 v2, vcc, v2, v11
	v_addc_co_u32_e32 v3, vcc, 0, v3, vcc
	;; [unrolled: 9-line block ×4, first 2 shown]
	v_mov_b32_e32 v11, s5
	v_add_co_u32_e32 v0, vcc, s38, v0
	v_addc_co_u32_e32 v1, vcc, v1, v11, vcc
	v_lshlrev_b64 v[12:13], 3, v[2:3]
	v_mov_b32_e32 v11, s15
	v_add_co_u32_e32 v12, vcc, s14, v12
	v_addc_co_u32_e32 v13, vcc, v11, v13, vcc
	global_store_dwordx2 v[12:13], v[0:1], off
	s_and_b64 exec, exec, s[0:1]
	s_cbranch_execz .LBB135_65
; %bb.68:                               ;   in Loop: Header=BB135_66 Depth=1
	v_mul_lo_u32 v11, s8, v2
	v_mul_lo_u32 v3, s4, v3
	v_mad_u64_u32 v[0:1], s[10:11], s4, v2, 0
	v_add3_u32 v1, v1, v3, v11
	ds_read_b64 v[2:3], v7
	v_lshlrev_b64 v[0:1], 3, v[0:1]
	v_add_co_u32_e32 v0, vcc, v4, v0
	v_addc_co_u32_e32 v1, vcc, v6, v1, vcc
	s_waitcnt lgkmcnt(0)
	global_store_dwordx2 v[0:1], v[2:3], off
	s_branch .LBB135_65
.LBB135_69:
	s_endpgm
	.section	.rodata,"a",@progbits
	.p2align	6, 0x0
	.amdhsa_kernel _ZN9rocsparseL23bsrgemm_fill_wf_per_rowILj256ELj64ELj8ELj137ELj4Ell21rocsparse_complex_numIfEEEv20rocsparse_direction_T5_S4_S4_PKS4_S6_NS_24const_host_device_scalarIT6_EEPKT4_S6_PKS8_SC_S6_SE_S9_SC_S6_SE_SC_PS4_PS8_21rocsparse_index_base_SH_SH_SH_bbb
		.amdhsa_group_segment_fixed_size 4352
		.amdhsa_private_segment_fixed_size 0
		.amdhsa_kernarg_size 180
		.amdhsa_user_sgpr_count 6
		.amdhsa_user_sgpr_private_segment_buffer 1
		.amdhsa_user_sgpr_dispatch_ptr 0
		.amdhsa_user_sgpr_queue_ptr 0
		.amdhsa_user_sgpr_kernarg_segment_ptr 1
		.amdhsa_user_sgpr_dispatch_id 0
		.amdhsa_user_sgpr_flat_scratch_init 0
		.amdhsa_user_sgpr_kernarg_preload_length 0
		.amdhsa_user_sgpr_kernarg_preload_offset 0
		.amdhsa_user_sgpr_private_segment_size 0
		.amdhsa_uses_dynamic_stack 0
		.amdhsa_system_sgpr_private_segment_wavefront_offset 0
		.amdhsa_system_sgpr_workgroup_id_x 1
		.amdhsa_system_sgpr_workgroup_id_y 0
		.amdhsa_system_sgpr_workgroup_id_z 0
		.amdhsa_system_sgpr_workgroup_info 0
		.amdhsa_system_vgpr_workitem_id 0
		.amdhsa_next_free_vgpr 45
		.amdhsa_next_free_sgpr 73
		.amdhsa_accum_offset 48
		.amdhsa_reserve_vcc 1
		.amdhsa_reserve_flat_scratch 0
		.amdhsa_float_round_mode_32 0
		.amdhsa_float_round_mode_16_64 0
		.amdhsa_float_denorm_mode_32 3
		.amdhsa_float_denorm_mode_16_64 3
		.amdhsa_dx10_clamp 1
		.amdhsa_ieee_mode 1
		.amdhsa_fp16_overflow 0
		.amdhsa_tg_split 0
		.amdhsa_exception_fp_ieee_invalid_op 0
		.amdhsa_exception_fp_denorm_src 0
		.amdhsa_exception_fp_ieee_div_zero 0
		.amdhsa_exception_fp_ieee_overflow 0
		.amdhsa_exception_fp_ieee_underflow 0
		.amdhsa_exception_fp_ieee_inexact 0
		.amdhsa_exception_int_div_zero 0
	.end_amdhsa_kernel
	.section	.text._ZN9rocsparseL23bsrgemm_fill_wf_per_rowILj256ELj64ELj8ELj137ELj4Ell21rocsparse_complex_numIfEEEv20rocsparse_direction_T5_S4_S4_PKS4_S6_NS_24const_host_device_scalarIT6_EEPKT4_S6_PKS8_SC_S6_SE_S9_SC_S6_SE_SC_PS4_PS8_21rocsparse_index_base_SH_SH_SH_bbb,"axG",@progbits,_ZN9rocsparseL23bsrgemm_fill_wf_per_rowILj256ELj64ELj8ELj137ELj4Ell21rocsparse_complex_numIfEEEv20rocsparse_direction_T5_S4_S4_PKS4_S6_NS_24const_host_device_scalarIT6_EEPKT4_S6_PKS8_SC_S6_SE_S9_SC_S6_SE_SC_PS4_PS8_21rocsparse_index_base_SH_SH_SH_bbb,comdat
.Lfunc_end135:
	.size	_ZN9rocsparseL23bsrgemm_fill_wf_per_rowILj256ELj64ELj8ELj137ELj4Ell21rocsparse_complex_numIfEEEv20rocsparse_direction_T5_S4_S4_PKS4_S6_NS_24const_host_device_scalarIT6_EEPKT4_S6_PKS8_SC_S6_SE_S9_SC_S6_SE_SC_PS4_PS8_21rocsparse_index_base_SH_SH_SH_bbb, .Lfunc_end135-_ZN9rocsparseL23bsrgemm_fill_wf_per_rowILj256ELj64ELj8ELj137ELj4Ell21rocsparse_complex_numIfEEEv20rocsparse_direction_T5_S4_S4_PKS4_S6_NS_24const_host_device_scalarIT6_EEPKT4_S6_PKS8_SC_S6_SE_S9_SC_S6_SE_SC_PS4_PS8_21rocsparse_index_base_SH_SH_SH_bbb
                                        ; -- End function
	.section	.AMDGPU.csdata,"",@progbits
; Kernel info:
; codeLenInByte = 3032
; NumSgprs: 77
; NumVgprs: 45
; NumAgprs: 0
; TotalNumVgprs: 45
; ScratchSize: 0
; MemoryBound: 0
; FloatMode: 240
; IeeeMode: 1
; LDSByteSize: 4352 bytes/workgroup (compile time only)
; SGPRBlocks: 9
; VGPRBlocks: 5
; NumSGPRsForWavesPerEU: 77
; NumVGPRsForWavesPerEU: 45
; AccumOffset: 48
; Occupancy: 8
; WaveLimiterHint : 1
; COMPUTE_PGM_RSRC2:SCRATCH_EN: 0
; COMPUTE_PGM_RSRC2:USER_SGPR: 6
; COMPUTE_PGM_RSRC2:TRAP_HANDLER: 0
; COMPUTE_PGM_RSRC2:TGID_X_EN: 1
; COMPUTE_PGM_RSRC2:TGID_Y_EN: 0
; COMPUTE_PGM_RSRC2:TGID_Z_EN: 0
; COMPUTE_PGM_RSRC2:TIDIG_COMP_CNT: 0
; COMPUTE_PGM_RSRC3_GFX90A:ACCUM_OFFSET: 11
; COMPUTE_PGM_RSRC3_GFX90A:TG_SPLIT: 0
	.section	.text._ZN9rocsparseL23bsrgemm_fill_wf_per_rowILj256ELj64ELj16ELj137ELj4Ell21rocsparse_complex_numIfEEEv20rocsparse_direction_T5_S4_S4_PKS4_S6_NS_24const_host_device_scalarIT6_EEPKT4_S6_PKS8_SC_S6_SE_S9_SC_S6_SE_SC_PS4_PS8_21rocsparse_index_base_SH_SH_SH_bbb,"axG",@progbits,_ZN9rocsparseL23bsrgemm_fill_wf_per_rowILj256ELj64ELj16ELj137ELj4Ell21rocsparse_complex_numIfEEEv20rocsparse_direction_T5_S4_S4_PKS4_S6_NS_24const_host_device_scalarIT6_EEPKT4_S6_PKS8_SC_S6_SE_S9_SC_S6_SE_SC_PS4_PS8_21rocsparse_index_base_SH_SH_SH_bbb,comdat
	.globl	_ZN9rocsparseL23bsrgemm_fill_wf_per_rowILj256ELj64ELj16ELj137ELj4Ell21rocsparse_complex_numIfEEEv20rocsparse_direction_T5_S4_S4_PKS4_S6_NS_24const_host_device_scalarIT6_EEPKT4_S6_PKS8_SC_S6_SE_S9_SC_S6_SE_SC_PS4_PS8_21rocsparse_index_base_SH_SH_SH_bbb ; -- Begin function _ZN9rocsparseL23bsrgemm_fill_wf_per_rowILj256ELj64ELj16ELj137ELj4Ell21rocsparse_complex_numIfEEEv20rocsparse_direction_T5_S4_S4_PKS4_S6_NS_24const_host_device_scalarIT6_EEPKT4_S6_PKS8_SC_S6_SE_S9_SC_S6_SE_SC_PS4_PS8_21rocsparse_index_base_SH_SH_SH_bbb
	.p2align	8
	.type	_ZN9rocsparseL23bsrgemm_fill_wf_per_rowILj256ELj64ELj16ELj137ELj4Ell21rocsparse_complex_numIfEEEv20rocsparse_direction_T5_S4_S4_PKS4_S6_NS_24const_host_device_scalarIT6_EEPKT4_S6_PKS8_SC_S6_SE_S9_SC_S6_SE_SC_PS4_PS8_21rocsparse_index_base_SH_SH_SH_bbb,@function
_ZN9rocsparseL23bsrgemm_fill_wf_per_rowILj256ELj64ELj16ELj137ELj4Ell21rocsparse_complex_numIfEEEv20rocsparse_direction_T5_S4_S4_PKS4_S6_NS_24const_host_device_scalarIT6_EEPKT4_S6_PKS8_SC_S6_SE_S9_SC_S6_SE_SC_PS4_PS8_21rocsparse_index_base_SH_SH_SH_bbb: ; @_ZN9rocsparseL23bsrgemm_fill_wf_per_rowILj256ELj64ELj16ELj137ELj4Ell21rocsparse_complex_numIfEEEv20rocsparse_direction_T5_S4_S4_PKS4_S6_NS_24const_host_device_scalarIT6_EEPKT4_S6_PKS8_SC_S6_SE_S9_SC_S6_SE_SC_PS4_PS8_21rocsparse_index_base_SH_SH_SH_bbb
; %bb.0:
	s_load_dwordx8 s[8:15], s[4:5], 0x78
	s_load_dwordx8 s[16:23], s[4:5], 0x58
	s_load_dword s7, s[4:5], 0xb0
	s_load_dwordx4 s[44:47], s[4:5], 0x20
	s_load_dwordx8 s[24:31], s[4:5], 0x38
	s_load_dwordx2 s[34:35], s[4:5], 0x98
	s_load_dwordx4 s[36:39], s[4:5], 0xa0
	s_waitcnt lgkmcnt(0)
	s_bitcmp1_b32 s7, 0
	s_cselect_b64 s[50:51], -1, 0
	s_bitcmp1_b32 s7, 16
	s_cselect_b64 s[0:1], -1, 0
	s_xor_b64 s[0:1], s[0:1], -1
	v_cndmask_b32_e64 v1, 0, 1, s[0:1]
	s_mov_b32 s3, 0
	s_bitcmp0_b32 s7, 0
	v_cmp_ne_u32_e64 s[0:1], 1, v1
	s_mov_b32 s70, 0
	s_cbranch_scc1 .LBB136_5
; %bb.1:
	s_load_dwordx2 s[2:3], s[4:5], 0x30
	s_and_b64 vcc, exec, s[0:1]
	s_waitcnt lgkmcnt(0)
	s_mov_b32 s70, s2
	s_cbranch_vccnz .LBB136_3
; %bb.2:
	s_load_dword s70, s[2:3], 0x0
.LBB136_3:
	s_and_b64 vcc, exec, s[0:1]
	s_cbranch_vccnz .LBB136_5
; %bb.4:
	s_load_dword s3, s[2:3], 0x4
.LBB136_5:
	s_bitcmp1_b32 s7, 8
	s_cselect_b64 s[48:49], -1, 0
	s_bfe_u32 s2, s7, 0x10008
	s_mov_b32 s66, 0
	s_cmp_eq_u32 s2, 0
	s_mov_b32 s33, 0
	s_cbranch_scc1 .LBB136_11
; %bb.6:
	s_and_b64 vcc, exec, s[0:1]
	s_mov_b32 s33, s20
	s_cbranch_vccnz .LBB136_8
; %bb.7:
	s_load_dword s33, s[20:21], 0x0
.LBB136_8:
	s_and_b64 vcc, exec, s[0:1]
	s_cbranch_vccnz .LBB136_10
; %bb.9:
	s_load_dword s21, s[20:21], 0x4
.LBB136_10:
	s_waitcnt lgkmcnt(0)
	s_mov_b32 s66, s21
.LBB136_11:
	s_load_dwordx4 s[40:43], s[4:5], 0x8
	s_load_dwordx2 s[20:21], s[4:5], 0x18
	v_and_b32_e32 v1, 63, v0
	v_lshrrev_b32_e32 v36, 6, v0
	v_mov_b32_e32 v2, 0x2000
	v_lshl_or_b32 v34, v36, 7, v2
	v_cmp_gt_u32_e32 vcc, 16, v1
	s_and_saveexec_b64 s[0:1], vcc
	s_cbranch_execz .LBB136_13
; %bb.12:
	v_lshl_add_u32 v4, v1, 3, v34
	s_waitcnt lgkmcnt(0)
	v_pk_mov_b32 v[2:3], s[42:43], s[42:43] op_sel:[0,1]
	ds_write_b64 v4, v[2:3]
.LBB136_13:
	s_or_b64 exec, exec, s[0:1]
	v_lshlrev_b32_e32 v35, 11, v36
	v_mov_b32_e32 v2, 0
	v_or_b32_e32 v4, 0xffffffc0, v1
	v_lshl_or_b32 v5, v1, 3, v35
	s_mov_b64 s[0:1], 0
	v_mov_b32_e32 v3, v2
	s_movk_i32 s2, 0xbf
.LBB136_14:                             ; =>This Inner Loop Header: Depth=1
	v_add_u32_e32 v4, 64, v4
	v_cmp_lt_u32_e32 vcc, s2, v4
	ds_write_b64 v5, v[2:3]
	s_or_b64 s[0:1], vcc, s[0:1]
	v_add_u32_e32 v5, 0x200, v5
	s_andn2_b64 exec, exec, s[0:1]
	s_cbranch_execnz .LBB136_14
; %bb.15:
	s_or_b64 exec, exec, s[0:1]
	v_lshl_or_b32 v2, s6, 2, v36
	v_mov_b32_e32 v3, 0
	s_waitcnt lgkmcnt(0)
	v_cmp_gt_i64_e32 vcc, s[40:41], v[2:3]
	s_barrier
	s_and_saveexec_b64 s[0:1], vcc
	s_cbranch_execz .LBB136_69
; %bb.16:
	s_cmp_eq_u64 s[46:47], 0
	s_cbranch_scc1 .LBB136_18
; %bb.17:
	s_load_dwordx2 s[0:1], s[44:45], 0x0
	v_lshlrev_b64 v[2:3], 3, v[2:3]
	s_waitcnt lgkmcnt(0)
	s_lshl_b64 s[0:1], s[0:1], 3
	s_add_u32 s0, s46, s0
	s_addc_u32 s1, s47, s1
	v_mov_b32_e32 v4, s1
	v_add_co_u32_e32 v2, vcc, s0, v2
	v_addc_co_u32_e32 v3, vcc, v4, v3, vcc
	global_load_dwordx2 v[2:3], v[2:3], off
.LBB136_18:
	s_load_dword s69, s[4:5], 0x0
	v_lshrrev_b32_e32 v37, 4, v1
	v_and_b32_e32 v4, 3, v0
	v_bfe_u32 v6, v0, 2, 2
	s_andn2_b64 vcc, exec, s[50:51]
	s_waitcnt vmcnt(0)
	v_lshlrev_b64 v[8:9], 3, v[2:3]
	s_mul_i32 s67, s20, s21
	s_mul_hi_u32 s68, s20, s20
	s_mul_i32 s4, s20, s20
	s_cbranch_vccnz .LBB136_46
; %bb.19:
	v_mov_b32_e32 v1, s25
	v_add_co_u32_e32 v0, vcc, s24, v8
	v_addc_co_u32_e32 v1, vcc, v1, v9, vcc
	global_load_dwordx4 v[0:3], v[0:1], off
	v_subrev_co_u32_e32 v5, vcc, s36, v37
	v_subb_co_u32_e64 v7, s[0:1], 0, 0, vcc
	s_mov_b32 s46, 0
	s_waitcnt vmcnt(0)
	v_subrev_co_u32_e32 v10, vcc, s36, v2
	v_subbrev_co_u32_e32 v11, vcc, 0, v3, vcc
	v_add_co_u32_e32 v12, vcc, v0, v5
	v_addc_co_u32_e32 v13, vcc, v1, v7, vcc
	v_cmp_lt_i64_e32 vcc, v[12:13], v[10:11]
	s_and_saveexec_b64 s[6:7], vcc
	s_cbranch_execz .LBB136_45
; %bb.20:
	v_mov_b32_e32 v5, 0
	v_mov_b32_e32 v7, v5
	v_cmp_gt_i64_e32 vcc, s[20:21], v[4:5]
	v_cmp_gt_u64_e64 s[0:1], s[20:21], v[6:7]
	s_waitcnt lgkmcnt(0)
	s_cmp_lg_u32 s69, 0
	s_cselect_b64 s[24:25], -1, 0
	s_and_b64 s[0:1], vcc, s[0:1]
	s_add_u32 s18, s18, 4
	s_addc_u32 s19, s19, 0
	s_add_i32 s5, s68, s67
	v_lshlrev_b32_e32 v14, 3, v4
	v_lshlrev_b32_e32 v0, 5, v6
	s_add_i32 s5, s5, s67
	v_add3_u32 v7, v35, v14, v0
	v_mul_lo_u32 v2, s5, v12
	v_mul_lo_u32 v3, s4, v13
	v_mad_u64_u32 v[0:1], s[44:45], s4, v12, 0
	v_add3_u32 v1, v1, v3, v2
	v_lshlrev_b64 v[0:1], 3, v[0:1]
	v_lshlrev_b32_e32 v2, 3, v6
	v_add_co_u32_e32 v0, vcc, v0, v2
	v_addc_co_u32_e32 v1, vcc, 0, v1, vcc
	v_mov_b32_e32 v3, s29
	v_add_co_u32_e32 v16, vcc, s28, v0
	v_mov_b32_e32 v15, v5
	v_addc_co_u32_e32 v17, vcc, v3, v1, vcc
	v_mul_lo_u32 v3, s21, v12
	v_mul_lo_u32 v5, s20, v13
	v_mad_u64_u32 v[0:1], s[50:51], s20, v12, 0
	v_add3_u32 v1, v1, v5, v3
	v_lshlrev_b64 v[0:1], 3, v[0:1]
	v_add_co_u32_e32 v2, vcc, v0, v2
	v_addc_co_u32_e32 v0, vcc, 0, v1, vcc
	v_mul_lo_u32 v3, s20, v0
	v_pk_mov_b32 v[0:1], s[28:29], s[28:29] op_sel:[0,1]
	v_mul_lo_u32 v5, s21, v2
	v_mad_u64_u32 v[18:19], s[28:29], s20, v2, v[0:1]
	v_mov_b32_e32 v0, s19
	v_add_co_u32_e32 v20, vcc, s18, v14
	s_mov_b32 s2, s36
	s_mov_b32 s71, s37
	;; [unrolled: 1-line block ×3, first 2 shown]
	s_lshl_b64 s[36:37], s[20:21], 3
	s_lshl_b64 s[40:41], s[4:5], 3
	;; [unrolled: 1-line block ×3, first 2 shown]
	v_add3_u32 v19, v5, v19, v3
	v_addc_co_u32_e32 v21, vcc, 0, v0, vcc
	s_mov_b64 s[28:29], 0
	v_mov_b32_e32 v5, s27
	v_mov_b32_e32 v38, s46
	;; [unrolled: 1-line block ×3, first 2 shown]
	s_branch .LBB136_22
.LBB136_21:                             ;   in Loop: Header=BB136_22 Depth=1
	s_or_b64 exec, exec, s[46:47]
	v_add_co_u32_e32 v12, vcc, 4, v12
	v_addc_co_u32_e32 v13, vcc, 0, v13, vcc
	v_mov_b32_e32 v0, s45
	v_add_co_u32_e32 v16, vcc, s44, v16
	v_addc_co_u32_e32 v17, vcc, v17, v0, vcc
	v_cmp_ge_i64_e32 vcc, v[12:13], v[10:11]
	s_or_b64 s[28:29], vcc, s[28:29]
	v_add_co_u32_e32 v18, vcc, s44, v18
	v_addc_co_u32_e32 v19, vcc, v19, v0, vcc
	s_andn2_b64 exec, exec, s[28:29]
	s_cbranch_execz .LBB136_45
.LBB136_22:                             ; =>This Loop Header: Depth=1
                                        ;     Child Loop BB136_25 Depth 2
                                        ;       Child Loop BB136_32 Depth 3
                                        ;       Child Loop BB136_28 Depth 3
	;; [unrolled: 1-line block ×3, first 2 shown]
	v_lshlrev_b64 v[0:1], 3, v[12:13]
	v_add_co_u32_e32 v0, vcc, s26, v0
	v_addc_co_u32_e32 v1, vcc, v5, v1, vcc
	global_load_dwordx2 v[0:1], v[0:1], off
	s_waitcnt vmcnt(0)
	v_subrev_co_u32_e32 v0, vcc, s2, v0
	v_subb_co_u32_e32 v1, vcc, v1, v38, vcc
	v_lshlrev_b64 v[0:1], 3, v[0:1]
	v_add_co_u32_e32 v0, vcc, s30, v0
	v_addc_co_u32_e32 v1, vcc, v39, v1, vcc
	global_load_dwordx4 v[0:3], v[0:1], off
	s_waitcnt vmcnt(0)
	v_cmp_lt_i64_e32 vcc, v[0:1], v[2:3]
	s_and_saveexec_b64 s[46:47], vcc
	s_cbranch_execz .LBB136_21
; %bb.23:                               ;   in Loop: Header=BB136_22 Depth=1
	v_mov_b32_e32 v22, s72
	v_subrev_co_u32_e32 v2, vcc, s71, v2
	v_subb_co_u32_e32 v3, vcc, v3, v22, vcc
	v_subrev_co_u32_e32 v0, vcc, s71, v0
	v_subb_co_u32_e32 v1, vcc, v1, v22, vcc
	v_mul_lo_u32 v24, s36, v1
	v_mul_lo_u32 v25, s37, v0
	v_mad_u64_u32 v[22:23], s[50:51], s36, v0, v[14:15]
	v_add3_u32 v23, v25, v23, v24
	v_pk_mov_b32 v[24:25], s[18:19], s[18:19] op_sel:[0,1]
	v_mul_lo_u32 v26, s20, v23
	v_mul_lo_u32 v27, s21, v22
	v_mad_u64_u32 v[22:23], s[50:51], s20, v22, v[24:25]
	v_add3_u32 v23, v27, v23, v26
	v_mul_lo_u32 v26, s40, v1
	v_mul_lo_u32 v27, s41, v0
	v_mad_u64_u32 v[24:25], s[50:51], s40, v0, v[20:21]
	v_add3_u32 v25, v27, v25, v26
	s_mov_b64 s[50:51], 0
	s_branch .LBB136_25
.LBB136_24:                             ;   in Loop: Header=BB136_25 Depth=2
	s_or_b64 exec, exec, s[52:53]
	v_add_co_u32_e32 v0, vcc, 1, v0
	v_addc_co_u32_e32 v1, vcc, 0, v1, vcc
	v_mov_b32_e32 v26, s41
	v_add_co_u32_e32 v22, vcc, s40, v22
	v_addc_co_u32_e32 v23, vcc, v23, v26, vcc
	v_cmp_ge_i64_e32 vcc, v[0:1], v[2:3]
	s_or_b64 s[50:51], vcc, s[50:51]
	v_add_co_u32_e32 v24, vcc, s40, v24
	v_addc_co_u32_e32 v25, vcc, v25, v26, vcc
	s_andn2_b64 exec, exec, s[50:51]
	s_cbranch_execz .LBB136_21
.LBB136_25:                             ;   Parent Loop BB136_22 Depth=1
                                        ; =>  This Loop Header: Depth=2
                                        ;       Child Loop BB136_32 Depth 3
                                        ;       Child Loop BB136_28 Depth 3
	;; [unrolled: 1-line block ×3, first 2 shown]
	s_and_saveexec_b64 s[52:53], s[0:1]
	s_cbranch_execz .LBB136_24
; %bb.26:                               ;   in Loop: Header=BB136_25 Depth=2
	v_lshlrev_b64 v[26:27], 3, v[0:1]
	v_mov_b32_e32 v28, s17
	v_add_co_u32_e32 v26, vcc, s16, v26
	v_addc_co_u32_e32 v27, vcc, v28, v27, vcc
	global_load_dwordx2 v[26:27], v[26:27], off
	s_andn2_b64 vcc, exec, s[24:25]
	s_cbranch_vccnz .LBB136_30
; %bb.27:                               ;   in Loop: Header=BB136_25 Depth=2
	v_mov_b32_e32 v28, 0
	v_pk_mov_b32 v[30:31], v[16:17], v[16:17] op_sel:[0,1]
	s_mov_b64 s[54:55], s[20:21]
	v_pk_mov_b32 v[32:33], v[22:23], v[22:23] op_sel:[0,1]
	v_mov_b32_e32 v29, v28
.LBB136_28:                             ;   Parent Loop BB136_22 Depth=1
                                        ;     Parent Loop BB136_25 Depth=2
                                        ; =>    This Inner Loop Header: Depth=3
	global_load_dwordx2 v[40:41], v[32:33], off offset:-4
	global_load_dwordx2 v[42:43], v[30:31], off
	v_add_co_u32_e32 v32, vcc, 8, v32
	v_addc_co_u32_e32 v33, vcc, 0, v33, vcc
	s_add_u32 s54, s54, -1
	v_mov_b32_e32 v44, s37
	v_add_co_u32_e32 v30, vcc, s36, v30
	s_addc_u32 s55, s55, -1
	v_addc_co_u32_e32 v31, vcc, v31, v44, vcc
	s_cmp_lg_u64 s[54:55], 0
	s_waitcnt vmcnt(0)
	v_pk_fma_f32 v[28:29], v[42:43], v[40:41], v[28:29] op_sel_hi:[1,0,1]
	v_pk_fma_f32 v[28:29], v[42:43], v[40:41], v[28:29] op_sel:[1,1,0] op_sel_hi:[0,1,1] neg_lo:[1,0,0]
	s_cbranch_scc1 .LBB136_28
; %bb.29:                               ;   in Loop: Header=BB136_25 Depth=2
	s_branch .LBB136_33
.LBB136_30:                             ;   in Loop: Header=BB136_25 Depth=2
                                        ; implicit-def: $vgpr29
	s_cbranch_execz .LBB136_33
; %bb.31:                               ;   in Loop: Header=BB136_25 Depth=2
	v_mov_b32_e32 v28, 0
	v_pk_mov_b32 v[30:31], v[24:25], v[24:25] op_sel:[0,1]
	s_mov_b64 s[54:55], s[20:21]
	v_pk_mov_b32 v[32:33], v[18:19], v[18:19] op_sel:[0,1]
	v_mov_b32_e32 v29, v28
.LBB136_32:                             ;   Parent Loop BB136_22 Depth=1
                                        ;     Parent Loop BB136_25 Depth=2
                                        ; =>    This Inner Loop Header: Depth=3
	global_load_dwordx2 v[40:41], v[30:31], off offset:-4
	global_load_dwordx2 v[42:43], v[32:33], off
	v_add_co_u32_e32 v32, vcc, 8, v32
	v_addc_co_u32_e32 v33, vcc, 0, v33, vcc
	s_add_u32 s54, s54, -1
	v_mov_b32_e32 v44, s37
	v_add_co_u32_e32 v30, vcc, s36, v30
	s_addc_u32 s55, s55, -1
	v_addc_co_u32_e32 v31, vcc, v31, v44, vcc
	s_cmp_eq_u64 s[54:55], 0
	s_waitcnt vmcnt(0)
	v_pk_fma_f32 v[28:29], v[42:43], v[40:41], v[28:29] op_sel_hi:[1,0,1]
	v_pk_fma_f32 v[28:29], v[42:43], v[40:41], v[28:29] op_sel:[1,1,0] op_sel_hi:[0,1,1] neg_lo:[1,0,0]
	s_cbranch_scc0 .LBB136_32
.LBB136_33:                             ;   in Loop: Header=BB136_25 Depth=2
	s_waitcnt vmcnt(0)
	v_subrev_co_u32_e32 v26, vcc, s71, v26
	v_mul_f32_e64 v32, v29, -s3
	v_mul_f32_e32 v29, s70, v29
	v_mov_b32_e32 v30, s72
	v_fmac_f32_e32 v32, s70, v28
	v_fmac_f32_e32 v29, s3, v28
	v_lshl_add_u32 v28, v26, 3, v26
	v_subb_co_u32_e32 v27, vcc, v27, v30, vcc
	v_and_b32_e32 v28, 15, v28
	s_mov_b64 s[54:55], 0
	s_branch .LBB136_35
.LBB136_34:                             ;   in Loop: Header=BB136_35 Depth=3
	s_or_b64 exec, exec, s[56:57]
	s_xor_b64 s[56:57], s[58:59], -1
	s_and_b64 s[56:57], exec, s[56:57]
	s_or_b64 s[54:55], s[56:57], s[54:55]
	s_andn2_b64 exec, exec, s[54:55]
	s_cbranch_execz .LBB136_24
.LBB136_35:                             ;   Parent Loop BB136_22 Depth=1
                                        ;     Parent Loop BB136_25 Depth=2
                                        ; =>    This Inner Loop Header: Depth=3
	v_lshl_add_u32 v33, v28, 3, v34
	ds_read_b64 v[30:31], v33
                                        ; implicit-def: $sgpr58_sgpr59
	s_waitcnt lgkmcnt(0)
	v_cmp_ne_u64_e32 vcc, v[30:31], v[26:27]
	s_and_saveexec_b64 s[56:57], vcc
	s_xor_b64 s[56:57], exec, s[56:57]
	s_cbranch_execz .LBB136_43
; %bb.36:                               ;   in Loop: Header=BB136_35 Depth=3
	v_cmp_ne_u64_e32 vcc, s[42:43], v[30:31]
                                        ; implicit-def: $sgpr58_sgpr59
	s_and_saveexec_b64 s[60:61], vcc
	s_xor_b64 s[60:61], exec, s[60:61]
; %bb.37:                               ;   in Loop: Header=BB136_35 Depth=3
	v_add_u32_e32 v28, 1, v28
	v_and_b32_e32 v28, 15, v28
	s_mov_b64 s[58:59], -1
                                        ; implicit-def: $vgpr33
; %bb.38:                               ;   in Loop: Header=BB136_35 Depth=3
	s_andn2_saveexec_b64 s[60:61], s[60:61]
	s_cbranch_execz .LBB136_42
; %bb.39:                               ;   in Loop: Header=BB136_35 Depth=3
	v_pk_mov_b32 v[30:31], s[42:43], s[42:43] op_sel:[0,1]
	ds_cmpst_rtn_b64 v[30:31], v33, v[30:31], v[26:27]
	s_mov_b64 s[62:63], -1
	s_waitcnt lgkmcnt(0)
	v_cmp_eq_u64_e32 vcc, s[42:43], v[30:31]
	s_and_saveexec_b64 s[64:65], vcc
	s_cbranch_execz .LBB136_41
; %bb.40:                               ;   in Loop: Header=BB136_35 Depth=3
	v_lshl_add_u32 v30, v28, 7, v7
	ds_add_f32 v30, v32
	ds_add_f32 v30, v29 offset:4
	s_xor_b64 s[62:63], exec, -1
.LBB136_41:                             ;   in Loop: Header=BB136_35 Depth=3
	s_or_b64 exec, exec, s[64:65]
	s_andn2_b64 s[58:59], s[58:59], exec
	s_and_b64 s[62:63], s[62:63], exec
	s_or_b64 s[58:59], s[58:59], s[62:63]
.LBB136_42:                             ;   in Loop: Header=BB136_35 Depth=3
	s_or_b64 exec, exec, s[60:61]
	s_and_b64 s[58:59], s[58:59], exec
.LBB136_43:                             ;   in Loop: Header=BB136_35 Depth=3
	s_andn2_saveexec_b64 s[56:57], s[56:57]
	s_cbranch_execz .LBB136_34
; %bb.44:                               ;   in Loop: Header=BB136_35 Depth=3
	v_lshl_add_u32 v30, v28, 7, v7
	ds_add_f32 v30, v32
	ds_add_f32 v30, v29 offset:4
	s_andn2_b64 s[58:59], s[58:59], exec
	s_branch .LBB136_34
.LBB136_45:
	s_or_b64 exec, exec, s[6:7]
.LBB136_46:
	s_andn2_b64 vcc, exec, s[48:49]
	s_waitcnt lgkmcnt(0)
	s_barrier
	s_cbranch_vccnz .LBB136_64
; %bb.47:
	v_mov_b32_e32 v1, s23
	v_add_co_u32_e32 v0, vcc, s22, v8
	v_addc_co_u32_e32 v1, vcc, v1, v9, vcc
	global_load_dwordx4 v[10:13], v[0:1], off
	v_subrev_co_u32_e32 v2, vcc, s39, v37
	v_subb_co_u32_e64 v3, s[0:1], 0, 0, vcc
	s_mov_b32 s5, 0
	s_waitcnt vmcnt(0)
	v_subrev_co_u32_e32 v0, vcc, s39, v12
	v_subbrev_co_u32_e32 v1, vcc, 0, v13, vcc
	v_add_co_u32_e32 v2, vcc, v10, v2
	v_addc_co_u32_e32 v3, vcc, v11, v3, vcc
	v_cmp_lt_i64_e32 vcc, v[2:3], v[0:1]
	s_and_saveexec_b64 s[6:7], vcc
	s_cbranch_execz .LBB136_63
; %bb.48:
	v_mad_u64_u32 v[10:11], s[2:3], v4, s20, 0
	v_mov_b32_e32 v12, v11
	v_mad_u64_u32 v[12:13], s[2:3], v4, s21, v[12:13]
	v_mov_b32_e32 v11, v12
	v_mov_b32_e32 v5, 0
	v_lshlrev_b64 v[10:11], 3, v[10:11]
	v_cmp_gt_i64_e32 vcc, s[20:21], v[4:5]
	v_mov_b32_e32 v7, v5
	v_mov_b32_e32 v5, s11
	v_add_co_u32_e64 v12, s[2:3], s10, v10
	v_addc_co_u32_e64 v13, s[2:3], v5, v11, s[2:3]
	v_lshlrev_b64 v[10:11], 3, v[6:7]
	v_add_co_u32_e64 v15, s[2:3], v12, v10
	v_addc_co_u32_e64 v16, s[2:3], v13, v11, s[2:3]
	v_mad_u64_u32 v[10:11], s[2:3], v6, s20, 0
	v_mov_b32_e32 v12, v11
	v_mad_u64_u32 v[12:13], s[2:3], v6, s21, v[12:13]
	v_mov_b32_e32 v11, v12
	v_lshlrev_b64 v[10:11], 3, v[10:11]
	v_cmp_gt_u64_e64 s[0:1], s[20:21], v[6:7]
	v_add_co_u32_e64 v7, s[2:3], s10, v10
	v_lshlrev_b32_e32 v14, 3, v4
	v_addc_co_u32_e64 v5, s[2:3], v5, v11, s[2:3]
	v_add_co_u32_e64 v10, s[2:3], v7, v14
	s_cmp_eq_u32 s69, 0
	v_addc_co_u32_e64 v5, s[2:3], 0, v5, s[2:3]
	s_cselect_b64 s[2:3], -1, 0
	s_add_i32 s10, s68, s67
	v_lshlrev_b32_e32 v7, 5, v6
	s_mov_b32 s30, s39
	s_add_i32 s31, s10, s67
	v_add3_u32 v7, v35, v14, v7
	s_and_b64 s[0:1], vcc, s[0:1]
	v_cndmask_b32_e64 v5, v16, v5, s[2:3]
	v_cndmask_b32_e64 v10, v15, v10, s[2:3]
	s_mov_b64 s[2:3], 0
	s_branch .LBB136_50
.LBB136_49:                             ;   in Loop: Header=BB136_50 Depth=1
	s_or_b64 exec, exec, s[10:11]
	v_add_co_u32_e32 v2, vcc, 4, v2
	v_addc_co_u32_e32 v3, vcc, 0, v3, vcc
	v_cmp_ge_i64_e32 vcc, v[2:3], v[0:1]
	s_or_b64 s[2:3], vcc, s[2:3]
	s_andn2_b64 exec, exec, s[2:3]
	s_cbranch_execz .LBB136_63
.LBB136_50:                             ; =>This Loop Header: Depth=1
                                        ;     Child Loop BB136_53 Depth 2
	s_and_saveexec_b64 s[10:11], s[0:1]
	s_cbranch_execz .LBB136_49
; %bb.51:                               ;   in Loop: Header=BB136_50 Depth=1
	v_lshlrev_b64 v[12:13], 3, v[2:3]
	v_mov_b32_e32 v11, s9
	v_add_co_u32_e32 v12, vcc, s8, v12
	v_addc_co_u32_e32 v13, vcc, v11, v13, vcc
	v_mul_lo_u32 v11, s31, v2
	v_mul_lo_u32 v16, s4, v3
	v_mad_u64_u32 v[14:15], s[16:17], s4, v2, 0
	v_add3_u32 v15, v15, v16, v11
	v_lshlrev_b64 v[14:15], 3, v[14:15]
	v_add_co_u32_e32 v14, vcc, v10, v14
	global_load_dwordx2 v[12:13], v[12:13], off
	v_addc_co_u32_e32 v15, vcc, v5, v15, vcc
	global_load_dwordx2 v[16:17], v[14:15], off
	v_mov_b32_e32 v11, s5
	s_mov_b64 s[16:17], 0
	s_waitcnt vmcnt(1)
	v_subrev_co_u32_e32 v12, vcc, s30, v12
	v_subb_co_u32_e32 v13, vcc, v13, v11, vcc
	v_lshl_add_u32 v14, v12, 3, v12
	s_waitcnt vmcnt(0)
	v_mul_f32_e64 v11, v17, -s66
	v_mul_f32_e32 v15, s33, v17
	v_and_b32_e32 v14, 15, v14
	v_fmac_f32_e32 v11, s33, v16
	v_fmac_f32_e32 v15, s66, v16
	s_branch .LBB136_53
.LBB136_52:                             ;   in Loop: Header=BB136_53 Depth=2
	s_or_b64 exec, exec, s[18:19]
	s_xor_b64 s[18:19], s[22:23], -1
	s_and_b64 s[18:19], exec, s[18:19]
	s_or_b64 s[16:17], s[18:19], s[16:17]
	s_andn2_b64 exec, exec, s[16:17]
	s_cbranch_execz .LBB136_49
.LBB136_53:                             ;   Parent Loop BB136_50 Depth=1
                                        ; =>  This Inner Loop Header: Depth=2
	v_lshl_add_u32 v18, v14, 3, v34
	ds_read_b64 v[16:17], v18
                                        ; implicit-def: $sgpr22_sgpr23
	s_waitcnt lgkmcnt(0)
	v_cmp_ne_u64_e32 vcc, v[16:17], v[12:13]
	s_and_saveexec_b64 s[18:19], vcc
	s_xor_b64 s[18:19], exec, s[18:19]
	s_cbranch_execz .LBB136_61
; %bb.54:                               ;   in Loop: Header=BB136_53 Depth=2
	v_cmp_ne_u64_e32 vcc, s[42:43], v[16:17]
                                        ; implicit-def: $sgpr22_sgpr23
	s_and_saveexec_b64 s[24:25], vcc
	s_xor_b64 s[24:25], exec, s[24:25]
; %bb.55:                               ;   in Loop: Header=BB136_53 Depth=2
	v_add_u32_e32 v14, 1, v14
	v_and_b32_e32 v14, 15, v14
	s_mov_b64 s[22:23], -1
                                        ; implicit-def: $vgpr18
; %bb.56:                               ;   in Loop: Header=BB136_53 Depth=2
	s_andn2_saveexec_b64 s[24:25], s[24:25]
	s_cbranch_execz .LBB136_60
; %bb.57:                               ;   in Loop: Header=BB136_53 Depth=2
	v_pk_mov_b32 v[16:17], s[42:43], s[42:43] op_sel:[0,1]
	ds_cmpst_rtn_b64 v[16:17], v18, v[16:17], v[12:13]
	s_mov_b64 s[26:27], -1
	s_waitcnt lgkmcnt(0)
	v_cmp_eq_u64_e32 vcc, s[42:43], v[16:17]
	s_and_saveexec_b64 s[28:29], vcc
	s_cbranch_execz .LBB136_59
; %bb.58:                               ;   in Loop: Header=BB136_53 Depth=2
	v_lshl_add_u32 v16, v14, 7, v7
	ds_add_f32 v16, v11
	ds_add_f32 v16, v15 offset:4
	s_xor_b64 s[26:27], exec, -1
.LBB136_59:                             ;   in Loop: Header=BB136_53 Depth=2
	s_or_b64 exec, exec, s[28:29]
	s_andn2_b64 s[22:23], s[22:23], exec
	s_and_b64 s[26:27], s[26:27], exec
	s_or_b64 s[22:23], s[22:23], s[26:27]
.LBB136_60:                             ;   in Loop: Header=BB136_53 Depth=2
	s_or_b64 exec, exec, s[24:25]
	s_and_b64 s[22:23], s[22:23], exec
.LBB136_61:                             ;   in Loop: Header=BB136_53 Depth=2
	s_andn2_saveexec_b64 s[18:19], s[18:19]
	s_cbranch_execz .LBB136_52
; %bb.62:                               ;   in Loop: Header=BB136_53 Depth=2
	v_lshl_add_u32 v16, v14, 7, v7
	ds_add_f32 v16, v11
	ds_add_f32 v16, v15 offset:4
	s_andn2_b64 s[22:23], s[22:23], exec
	s_branch .LBB136_52
.LBB136_63:
	s_or_b64 exec, exec, s[6:7]
.LBB136_64:
	v_mov_b32_e32 v1, s13
	v_add_co_u32_e32 v0, vcc, s12, v8
	v_addc_co_u32_e32 v1, vcc, v1, v9, vcc
	s_waitcnt lgkmcnt(0)
	s_barrier
	global_load_dwordx2 v[0:1], v[0:1], off
	s_cmp_eq_u32 s69, 0
	v_mad_u64_u32 v[2:3], s[0:1], v6, s20, 0
	v_mov_b32_e32 v5, 0
	v_lshlrev_b32_e32 v11, 7, v36
	v_lshlrev_b32_e32 v13, 3, v37
	s_movk_i32 s2, 0x2000
	s_cselect_b64 s[0:1], -1, 0
	s_add_i32 s6, s68, s67
	v_mov_b32_e32 v10, v3
	v_cmp_gt_i64_e32 vcc, s[20:21], v[4:5]
	v_mov_b32_e32 v7, v5
	v_or3_b32 v5, v11, v13, s2
	s_add_i32 s8, s6, s67
	v_mad_u64_u32 v[10:11], s[6:7], v6, s21, v[10:11]
	v_mov_b32_e32 v3, v10
	v_lshlrev_b32_e32 v12, 3, v4
	v_cndmask_b32_e64 v14, v4, v6, s[0:1]
	v_cmp_gt_u64_e64 s[2:3], s[20:21], v[6:7]
	v_cndmask_b32_e64 v4, v6, v4, s[0:1]
	v_lshlrev_b64 v[2:3], 3, v[2:3]
	v_mov_b32_e32 v9, s35
	s_and_b64 s[0:1], vcc, s[2:3]
	v_lshlrev_b32_e32 v4, 3, v4
	v_add_co_u32_e32 v2, vcc, s34, v2
	v_lshl_or_b32 v4, v37, 7, v4
	v_addc_co_u32_e32 v3, vcc, v9, v3, vcc
	v_lshl_or_b32 v7, v14, 5, v4
	v_add_co_u32_e32 v4, vcc, v2, v12
	v_addc_co_u32_e32 v6, vcc, 0, v3, vcc
	s_mov_b32 s5, 0
	v_or_b32_e32 v8, -4, v37
	v_add_u32_e32 v7, v35, v7
	s_mov_b64 s[2:3], 0
	s_waitcnt vmcnt(0)
	v_subrev_co_u32_e32 v9, vcc, s38, v0
	v_subbrev_co_u32_e32 v10, vcc, 0, v1, vcc
	s_branch .LBB136_66
.LBB136_65:                             ;   in Loop: Header=BB136_66 Depth=1
	s_or_b64 exec, exec, s[6:7]
	v_add_u32_e32 v8, 4, v8
	v_cmp_lt_u32_e32 vcc, 11, v8
	v_add_u32_e32 v7, 0x200, v7
	s_or_b64 s[2:3], vcc, s[2:3]
	v_add_u32_e32 v5, 32, v5
	s_andn2_b64 exec, exec, s[2:3]
	s_cbranch_execz .LBB136_69
.LBB136_66:                             ; =>This Inner Loop Header: Depth=1
	ds_read_b64 v[0:1], v5
	s_waitcnt lgkmcnt(0)
	v_cmp_gt_i64_e32 vcc, s[42:43], v[0:1]
	s_and_saveexec_b64 s[6:7], vcc
	s_cbranch_execz .LBB136_65
; %bb.67:                               ;   in Loop: Header=BB136_66 Depth=1
	ds_read_b128 v[12:15], v34
	ds_read_b128 v[16:19], v34 offset:16
	ds_read_b128 v[20:23], v34 offset:32
	;; [unrolled: 1-line block ×3, first 2 shown]
	s_waitcnt lgkmcnt(3)
	v_cmp_gt_i64_e32 vcc, v[0:1], v[12:13]
	v_cndmask_b32_e64 v2, 0, 1, vcc
	v_add_co_u32_e32 v2, vcc, v9, v2
	v_addc_co_u32_e32 v3, vcc, 0, v10, vcc
	v_cmp_gt_i64_e32 vcc, v[0:1], v[14:15]
	v_cndmask_b32_e64 v11, 0, 1, vcc
	v_add_co_u32_e32 v2, vcc, v2, v11
	v_addc_co_u32_e32 v3, vcc, 0, v3, vcc
	s_waitcnt lgkmcnt(2)
	v_cmp_gt_i64_e32 vcc, v[0:1], v[16:17]
	v_cndmask_b32_e64 v11, 0, 1, vcc
	v_add_co_u32_e32 v2, vcc, v2, v11
	v_addc_co_u32_e32 v3, vcc, 0, v3, vcc
	v_cmp_gt_i64_e32 vcc, v[0:1], v[18:19]
	v_cndmask_b32_e64 v11, 0, 1, vcc
	v_add_co_u32_e32 v2, vcc, v2, v11
	v_addc_co_u32_e32 v3, vcc, 0, v3, vcc
	;; [unrolled: 9-line block ×3, first 2 shown]
	s_waitcnt lgkmcnt(0)
	v_cmp_gt_i64_e32 vcc, v[0:1], v[24:25]
	v_cndmask_b32_e64 v11, 0, 1, vcc
	v_add_co_u32_e32 v2, vcc, v2, v11
	v_addc_co_u32_e32 v3, vcc, 0, v3, vcc
	ds_read_b128 v[12:15], v34 offset:64
	ds_read_b128 v[16:19], v34 offset:80
	v_cmp_gt_i64_e32 vcc, v[0:1], v[26:27]
	v_cndmask_b32_e64 v11, 0, 1, vcc
	v_add_co_u32_e32 v2, vcc, v2, v11
	v_addc_co_u32_e32 v3, vcc, 0, v3, vcc
	s_waitcnt lgkmcnt(1)
	v_cmp_gt_i64_e32 vcc, v[0:1], v[12:13]
	v_cndmask_b32_e64 v11, 0, 1, vcc
	v_add_co_u32_e32 v2, vcc, v2, v11
	v_addc_co_u32_e32 v3, vcc, 0, v3, vcc
	v_cmp_gt_i64_e32 vcc, v[0:1], v[14:15]
	v_cndmask_b32_e64 v11, 0, 1, vcc
	v_add_co_u32_e32 v2, vcc, v2, v11
	v_addc_co_u32_e32 v3, vcc, 0, v3, vcc
	s_waitcnt lgkmcnt(0)
	v_cmp_gt_i64_e32 vcc, v[0:1], v[16:17]
	v_cndmask_b32_e64 v11, 0, 1, vcc
	v_add_co_u32_e32 v2, vcc, v2, v11
	v_addc_co_u32_e32 v3, vcc, 0, v3, vcc
	ds_read_b128 v[12:15], v34 offset:96
	v_cmp_gt_i64_e32 vcc, v[0:1], v[18:19]
	ds_read_b128 v[16:19], v34 offset:112
	v_cndmask_b32_e64 v11, 0, 1, vcc
	v_add_co_u32_e32 v2, vcc, v2, v11
	v_addc_co_u32_e32 v3, vcc, 0, v3, vcc
	s_waitcnt lgkmcnt(1)
	v_cmp_gt_i64_e32 vcc, v[0:1], v[12:13]
	v_cndmask_b32_e64 v11, 0, 1, vcc
	v_add_co_u32_e32 v2, vcc, v2, v11
	v_addc_co_u32_e32 v3, vcc, 0, v3, vcc
	v_cmp_gt_i64_e32 vcc, v[0:1], v[14:15]
	v_cndmask_b32_e64 v11, 0, 1, vcc
	v_add_co_u32_e32 v2, vcc, v2, v11
	v_addc_co_u32_e32 v3, vcc, 0, v3, vcc
	s_waitcnt lgkmcnt(0)
	v_cmp_gt_i64_e32 vcc, v[0:1], v[16:17]
	v_cndmask_b32_e64 v11, 0, 1, vcc
	v_add_co_u32_e32 v2, vcc, v2, v11
	v_addc_co_u32_e32 v3, vcc, 0, v3, vcc
	v_cmp_gt_i64_e32 vcc, v[0:1], v[18:19]
	v_cndmask_b32_e64 v11, 0, 1, vcc
	v_add_co_u32_e32 v2, vcc, v2, v11
	v_addc_co_u32_e32 v3, vcc, 0, v3, vcc
	v_mov_b32_e32 v11, s5
	v_add_co_u32_e32 v0, vcc, s38, v0
	v_addc_co_u32_e32 v1, vcc, v1, v11, vcc
	v_lshlrev_b64 v[12:13], 3, v[2:3]
	v_mov_b32_e32 v11, s15
	v_add_co_u32_e32 v12, vcc, s14, v12
	v_addc_co_u32_e32 v13, vcc, v11, v13, vcc
	global_store_dwordx2 v[12:13], v[0:1], off
	s_and_b64 exec, exec, s[0:1]
	s_cbranch_execz .LBB136_65
; %bb.68:                               ;   in Loop: Header=BB136_66 Depth=1
	v_mul_lo_u32 v11, s8, v2
	v_mul_lo_u32 v3, s4, v3
	v_mad_u64_u32 v[0:1], s[10:11], s4, v2, 0
	v_add3_u32 v1, v1, v3, v11
	ds_read_b64 v[2:3], v7
	v_lshlrev_b64 v[0:1], 3, v[0:1]
	v_add_co_u32_e32 v0, vcc, v4, v0
	v_addc_co_u32_e32 v1, vcc, v6, v1, vcc
	s_waitcnt lgkmcnt(0)
	global_store_dwordx2 v[0:1], v[2:3], off
	s_branch .LBB136_65
.LBB136_69:
	s_endpgm
	.section	.rodata,"a",@progbits
	.p2align	6, 0x0
	.amdhsa_kernel _ZN9rocsparseL23bsrgemm_fill_wf_per_rowILj256ELj64ELj16ELj137ELj4Ell21rocsparse_complex_numIfEEEv20rocsparse_direction_T5_S4_S4_PKS4_S6_NS_24const_host_device_scalarIT6_EEPKT4_S6_PKS8_SC_S6_SE_S9_SC_S6_SE_SC_PS4_PS8_21rocsparse_index_base_SH_SH_SH_bbb
		.amdhsa_group_segment_fixed_size 8704
		.amdhsa_private_segment_fixed_size 0
		.amdhsa_kernarg_size 180
		.amdhsa_user_sgpr_count 6
		.amdhsa_user_sgpr_private_segment_buffer 1
		.amdhsa_user_sgpr_dispatch_ptr 0
		.amdhsa_user_sgpr_queue_ptr 0
		.amdhsa_user_sgpr_kernarg_segment_ptr 1
		.amdhsa_user_sgpr_dispatch_id 0
		.amdhsa_user_sgpr_flat_scratch_init 0
		.amdhsa_user_sgpr_kernarg_preload_length 0
		.amdhsa_user_sgpr_kernarg_preload_offset 0
		.amdhsa_user_sgpr_private_segment_size 0
		.amdhsa_uses_dynamic_stack 0
		.amdhsa_system_sgpr_private_segment_wavefront_offset 0
		.amdhsa_system_sgpr_workgroup_id_x 1
		.amdhsa_system_sgpr_workgroup_id_y 0
		.amdhsa_system_sgpr_workgroup_id_z 0
		.amdhsa_system_sgpr_workgroup_info 0
		.amdhsa_system_vgpr_workitem_id 0
		.amdhsa_next_free_vgpr 45
		.amdhsa_next_free_sgpr 73
		.amdhsa_accum_offset 48
		.amdhsa_reserve_vcc 1
		.amdhsa_reserve_flat_scratch 0
		.amdhsa_float_round_mode_32 0
		.amdhsa_float_round_mode_16_64 0
		.amdhsa_float_denorm_mode_32 3
		.amdhsa_float_denorm_mode_16_64 3
		.amdhsa_dx10_clamp 1
		.amdhsa_ieee_mode 1
		.amdhsa_fp16_overflow 0
		.amdhsa_tg_split 0
		.amdhsa_exception_fp_ieee_invalid_op 0
		.amdhsa_exception_fp_denorm_src 0
		.amdhsa_exception_fp_ieee_div_zero 0
		.amdhsa_exception_fp_ieee_overflow 0
		.amdhsa_exception_fp_ieee_underflow 0
		.amdhsa_exception_fp_ieee_inexact 0
		.amdhsa_exception_int_div_zero 0
	.end_amdhsa_kernel
	.section	.text._ZN9rocsparseL23bsrgemm_fill_wf_per_rowILj256ELj64ELj16ELj137ELj4Ell21rocsparse_complex_numIfEEEv20rocsparse_direction_T5_S4_S4_PKS4_S6_NS_24const_host_device_scalarIT6_EEPKT4_S6_PKS8_SC_S6_SE_S9_SC_S6_SE_SC_PS4_PS8_21rocsparse_index_base_SH_SH_SH_bbb,"axG",@progbits,_ZN9rocsparseL23bsrgemm_fill_wf_per_rowILj256ELj64ELj16ELj137ELj4Ell21rocsparse_complex_numIfEEEv20rocsparse_direction_T5_S4_S4_PKS4_S6_NS_24const_host_device_scalarIT6_EEPKT4_S6_PKS8_SC_S6_SE_S9_SC_S6_SE_SC_PS4_PS8_21rocsparse_index_base_SH_SH_SH_bbb,comdat
.Lfunc_end136:
	.size	_ZN9rocsparseL23bsrgemm_fill_wf_per_rowILj256ELj64ELj16ELj137ELj4Ell21rocsparse_complex_numIfEEEv20rocsparse_direction_T5_S4_S4_PKS4_S6_NS_24const_host_device_scalarIT6_EEPKT4_S6_PKS8_SC_S6_SE_S9_SC_S6_SE_SC_PS4_PS8_21rocsparse_index_base_SH_SH_SH_bbb, .Lfunc_end136-_ZN9rocsparseL23bsrgemm_fill_wf_per_rowILj256ELj64ELj16ELj137ELj4Ell21rocsparse_complex_numIfEEEv20rocsparse_direction_T5_S4_S4_PKS4_S6_NS_24const_host_device_scalarIT6_EEPKT4_S6_PKS8_SC_S6_SE_S9_SC_S6_SE_SC_PS4_PS8_21rocsparse_index_base_SH_SH_SH_bbb
                                        ; -- End function
	.section	.AMDGPU.csdata,"",@progbits
; Kernel info:
; codeLenInByte = 3252
; NumSgprs: 77
; NumVgprs: 45
; NumAgprs: 0
; TotalNumVgprs: 45
; ScratchSize: 0
; MemoryBound: 0
; FloatMode: 240
; IeeeMode: 1
; LDSByteSize: 8704 bytes/workgroup (compile time only)
; SGPRBlocks: 9
; VGPRBlocks: 5
; NumSGPRsForWavesPerEU: 77
; NumVGPRsForWavesPerEU: 45
; AccumOffset: 48
; Occupancy: 7
; WaveLimiterHint : 1
; COMPUTE_PGM_RSRC2:SCRATCH_EN: 0
; COMPUTE_PGM_RSRC2:USER_SGPR: 6
; COMPUTE_PGM_RSRC2:TRAP_HANDLER: 0
; COMPUTE_PGM_RSRC2:TGID_X_EN: 1
; COMPUTE_PGM_RSRC2:TGID_Y_EN: 0
; COMPUTE_PGM_RSRC2:TGID_Z_EN: 0
; COMPUTE_PGM_RSRC2:TIDIG_COMP_CNT: 0
; COMPUTE_PGM_RSRC3_GFX90A:ACCUM_OFFSET: 11
; COMPUTE_PGM_RSRC3_GFX90A:TG_SPLIT: 0
	.section	.text._ZN9rocsparseL38bsrgemm_block_per_row_atomic_multipassILj256ELj32ELj4Ell21rocsparse_complex_numIfEEEv20rocsparse_direction_T3_S4_PKS4_S6_NS_24const_host_device_scalarIT4_EEPKT2_S6_PKS8_SC_S6_SE_S9_SC_S6_SE_SC_PS4_PS8_PSA_21rocsparse_index_base_SI_SI_SI_bbb,"axG",@progbits,_ZN9rocsparseL38bsrgemm_block_per_row_atomic_multipassILj256ELj32ELj4Ell21rocsparse_complex_numIfEEEv20rocsparse_direction_T3_S4_PKS4_S6_NS_24const_host_device_scalarIT4_EEPKT2_S6_PKS8_SC_S6_SE_S9_SC_S6_SE_SC_PS4_PS8_PSA_21rocsparse_index_base_SI_SI_SI_bbb,comdat
	.globl	_ZN9rocsparseL38bsrgemm_block_per_row_atomic_multipassILj256ELj32ELj4Ell21rocsparse_complex_numIfEEEv20rocsparse_direction_T3_S4_PKS4_S6_NS_24const_host_device_scalarIT4_EEPKT2_S6_PKS8_SC_S6_SE_S9_SC_S6_SE_SC_PS4_PS8_PSA_21rocsparse_index_base_SI_SI_SI_bbb ; -- Begin function _ZN9rocsparseL38bsrgemm_block_per_row_atomic_multipassILj256ELj32ELj4Ell21rocsparse_complex_numIfEEEv20rocsparse_direction_T3_S4_PKS4_S6_NS_24const_host_device_scalarIT4_EEPKT2_S6_PKS8_SC_S6_SE_S9_SC_S6_SE_SC_PS4_PS8_PSA_21rocsparse_index_base_SI_SI_SI_bbb
	.p2align	8
	.type	_ZN9rocsparseL38bsrgemm_block_per_row_atomic_multipassILj256ELj32ELj4Ell21rocsparse_complex_numIfEEEv20rocsparse_direction_T3_S4_PKS4_S6_NS_24const_host_device_scalarIT4_EEPKT2_S6_PKS8_SC_S6_SE_S9_SC_S6_SE_SC_PS4_PS8_PSA_21rocsparse_index_base_SI_SI_SI_bbb,@function
_ZN9rocsparseL38bsrgemm_block_per_row_atomic_multipassILj256ELj32ELj4Ell21rocsparse_complex_numIfEEEv20rocsparse_direction_T3_S4_PKS4_S6_NS_24const_host_device_scalarIT4_EEPKT2_S6_PKS8_SC_S6_SE_S9_SC_S6_SE_SC_PS4_PS8_PSA_21rocsparse_index_base_SI_SI_SI_bbb: ; @_ZN9rocsparseL38bsrgemm_block_per_row_atomic_multipassILj256ELj32ELj4Ell21rocsparse_complex_numIfEEEv20rocsparse_direction_T3_S4_PKS4_S6_NS_24const_host_device_scalarIT4_EEPKT2_S6_PKS8_SC_S6_SE_S9_SC_S6_SE_SC_PS4_PS8_PSA_21rocsparse_index_base_SI_SI_SI_bbb
; %bb.0:
	s_load_dwordx8 s[24:31], s[4:5], 0x90
	s_load_dword s7, s[4:5], 0xb0
	s_load_dwordx8 s[8:15], s[4:5], 0x70
                                        ; implicit-def: $vgpr62 : SGPR spill to VGPR lane
	s_mov_b32 s35, 0
	s_mov_b32 s33, 0
	s_waitcnt lgkmcnt(0)
	s_bitcmp1_b32 s7, 0
	v_writelane_b32 v62, s8, 0
	v_writelane_b32 v62, s9, 1
	;; [unrolled: 1-line block ×8, first 2 shown]
	s_load_dwordx8 s[44:51], s[4:5], 0x50
	s_load_dwordx4 s[8:11], s[4:5], 0x18
	s_load_dwordx8 s[52:59], s[4:5], 0x30
	s_cselect_b64 s[16:17], -1, 0
	s_bitcmp1_b32 s7, 16
	s_cselect_b64 s[0:1], -1, 0
	s_xor_b64 s[2:3], s[0:1], -1
	s_bitcmp0_b32 s7, 0
	s_cbranch_scc1 .LBB137_5
; %bb.1:
	s_load_dwordx2 s[34:35], s[4:5], 0x28
	v_cndmask_b32_e64 v1, 0, 1, s[2:3]
	v_cmp_ne_u32_e64 s[0:1], 1, v1
	s_andn2_b64 vcc, exec, s[2:3]
	s_waitcnt lgkmcnt(0)
	s_mov_b32 s33, s34
	s_cbranch_vccnz .LBB137_3
; %bb.2:
	s_load_dword s33, s[34:35], 0x0
.LBB137_3:
	s_and_b64 vcc, exec, s[0:1]
	s_cbranch_vccnz .LBB137_5
; %bb.4:
	s_load_dword s35, s[34:35], 0x4
.LBB137_5:
	s_bitcmp1_b32 s7, 8
	s_cselect_b64 s[64:65], -1, 0
	s_bfe_u32 s0, s7, 0x10008
	s_mov_b32 s90, 0
	s_cmp_eq_u32 s0, 0
	s_mov_b32 s34, 0
	s_cbranch_scc1 .LBB137_11
; %bb.6:
	v_cndmask_b32_e64 v1, 0, 1, s[2:3]
	v_cmp_ne_u32_e64 s[0:1], 1, v1
	s_andn2_b64 vcc, exec, s[2:3]
	s_waitcnt lgkmcnt(0)
	s_mov_b32 s34, s48
	s_cbranch_vccnz .LBB137_8
; %bb.7:
	s_load_dword s34, s[48:49], 0x0
.LBB137_8:
	s_and_b64 vcc, exec, s[0:1]
	s_cbranch_vccnz .LBB137_10
; %bb.9:
	s_load_dword s49, s[48:49], 0x4
.LBB137_10:
	s_waitcnt lgkmcnt(0)
	s_mov_b32 s90, s49
.LBB137_11:
	s_waitcnt lgkmcnt(0)
	s_mov_b64 s[48:49], 0
	s_cmp_eq_u64 s[10:11], 0
	s_mov_b32 s7, 0
	s_cbranch_scc1 .LBB137_13
; %bb.12:
	s_load_dwordx2 s[0:1], s[8:9], 0x0
	s_waitcnt lgkmcnt(0)
	s_lshl_b64 s[0:1], s[0:1], 3
	s_add_u32 s2, s10, s0
	s_addc_u32 s3, s11, s1
	s_lshl_b64 s[0:1], s[6:7], 3
	s_add_u32 s0, s2, s0
	s_addc_u32 s1, s3, s1
	s_load_dwordx2 s[6:7], s[0:1], 0x0
.LBB137_13:
	v_cndmask_b32_e64 v1, 0, 1, s[16:17]
	v_cmp_ne_u32_e64 s[0:1], 1, v1
	s_andn2_b64 vcc, exec, s[16:17]
	s_cbranch_vccz .LBB137_16
; %bb.14:
	s_and_b64 vcc, exec, s[0:1]
	s_mov_b64 s[66:67], 0
	s_cbranch_vccz .LBB137_17
.LBB137_15:
	s_load_dwordx4 s[60:63], s[4:5], 0x8
	s_waitcnt lgkmcnt(0)
	v_cmp_lt_i64_e64 s[0:1], s[60:61], 1
	s_and_b64 vcc, exec, s[0:1]
	s_cbranch_vccz .LBB137_18
	s_branch .LBB137_100
.LBB137_16:
	s_waitcnt lgkmcnt(0)
	s_lshl_b64 s[2:3], s[6:7], 3
	s_add_u32 s2, s52, s2
	s_addc_u32 s3, s53, s3
	s_load_dwordx2 s[2:3], s[2:3], 0x0
	s_waitcnt lgkmcnt(0)
	s_sub_u32 s48, s2, s28
	s_subb_u32 s49, s3, 0
	s_and_b64 vcc, exec, s[0:1]
	s_mov_b64 s[66:67], 0
	s_cbranch_vccnz .LBB137_15
.LBB137_17:
	s_waitcnt lgkmcnt(0)
	s_lshl_b64 s[0:1], s[6:7], 3
	s_add_u32 s0, s52, s0
	s_addc_u32 s1, s53, s1
	s_load_dwordx2 s[0:1], s[0:1], 0x8
	s_waitcnt lgkmcnt(0)
	s_sub_u32 s66, s0, s28
	s_subb_u32 s67, s1, 0
	s_load_dwordx4 s[60:63], s[4:5], 0x8
	s_waitcnt lgkmcnt(0)
	v_cmp_lt_i64_e64 s[0:1], s[60:61], 1
	s_and_b64 vcc, exec, s[0:1]
	s_cbranch_vccnz .LBB137_100
.LBB137_18:
	s_load_dwordx8 s[36:43], s[4:5], 0x70
	s_lshl_b64 s[14:15], s[6:7], 3
	s_mul_i32 s6, s62, s63
	s_mul_hi_u32 s7, s62, s62
	v_bfe_u32 v18, v0, 2, 2
	s_waitcnt lgkmcnt(0)
	s_add_u32 s0, s40, s14
	s_addc_u32 s1, s41, s15
	s_load_dwordx2 s[0:1], s[0:1], 0x0
	v_lshlrev_b32_e32 v11, 3, v0
	v_pk_mov_b32 v[6:7], s[66:67], s[66:67] op_sel:[0,1]
	v_and_b32_e32 v4, 3, v0
	v_cmp_lt_i64_e32 vcc, s[48:49], v[6:7]
	s_waitcnt lgkmcnt(0)
	s_sub_u32 s18, s0, s30
	s_subb_u32 s19, s1, 0
	s_add_i32 s7, s7, s6
	s_add_i32 s41, s7, s6
	v_mad_u64_u32 v[8:9], s[6:7], v18, s62, 0
	v_mov_b32_e32 v10, v9
	v_mad_u64_u32 v[12:13], s[6:7], v18, s63, v[10:11]
	v_mov_b32_e32 v9, v12
	v_lshlrev_b64 v[12:13], 3, v[8:9]
	v_mov_b32_e32 v7, s57
	v_add_co_u32_e64 v10, s[6:7], s56, v12
	v_addc_co_u32_e64 v7, s[6:7], v7, v13, s[6:7]
	v_lshlrev_b32_e32 v8, 3, v4
	v_mov_b32_e32 v6, 0
	v_add_co_u32_e64 v39, s[6:7], v10, v8
	v_mov_b32_e32 v5, v6
	v_mov_b32_e32 v19, v6
	v_addc_co_u32_e64 v40, s[6:7], 0, v7, s[6:7]
	v_cmp_gt_i64_e64 s[10:11], s[62:63], v[4:5]
	v_cmp_gt_i64_e64 s[6:7], s[62:63], v[18:19]
	s_and_b64 s[52:53], s[10:11], s[6:7]
	v_mad_u64_u32 v[14:15], s[6:7], v4, s62, 0
	v_mov_b32_e32 v10, v15
	v_mad_u64_u32 v[16:17], s[6:7], v4, s63, v[10:11]
	v_mov_b32_e32 v15, v16
	v_lshlrev_b64 v[14:15], 3, v[14:15]
	v_mov_b32_e32 v5, s39
	v_add_co_u32_e64 v7, s[6:7], s38, v14
	v_addc_co_u32_e64 v10, s[6:7], v5, v15, s[6:7]
	v_lshlrev_b64 v[16:17], 3, v[18:19]
	s_load_dword s20, s[4:5], 0x0
	v_add_co_u32_e64 v7, s[6:7], v7, v16
	v_addc_co_u32_e64 v10, s[6:7], v10, v17, s[6:7]
	v_cmp_gt_u64_e64 s[8:9], s[62:63], v[18:19]
	v_add_co_u32_e64 v19, s[6:7], s38, v12
	v_addc_co_u32_e64 v5, s[6:7], v5, v13, s[6:7]
	v_add_co_u32_e64 v19, s[6:7], v19, v8
	v_lshrrev_b32_e32 v2, 4, v0
	s_waitcnt lgkmcnt(0)
	s_cmp_eq_u32 s20, 0
	v_addc_co_u32_e64 v5, s[6:7], 0, v5, s[6:7]
	s_cselect_b64 s[12:13], -1, 0
	s_cmp_lg_u32 s20, 0
	v_subrev_co_u32_e64 v42, s[6:7], s31, v2
	v_and_b32_e32 v1, 15, v0
	s_cselect_b64 s[38:39], -1, 0
	s_add_u32 s50, s50, s14
	v_subb_co_u32_e64 v43, s[6:7], 0, 0, s[6:7]
	s_addc_u32 s51, s51, s15
	v_cmp_eq_u32_e64 s[6:7], 15, v1
	v_mov_b32_e32 v1, s25
	v_add_co_u32_e64 v14, s[14:15], s24, v14
	v_addc_co_u32_e64 v15, s[14:15], v1, v15, s[14:15]
	v_add_co_u32_e64 v14, s[14:15], v14, v16
	v_addc_co_u32_e64 v15, s[14:15], v15, v17, s[14:15]
	v_add_co_u32_e64 v12, s[14:15], s24, v12
	s_and_b64 s[24:25], s[16:17], vcc
	s_and_b64 s[56:57], s[10:11], s[8:9]
	s_mov_b32 s93, s31
	s_add_u32 s31, s58, 8
	s_addc_u32 s95, s59, 0
	s_add_u32 s36, s42, -8
	s_addc_u32 s37, s43, -1
	v_addc_co_u32_e64 v1, s[14:15], v1, v13, s[14:15]
	s_add_u32 s42, s46, 4
	v_add_co_u32_e64 v12, s[14:15], v12, v8
	s_addc_u32 s43, s47, 0
	v_cndmask_b32_e64 v5, v10, v5, s[12:13]
	v_cndmask_b32_e64 v10, v14, v12, s[12:13]
	v_mov_b32_e32 v13, s43
	v_add_co_u32_e32 v12, vcc, s42, v8
	v_cndmask_b32_e64 v7, v7, v19, s[12:13]
	v_addc_co_u32_e32 v13, vcc, 0, v13, vcc
	s_movk_i32 s2, 0x200
	v_add_co_u32_e32 v14, vcc, 4, v7
	v_mov_b32_e32 v7, 0x1800
	v_cmp_gt_u32_e64 s[0:1], 32, v0
	v_cmp_gt_u32_e64 s[2:3], s2, v0
	v_cmp_eq_u32_e64 s[4:5], 0, v0
	v_and_b32_e32 v41, 12, v0
	v_and_b32_e32 v20, 31, v0
	v_addc_co_u32_e64 v1, s[14:15], 0, v1, s[14:15]
	v_lshl_or_b32 v48, v0, 2, v7
	v_or_b32_e32 v53, 0xffffff00, v0
	v_lshlrev_b32_e32 v0, 3, v18
	v_cndmask_b32_e64 v1, v15, v1, s[12:13]
	v_addc_co_u32_e32 v15, vcc, 0, v5, vcc
	v_lshl_or_b32 v0, v2, 7, v0
	s_mov_b32 s91, 0
	s_mul_i32 s40, s62, s62
	v_lshlrev_b32_e32 v21, 2, v20
	v_add_co_u32_e32 v45, vcc, 16, v42
	v_add_co_u32_e64 v5, s[8:9], -1, v20
	v_add_u32_e32 v54, 0x1000, v0
	v_and_b32_e32 v0, 0x7e0, v11
	v_mov_b32_e32 v18, 32
	v_mov_b32_e32 v3, v6
	v_or_b32_e32 v38, 0x1000, v11
	v_mov_b32_e32 v9, v6
	s_mov_b32 s92, s91
	s_mov_b32 s94, s91
	v_or_b32_e32 v44, 0x1800, v21
	v_addc_co_u32_e32 v46, vcc, 0, v43, vcc
	v_lshl_add_u32 v47, v5, 2, v7
	v_pk_mov_b32 v[16:17], s[18:19], s[18:19] op_sel:[0,1]
	v_cmp_ne_u32_e64 s[10:11], 0, v20
	v_add_u32_e32 v49, 0x17f8, v21
	v_add_u32_e32 v50, 0x17f0, v21
	;; [unrolled: 1-line block ×4, first 2 shown]
	v_or_b32_e32 v55, 0x1000, v0
	v_lshl_or_b32 v56, v2, 2, v7
	v_mov_b32_e32 v19, 0
	v_mov_b32_e32 v57, 1
	v_cmp_lt_u32_e64 s[12:13], 1, v20
	v_cmp_lt_u32_e64 s[14:15], 3, v20
	;; [unrolled: 1-line block ×4, first 2 shown]
	s_lshl_b64 s[46:47], s[62:63], 3
	s_lshl_b64 s[68:69], s[40:41], 3
	;; [unrolled: 1-line block ×3, first 2 shown]
	s_mov_b64 s[72:73], 0
	s_branch .LBB137_20
.LBB137_19:                             ;   in Loop: Header=BB137_20 Depth=1
	s_or_b64 exec, exec, s[20:21]
	s_barrier
	ds_read_b64 v[20:21], v6 offset:6272
	v_ashrrev_i32_e32 v0, 31, v7
	v_add_co_u32_e32 v16, vcc, v16, v7
	v_addc_co_u32_e32 v17, vcc, v17, v0, vcc
	s_waitcnt lgkmcnt(0)
	v_add_co_u32_e32 v18, vcc, 32, v20
	v_addc_co_u32_e32 v19, vcc, 0, v21, vcc
	v_cmp_le_i64_e32 vcc, s[60:61], v[20:21]
	v_readfirstlane_b32 s72, v20
	v_readfirstlane_b32 s73, v21
	s_barrier
	s_cbranch_vccnz .LBB137_100
.LBB137_20:                             ; =>This Loop Header: Depth=1
                                        ;     Child Loop BB137_24 Depth 2
                                        ;     Child Loop BB137_30 Depth 2
                                        ;       Child Loop BB137_46 Depth 3
                                        ;         Child Loop BB137_58 Depth 4
                                        ;         Child Loop BB137_54 Depth 4
                                        ;     Child Loop BB137_68 Depth 2
                                        ;     Child Loop BB137_77 Depth 2
	;; [unrolled: 1-line block ×3, first 2 shown]
	s_and_saveexec_b64 s[20:21], s[0:1]
	s_cbranch_execz .LBB137_22
; %bb.21:                               ;   in Loop: Header=BB137_20 Depth=1
	ds_write_b32 v48, v6
.LBB137_22:                             ;   in Loop: Header=BB137_20 Depth=1
	s_or_b64 exec, exec, s[20:21]
	s_and_saveexec_b64 s[20:21], s[2:3]
	s_cbranch_execz .LBB137_25
; %bb.23:                               ;   in Loop: Header=BB137_20 Depth=1
	s_mov_b64 s[22:23], 0
	v_mov_b32_e32 v0, v11
	v_mov_b32_e32 v5, v53
.LBB137_24:                             ;   Parent Loop BB137_20 Depth=1
                                        ; =>  This Inner Loop Header: Depth=2
	v_add_co_u32_e32 v5, vcc, 0x100, v5
	s_xor_b64 s[74:75], vcc, -1
	v_mov_b32_e32 v7, v6
	s_and_b64 s[74:75], exec, s[74:75]
	ds_write_b64 v0, v[6:7]
	s_or_b64 s[22:23], s[74:75], s[22:23]
	v_add_u32_e32 v0, 0x800, v0
	s_andn2_b64 exec, exec, s[22:23]
	s_cbranch_execnz .LBB137_24
.LBB137_25:                             ;   in Loop: Header=BB137_20 Depth=1
	s_or_b64 exec, exec, s[20:21]
	s_and_saveexec_b64 s[20:21], s[4:5]
	s_cbranch_execz .LBB137_27
; %bb.26:                               ;   in Loop: Header=BB137_20 Depth=1
	v_pk_mov_b32 v[20:21], s[60:61], s[60:61] op_sel:[0,1]
	ds_write_b64 v6, v[20:21] offset:6272
.LBB137_27:                             ;   in Loop: Header=BB137_20 Depth=1
	s_or_b64 exec, exec, s[20:21]
	s_andn2_b64 vcc, exec, s[24:25]
	v_pk_mov_b32 v[20:21], s[60:61], s[60:61] op_sel:[0,1]
	s_waitcnt lgkmcnt(0)
	s_barrier
	s_cbranch_vccnz .LBB137_63
; %bb.28:                               ;   in Loop: Header=BB137_20 Depth=1
	s_cmp_lg_u64 s[72:73], 0
	s_cselect_b64 s[74:75], -1, 0
	v_pk_mov_b32 v[20:21], s[60:61], s[60:61] op_sel:[0,1]
	s_mov_b64 s[76:77], s[48:49]
	s_branch .LBB137_30
.LBB137_29:                             ;   in Loop: Header=BB137_30 Depth=2
	s_or_b64 exec, exec, s[22:23]
	s_add_u32 s76, s76, 16
	s_addc_u32 s77, s77, 0
	v_pk_mov_b32 v[22:23], s[66:67], s[66:67] op_sel:[0,1]
	v_cmp_lt_i64_e32 vcc, s[76:77], v[22:23]
	s_cbranch_vccz .LBB137_63
.LBB137_30:                             ;   Parent Loop BB137_20 Depth=1
                                        ; =>  This Loop Header: Depth=2
                                        ;       Child Loop BB137_46 Depth 3
                                        ;         Child Loop BB137_58 Depth 4
                                        ;         Child Loop BB137_54 Depth 4
	v_mov_b32_e32 v0, s77
	v_add_co_u32_e32 v22, vcc, s76, v2
	v_addc_co_u32_e32 v23, vcc, 0, v0, vcc
	v_cmp_gt_i64_e64 s[20:21], s[66:67], v[22:23]
	s_barrier
	s_and_saveexec_b64 s[22:23], s[20:21]
	s_cbranch_execz .LBB137_35
; %bb.31:                               ;   in Loop: Header=BB137_30 Depth=2
	s_and_saveexec_b64 s[78:79], s[56:57]
	s_xor_b64 s[78:79], exec, s[78:79]
	s_cbranch_execz .LBB137_33
; %bb.32:                               ;   in Loop: Header=BB137_30 Depth=2
	v_mul_lo_u32 v0, v23, s40
	v_mul_lo_u32 v5, v22, s41
	v_mad_u64_u32 v[24:25], s[80:81], v22, s40, 0
	v_add3_u32 v25, v25, v5, v0
	v_lshlrev_b64 v[24:25], 3, v[24:25]
	v_add_co_u32_e32 v24, vcc, v39, v24
	v_addc_co_u32_e32 v25, vcc, v40, v25, vcc
	global_load_dwordx2 v[24:25], v[24:25], off
	s_waitcnt vmcnt(0)
	ds_write_b64 v38, v[24:25]
.LBB137_33:                             ;   in Loop: Header=BB137_30 Depth=2
	s_andn2_saveexec_b64 s[78:79], s[78:79]
	s_cbranch_execz .LBB137_35
; %bb.34:                               ;   in Loop: Header=BB137_30 Depth=2
	v_mov_b32_e32 v7, v6
	ds_write_b64 v38, v[6:7]
.LBB137_35:                             ;   in Loop: Header=BB137_30 Depth=2
	s_or_b64 exec, exec, s[22:23]
	v_pk_mov_b32 v[24:25], 0, 0
	v_lshlrev_b64 v[22:23], 3, v[22:23]
	s_waitcnt lgkmcnt(0)
	s_barrier
	s_and_saveexec_b64 s[78:79], s[20:21]
	s_cbranch_execz .LBB137_61
; %bb.36:                               ;   in Loop: Header=BB137_30 Depth=2
	v_mov_b32_e32 v0, s55
	v_add_co_u32_e32 v24, vcc, s54, v22
	v_addc_co_u32_e32 v25, vcc, v0, v23, vcc
	global_load_dwordx2 v[26:27], v[24:25], off
	s_and_b64 vcc, exec, s[74:75]
	s_cbranch_vccz .LBB137_38
; %bb.37:                               ;   in Loop: Header=BB137_30 Depth=2
	v_mov_b32_e32 v0, s27
	v_add_co_u32_e32 v24, vcc, s26, v22
	v_addc_co_u32_e32 v25, vcc, v0, v23, vcc
	global_load_dwordx2 v[24:25], v[24:25], off
	s_mov_b64 s[22:23], 0
	s_branch .LBB137_39
.LBB137_38:                             ;   in Loop: Header=BB137_30 Depth=2
	s_mov_b64 s[22:23], -1
                                        ; implicit-def: $vgpr24_vgpr25
.LBB137_39:                             ;   in Loop: Header=BB137_30 Depth=2
	v_mov_b32_e32 v0, s92
	s_waitcnt vmcnt(0)
	v_subrev_co_u32_e32 v26, vcc, s28, v26
	v_subb_co_u32_e32 v27, vcc, v27, v0, vcc
	s_andn2_b64 vcc, exec, s[22:23]
	v_lshlrev_b64 v[26:27], 3, v[26:27]
	s_cbranch_vccnz .LBB137_41
; %bb.40:                               ;   in Loop: Header=BB137_30 Depth=2
	v_mov_b32_e32 v0, s59
	v_add_co_u32_e32 v24, vcc, s58, v26
	v_addc_co_u32_e32 v25, vcc, v0, v27, vcc
	global_load_dwordx2 v[24:25], v[24:25], off
	v_mov_b32_e32 v0, s91
	s_waitcnt vmcnt(0)
	v_subrev_co_u32_e32 v24, vcc, s29, v24
	v_subb_co_u32_e32 v25, vcc, v25, v0, vcc
.LBB137_41:                             ;   in Loop: Header=BB137_30 Depth=2
	v_mov_b32_e32 v0, s95
	v_add_co_u32_e32 v26, vcc, s31, v26
	v_addc_co_u32_e32 v27, vcc, v0, v27, vcc
	global_load_dwordx2 v[26:27], v[26:27], off
	v_mov_b32_e32 v0, s91
	s_waitcnt vmcnt(0)
	v_subrev_co_u32_e32 v26, vcc, s29, v26
	v_subb_co_u32_e32 v27, vcc, v27, v0, vcc
	v_cmp_lt_i64_e32 vcc, v[24:25], v[26:27]
	s_and_saveexec_b64 s[80:81], vcc
	s_cbranch_execz .LBB137_60
; %bb.42:                               ;   in Loop: Header=BB137_30 Depth=2
	v_mad_u64_u32 v[28:29], s[22:23], s46, v24, v[8:9]
	v_mul_lo_u32 v0, s46, v25
	v_mul_lo_u32 v5, s47, v24
	v_add3_u32 v0, v5, v29, v0
	v_pk_mov_b32 v[30:31], s[42:43], s[42:43] op_sel:[0,1]
	v_mul_lo_u32 v5, s63, v28
	v_mul_lo_u32 v0, s62, v0
	v_mad_u64_u32 v[28:29], s[22:23], s62, v28, v[30:31]
	v_add3_u32 v29, v5, v29, v0
	v_mad_u64_u32 v[30:31], s[22:23], s68, v24, v[12:13]
	v_mul_lo_u32 v0, s68, v25
	v_mul_lo_u32 v5, s69, v24
	v_add3_u32 v31, v5, v31, v0
	s_mov_b64 s[82:83], 0
	v_pk_mov_b32 v[32:33], v[24:25], v[24:25] op_sel:[0,1]
	s_branch .LBB137_46
.LBB137_43:                             ;   in Loop: Header=BB137_46 Depth=3
	v_lshlrev_b32_e32 v0, 4, v0
	v_or3_b32 v0, v0, v41, v4
	v_mul_f32_e64 v5, v35, -s35
	v_lshlrev_b32_e32 v0, 3, v0
	v_fmac_f32_e32 v5, s33, v34
	v_mul_f32_e32 v7, s33, v35
	v_fmac_f32_e32 v7, s35, v34
	ds_add_f32 v0, v5
	ds_add_f32 v0, v7 offset:4
.LBB137_44:                             ;   in Loop: Header=BB137_46 Depth=3
	s_or_b64 exec, exec, s[86:87]
	s_or_b64 s[22:23], s[22:23], exec
.LBB137_45:                             ;   in Loop: Header=BB137_46 Depth=3
	s_or_b64 exec, exec, s[84:85]
	v_add_co_u32_e32 v32, vcc, 1, v32
	v_addc_co_u32_e32 v33, vcc, 0, v33, vcc
	v_cmp_ge_i64_e32 vcc, v[32:33], v[26:27]
	s_xor_b64 s[22:23], s[22:23], -1
	s_or_b64 s[22:23], s[22:23], vcc
	v_mov_b32_e32 v0, s69
	v_add_co_u32_e32 v28, vcc, s68, v28
	v_addc_co_u32_e32 v29, vcc, v29, v0, vcc
	s_and_b64 s[22:23], exec, s[22:23]
	v_add_co_u32_e32 v30, vcc, s68, v30
	s_or_b64 s[82:83], s[22:23], s[82:83]
	v_addc_co_u32_e32 v31, vcc, v31, v0, vcc
	s_andn2_b64 exec, exec, s[82:83]
	s_cbranch_execz .LBB137_59
.LBB137_46:                             ;   Parent Loop BB137_20 Depth=1
                                        ;     Parent Loop BB137_30 Depth=2
                                        ; =>    This Loop Header: Depth=3
                                        ;         Child Loop BB137_58 Depth 4
                                        ;         Child Loop BB137_54 Depth 4
	v_lshlrev_b64 v[34:35], 3, v[32:33]
	v_mov_b32_e32 v0, s45
	v_add_co_u32_e32 v34, vcc, s44, v34
	v_addc_co_u32_e32 v35, vcc, v0, v35, vcc
	global_load_dwordx2 v[34:35], v[34:35], off
	v_mov_b32_e32 v0, s91
	s_waitcnt vmcnt(0)
	v_subrev_co_u32_e32 v34, vcc, s29, v34
	v_subb_co_u32_e32 v35, vcc, v35, v0, vcc
	v_cmp_gt_i64_e64 s[22:23], s[72:73], v[34:35]
	v_cmp_ge_i64_e32 vcc, v[34:35], v[18:19]
	s_or_b64 s[84:85], s[22:23], vcc
                                        ; implicit-def: $sgpr22_sgpr23
	s_and_saveexec_b64 s[86:87], s[84:85]
	s_xor_b64 s[84:85], exec, s[86:87]
	s_cbranch_execz .LBB137_50
; %bb.47:                               ;   in Loop: Header=BB137_46 Depth=3
	s_mov_b64 s[22:23], -1
	s_and_saveexec_b64 s[86:87], vcc
; %bb.48:                               ;   in Loop: Header=BB137_46 Depth=3
	v_cmp_lt_i64_e32 vcc, v[34:35], v[20:21]
	v_cndmask_b32_e32 v21, v21, v35, vcc
	v_cndmask_b32_e32 v20, v20, v34, vcc
	s_xor_b64 s[22:23], exec, -1
	v_pk_mov_b32 v[24:25], v[32:33], v[32:33] op_sel:[0,1]
; %bb.49:                               ;   in Loop: Header=BB137_46 Depth=3
	s_or_b64 exec, exec, s[86:87]
	s_and_b64 s[22:23], s[22:23], exec
                                        ; implicit-def: $vgpr34_vgpr35
.LBB137_50:                             ;   in Loop: Header=BB137_46 Depth=3
	s_andn2_saveexec_b64 s[84:85], s[84:85]
	s_cbranch_execz .LBB137_45
; %bb.51:                               ;   in Loop: Header=BB137_46 Depth=3
	v_subrev_u32_e32 v0, s72, v34
	v_lshlrev_b32_e32 v5, 2, v0
	ds_write_b32 v5, v57 offset:6144
	s_and_saveexec_b64 s[86:87], s[52:53]
	s_cbranch_execz .LBB137_44
; %bb.52:                               ;   in Loop: Header=BB137_46 Depth=3
	s_andn2_b64 vcc, exec, s[38:39]
	s_cbranch_vccnz .LBB137_56
; %bb.53:                               ;   in Loop: Header=BB137_46 Depth=3
	v_mov_b32_e32 v34, 0
	v_mov_b32_e32 v5, v54
	s_mov_b64 s[88:89], s[62:63]
	v_pk_mov_b32 v[36:37], v[28:29], v[28:29] op_sel:[0,1]
	v_mov_b32_e32 v35, v34
.LBB137_54:                             ;   Parent Loop BB137_20 Depth=1
                                        ;     Parent Loop BB137_30 Depth=2
                                        ;       Parent Loop BB137_46 Depth=3
                                        ; =>      This Inner Loop Header: Depth=4
	global_load_dwordx2 v[58:59], v[36:37], off offset:-4
	ds_read_b64 v[60:61], v5
	s_add_u32 s88, s88, -1
	v_add_co_u32_e32 v36, vcc, 8, v36
	s_addc_u32 s89, s89, -1
	v_addc_co_u32_e32 v37, vcc, 0, v37, vcc
	v_add_u32_e32 v5, 32, v5
	s_cmp_lg_u64 s[88:89], 0
	s_waitcnt vmcnt(0) lgkmcnt(0)
	v_pk_fma_f32 v[34:35], v[60:61], v[58:59], v[34:35] op_sel_hi:[1,0,1]
	v_pk_fma_f32 v[34:35], v[60:61], v[58:59], v[34:35] op_sel:[1,1,0] op_sel_hi:[0,1,1] neg_lo:[1,0,0]
	s_cbranch_scc1 .LBB137_54
; %bb.55:                               ;   in Loop: Header=BB137_46 Depth=3
	s_branch .LBB137_43
.LBB137_56:                             ;   in Loop: Header=BB137_46 Depth=3
                                        ; implicit-def: $vgpr35
	s_cbranch_execz .LBB137_43
; %bb.57:                               ;   in Loop: Header=BB137_46 Depth=3
	v_mov_b32_e32 v34, 0
	v_mov_b32_e32 v5, v55
	v_pk_mov_b32 v[36:37], v[30:31], v[30:31] op_sel:[0,1]
	s_mov_b64 s[88:89], s[62:63]
	v_mov_b32_e32 v35, v34
.LBB137_58:                             ;   Parent Loop BB137_20 Depth=1
                                        ;     Parent Loop BB137_30 Depth=2
                                        ;       Parent Loop BB137_46 Depth=3
                                        ; =>      This Inner Loop Header: Depth=4
	global_load_dwordx2 v[58:59], v[36:37], off offset:-4
	ds_read_b64 v[60:61], v5
	s_add_u32 s88, s88, -1
	v_mov_b32_e32 v7, s47
	v_add_co_u32_e32 v36, vcc, s46, v36
	s_addc_u32 s89, s89, -1
	v_add_u32_e32 v5, 8, v5
	v_addc_co_u32_e32 v37, vcc, v37, v7, vcc
	s_cmp_eq_u64 s[88:89], 0
	s_waitcnt vmcnt(0) lgkmcnt(0)
	v_pk_fma_f32 v[34:35], v[60:61], v[58:59], v[34:35] op_sel_hi:[1,0,1]
	v_pk_fma_f32 v[34:35], v[60:61], v[58:59], v[34:35] op_sel:[1,1,0] op_sel_hi:[0,1,1] neg_lo:[1,0,0]
	s_cbranch_scc0 .LBB137_58
	s_branch .LBB137_43
.LBB137_59:                             ;   in Loop: Header=BB137_30 Depth=2
	s_or_b64 exec, exec, s[82:83]
.LBB137_60:                             ;   in Loop: Header=BB137_30 Depth=2
	s_or_b64 exec, exec, s[80:81]
.LBB137_61:                             ;   in Loop: Header=BB137_30 Depth=2
	s_or_b64 exec, exec, s[78:79]
	s_waitcnt lgkmcnt(0)
	s_barrier
	s_and_saveexec_b64 s[22:23], s[20:21]
	s_cbranch_execz .LBB137_29
; %bb.62:                               ;   in Loop: Header=BB137_30 Depth=2
	v_mov_b32_e32 v0, s27
	v_add_co_u32_e32 v22, vcc, s26, v22
	v_addc_co_u32_e32 v23, vcc, v0, v23, vcc
	global_store_dwordx2 v[22:23], v[24:25], off
	s_branch .LBB137_29
.LBB137_63:                             ;   in Loop: Header=BB137_20 Depth=1
	s_andn2_b64 vcc, exec, s[64:65]
	s_cbranch_vccnz .LBB137_75
; %bb.64:                               ;   in Loop: Header=BB137_20 Depth=1
	s_load_dwordx4 s[20:23], s[50:51], 0x0
	s_waitcnt lgkmcnt(0)
	s_sub_u32 s22, s22, s93
	v_mov_b32_e32 v0, s21
	v_add_co_u32_e32 v26, vcc, s20, v42
	s_subb_u32 s23, s23, 0
	v_addc_co_u32_e32 v27, vcc, v0, v43, vcc
	v_cmp_gt_i64_e32 vcc, s[22:23], v[26:27]
	s_and_saveexec_b64 s[74:75], vcc
	s_cbranch_execz .LBB137_74
; %bb.65:                               ;   in Loop: Header=BB137_20 Depth=1
	v_readlane_b32 s76, v62, 0
	v_lshlrev_b64 v[22:23], 3, v[26:27]
	v_readlane_b32 s77, v62, 1
	v_mov_b32_e32 v0, s77
	v_add_co_u32_e32 v22, vcc, s76, v22
	v_addc_co_u32_e32 v23, vcc, v0, v23, vcc
	v_mad_u64_u32 v[24:25], s[76:77], s68, v26, v[14:15]
	v_mul_lo_u32 v0, s68, v27
	v_mul_lo_u32 v5, s69, v26
	v_add3_u32 v25, v5, v25, v0
	v_mov_b32_e32 v0, s21
	v_add_co_u32_e32 v26, vcc, s20, v45
	v_addc_co_u32_e32 v27, vcc, v46, v0, vcc
	s_mov_b64 s[76:77], 0
	v_readlane_b32 s78, v62, 2
	v_readlane_b32 s79, v62, 3
	;; [unrolled: 1-line block ×6, first 2 shown]
	s_branch .LBB137_68
.LBB137_66:                             ;   in Loop: Header=BB137_68 Depth=2
	s_or_b64 exec, exec, s[80:81]
	s_or_b64 s[20:21], s[20:21], exec
.LBB137_67:                             ;   in Loop: Header=BB137_68 Depth=2
	s_or_b64 exec, exec, s[78:79]
	v_cmp_le_i64_e32 vcc, s[22:23], v[26:27]
	s_xor_b64 s[20:21], s[20:21], -1
	s_or_b64 s[20:21], s[20:21], vcc
	v_add_co_u32_e32 v22, vcc, 0x80, v22
	v_addc_co_u32_e32 v23, vcc, 0, v23, vcc
	v_mov_b32_e32 v0, s71
	v_add_co_u32_e32 v24, vcc, s70, v24
	v_addc_co_u32_e32 v25, vcc, v25, v0, vcc
	s_and_b64 s[20:21], exec, s[20:21]
	v_add_co_u32_e32 v26, vcc, 16, v26
	s_or_b64 s[76:77], s[20:21], s[76:77]
	v_addc_co_u32_e32 v27, vcc, 0, v27, vcc
	s_andn2_b64 exec, exec, s[76:77]
	s_cbranch_execz .LBB137_73
.LBB137_68:                             ;   Parent Loop BB137_20 Depth=1
                                        ; =>  This Inner Loop Header: Depth=2
	global_load_dwordx2 v[28:29], v[22:23], off
	v_mov_b32_e32 v0, s94
	s_waitcnt vmcnt(0)
	v_subrev_co_u32_e32 v28, vcc, s93, v28
	v_subb_co_u32_e32 v29, vcc, v29, v0, vcc
	v_cmp_lt_i64_e32 vcc, v[28:29], v[18:19]
	v_cmp_gt_i64_e64 s[20:21], s[72:73], v[28:29]
	s_xor_b64 s[78:79], vcc, -1
	s_or_b64 s[78:79], s[20:21], s[78:79]
                                        ; implicit-def: $sgpr20_sgpr21
	s_and_saveexec_b64 s[80:81], s[78:79]
	s_xor_b64 s[78:79], exec, s[80:81]
; %bb.69:                               ;   in Loop: Header=BB137_68 Depth=2
	v_cmp_lt_i64_e64 s[20:21], v[28:29], v[20:21]
	v_cndmask_b32_e64 v0, v20, v28, s[20:21]
	v_cndmask_b32_e64 v5, v21, v29, s[20:21]
	v_cndmask_b32_e32 v21, v5, v21, vcc
	v_cndmask_b32_e32 v20, v0, v20, vcc
	s_and_b64 s[20:21], vcc, exec
                                        ; implicit-def: $vgpr28
; %bb.70:                               ;   in Loop: Header=BB137_68 Depth=2
	s_andn2_saveexec_b64 s[78:79], s[78:79]
	s_cbranch_execz .LBB137_67
; %bb.71:                               ;   in Loop: Header=BB137_68 Depth=2
	v_subrev_u32_e32 v0, s72, v28
	v_lshlrev_b32_e32 v5, 2, v0
	ds_write_b32 v5, v57 offset:6144
	s_and_saveexec_b64 s[80:81], s[56:57]
	s_cbranch_execz .LBB137_66
; %bb.72:                               ;   in Loop: Header=BB137_68 Depth=2
	global_load_dwordx2 v[28:29], v[24:25], off offset:-4
	v_lshlrev_b32_e32 v0, 4, v0
	v_or3_b32 v0, v0, v41, v4
	v_lshlrev_b32_e32 v0, 3, v0
	s_waitcnt vmcnt(0)
	v_mul_f32_e64 v5, v29, -s90
	v_mul_f32_e32 v7, s34, v29
	v_fmac_f32_e32 v5, s34, v28
	v_fmac_f32_e32 v7, s90, v28
	ds_add_f32 v0, v5
	ds_add_f32 v0, v7 offset:4
	s_branch .LBB137_66
.LBB137_73:                             ;   in Loop: Header=BB137_20 Depth=1
	s_or_b64 exec, exec, s[76:77]
.LBB137_74:                             ;   in Loop: Header=BB137_20 Depth=1
	s_or_b64 exec, exec, s[74:75]
.LBB137_75:                             ;   in Loop: Header=BB137_20 Depth=1
	s_and_saveexec_b64 s[20:21], s[6:7]
	s_cbranch_execz .LBB137_80
; %bb.76:                               ;   in Loop: Header=BB137_20 Depth=1
	s_mov_b64 s[74:75], exec
	s_mov_b64 s[22:23], -1
.LBB137_77:                             ;   Parent Loop BB137_20 Depth=1
                                        ; =>  This Inner Loop Header: Depth=2
	s_ff1_i32_b64 s78, s[74:75]
	v_readlane_b32 s79, v21, s78
	v_readlane_b32 s80, v20, s78
	v_mov_b32_e32 v18, s80
	v_mov_b32_e32 v19, s79
	v_cmp_lt_u64_e32 vcc, s[22:23], v[18:19]
	s_and_b64 s[76:77], vcc, exec
	s_cselect_b32 s23, s23, s79
	s_cselect_b32 s22, s22, s80
	s_lshl_b64 s[76:77], 1, s78
	s_andn2_b64 s[74:75], s[74:75], s[76:77]
	s_cmp_lg_u64 s[74:75], 0
	s_cbranch_scc1 .LBB137_77
; %bb.78:                               ;   in Loop: Header=BB137_20 Depth=1
	v_mbcnt_lo_u32_b32 v0, exec_lo, 0
	v_mbcnt_hi_u32_b32 v0, exec_hi, v0
	v_cmp_eq_u32_e32 vcc, 0, v0
	s_and_saveexec_b64 s[74:75], vcc
	s_xor_b64 s[74:75], exec, s[74:75]
	s_cbranch_execz .LBB137_80
; %bb.79:                               ;   in Loop: Header=BB137_20 Depth=1
	v_pk_mov_b32 v[18:19], s[22:23], s[22:23] op_sel:[0,1]
	ds_min_u64 v6, v[18:19] offset:6272
.LBB137_80:                             ;   in Loop: Header=BB137_20 Depth=1
	s_or_b64 exec, exec, s[20:21]
	s_waitcnt lgkmcnt(0)
	s_barrier
	ds_read_b32 v0, v44
	s_waitcnt lgkmcnt(0)
	s_barrier
	s_and_saveexec_b64 s[20:21], s[10:11]
	s_cbranch_execz .LBB137_82
; %bb.81:                               ;   in Loop: Header=BB137_20 Depth=1
	ds_read_b32 v5, v47
	s_waitcnt lgkmcnt(0)
	v_add_u32_e32 v0, v5, v0
.LBB137_82:                             ;   in Loop: Header=BB137_20 Depth=1
	s_or_b64 exec, exec, s[20:21]
	s_barrier
	ds_write_b32 v44, v0
	s_waitcnt lgkmcnt(0)
	s_barrier
	s_and_saveexec_b64 s[20:21], s[12:13]
	s_cbranch_execz .LBB137_84
; %bb.83:                               ;   in Loop: Header=BB137_20 Depth=1
	ds_read_b32 v5, v49
	s_waitcnt lgkmcnt(0)
	v_add_u32_e32 v0, v5, v0
.LBB137_84:                             ;   in Loop: Header=BB137_20 Depth=1
	s_or_b64 exec, exec, s[20:21]
	s_barrier
	ds_write_b32 v44, v0
	;; [unrolled: 12-line block ×5, first 2 shown]
	s_waitcnt lgkmcnt(0)
	s_barrier
	ds_read_b32 v7, v6 offset:6268
	v_mov_b32_e32 v5, 0
	s_and_saveexec_b64 s[20:21], s[8:9]
	s_cbranch_execz .LBB137_92
; %bb.91:                               ;   in Loop: Header=BB137_20 Depth=1
	ds_read_b32 v5, v47
.LBB137_92:                             ;   in Loop: Header=BB137_20 Depth=1
	s_or_b64 exec, exec, s[20:21]
	s_waitcnt lgkmcnt(0)
	v_cmp_eq_u32_e32 vcc, v0, v5
	s_and_b64 s[22:23], s[8:9], vcc
	s_barrier
	s_and_saveexec_b64 s[20:21], s[22:23]
	s_cbranch_execz .LBB137_94
; %bb.93:                               ;   in Loop: Header=BB137_20 Depth=1
	ds_write_b32 v44, v6
.LBB137_94:                             ;   in Loop: Header=BB137_20 Depth=1
	s_or_b64 exec, exec, s[20:21]
	s_waitcnt lgkmcnt(0)
	s_barrier
	s_and_saveexec_b64 s[20:21], s[2:3]
	s_cbranch_execz .LBB137_19
; %bb.95:                               ;   in Loop: Header=BB137_20 Depth=1
	v_add_co_u32_e32 v20, vcc, -1, v16
	s_add_u32 s74, s30, s72
	v_addc_co_u32_e32 v21, vcc, -1, v17, vcc
	s_addc_u32 s75, 0, s73
	s_mov_b64 s[22:23], 0
	v_mov_b32_e32 v22, v56
	v_mov_b32_e32 v23, v11
	v_pk_mov_b32 v[18:19], v[2:3], v[2:3] op_sel:[0,1]
	s_branch .LBB137_97
.LBB137_96:                             ;   in Loop: Header=BB137_97 Depth=2
	s_or_b64 exec, exec, s[72:73]
	v_add_co_u32_e32 v18, vcc, 16, v18
	v_addc_co_u32_e32 v19, vcc, 0, v19, vcc
	v_add_u32_e32 v0, -16, v18
	v_cmp_lt_u32_e32 vcc, 15, v0
	v_add_u32_e32 v23, 0x800, v23
	s_or_b64 s[22:23], vcc, s[22:23]
	v_add_u32_e32 v22, 64, v22
	s_andn2_b64 exec, exec, s[22:23]
	s_cbranch_execz .LBB137_19
.LBB137_97:                             ;   Parent Loop BB137_20 Depth=1
                                        ; =>  This Inner Loop Header: Depth=2
	ds_read_b32 v0, v22
	s_waitcnt lgkmcnt(0)
	v_cmp_ne_u32_e32 vcc, 0, v0
	s_and_saveexec_b64 s[72:73], vcc
	s_cbranch_execz .LBB137_96
; %bb.98:                               ;   in Loop: Header=BB137_97 Depth=2
	v_mov_b32_e32 v25, s75
	v_add_co_u32_e32 v24, vcc, s74, v18
	v_addc_co_u32_e32 v25, vcc, v25, v19, vcc
	v_ashrrev_i32_e32 v5, 31, v0
	v_add_co_u32_e32 v26, vcc, v16, v0
	v_addc_co_u32_e32 v27, vcc, v17, v5, vcc
	v_lshlrev_b64 v[26:27], 3, v[26:27]
	v_mov_b32_e32 v28, s37
	v_add_co_u32_e32 v26, vcc, s36, v26
	v_addc_co_u32_e32 v27, vcc, v28, v27, vcc
	global_store_dwordx2 v[26:27], v[24:25], off
	s_and_b64 exec, exec, s[56:57]
	s_cbranch_execz .LBB137_96
; %bb.99:                               ;   in Loop: Header=BB137_97 Depth=2
	v_add_co_u32_e32 v0, vcc, v20, v0
	v_addc_co_u32_e32 v5, vcc, v21, v5, vcc
	v_mul_lo_u32 v5, v5, s40
	v_mul_lo_u32 v26, v0, s41
	v_mad_u64_u32 v[24:25], s[76:77], v0, s40, 0
	v_add3_u32 v25, v25, v26, v5
	ds_read_b64 v[26:27], v23
	v_lshlrev_b64 v[24:25], 3, v[24:25]
	v_add_co_u32_e32 v24, vcc, v10, v24
	v_addc_co_u32_e32 v25, vcc, v1, v25, vcc
	s_waitcnt lgkmcnt(0)
	global_store_dwordx2 v[24:25], v[26:27], off
	s_branch .LBB137_96
.LBB137_100:
	s_endpgm
	.section	.rodata,"a",@progbits
	.p2align	6, 0x0
	.amdhsa_kernel _ZN9rocsparseL38bsrgemm_block_per_row_atomic_multipassILj256ELj32ELj4Ell21rocsparse_complex_numIfEEEv20rocsparse_direction_T3_S4_PKS4_S6_NS_24const_host_device_scalarIT4_EEPKT2_S6_PKS8_SC_S6_SE_S9_SC_S6_SE_SC_PS4_PS8_PSA_21rocsparse_index_base_SI_SI_SI_bbb
		.amdhsa_group_segment_fixed_size 6280
		.amdhsa_private_segment_fixed_size 0
		.amdhsa_kernarg_size 180
		.amdhsa_user_sgpr_count 6
		.amdhsa_user_sgpr_private_segment_buffer 1
		.amdhsa_user_sgpr_dispatch_ptr 0
		.amdhsa_user_sgpr_queue_ptr 0
		.amdhsa_user_sgpr_kernarg_segment_ptr 1
		.amdhsa_user_sgpr_dispatch_id 0
		.amdhsa_user_sgpr_flat_scratch_init 0
		.amdhsa_user_sgpr_kernarg_preload_length 0
		.amdhsa_user_sgpr_kernarg_preload_offset 0
		.amdhsa_user_sgpr_private_segment_size 0
		.amdhsa_uses_dynamic_stack 0
		.amdhsa_system_sgpr_private_segment_wavefront_offset 0
		.amdhsa_system_sgpr_workgroup_id_x 1
		.amdhsa_system_sgpr_workgroup_id_y 0
		.amdhsa_system_sgpr_workgroup_id_z 0
		.amdhsa_system_sgpr_workgroup_info 0
		.amdhsa_system_vgpr_workitem_id 0
		.amdhsa_next_free_vgpr 63
		.amdhsa_next_free_sgpr 96
		.amdhsa_accum_offset 64
		.amdhsa_reserve_vcc 1
		.amdhsa_reserve_flat_scratch 0
		.amdhsa_float_round_mode_32 0
		.amdhsa_float_round_mode_16_64 0
		.amdhsa_float_denorm_mode_32 3
		.amdhsa_float_denorm_mode_16_64 3
		.amdhsa_dx10_clamp 1
		.amdhsa_ieee_mode 1
		.amdhsa_fp16_overflow 0
		.amdhsa_tg_split 0
		.amdhsa_exception_fp_ieee_invalid_op 0
		.amdhsa_exception_fp_denorm_src 0
		.amdhsa_exception_fp_ieee_div_zero 0
		.amdhsa_exception_fp_ieee_overflow 0
		.amdhsa_exception_fp_ieee_underflow 0
		.amdhsa_exception_fp_ieee_inexact 0
		.amdhsa_exception_int_div_zero 0
	.end_amdhsa_kernel
	.section	.text._ZN9rocsparseL38bsrgemm_block_per_row_atomic_multipassILj256ELj32ELj4Ell21rocsparse_complex_numIfEEEv20rocsparse_direction_T3_S4_PKS4_S6_NS_24const_host_device_scalarIT4_EEPKT2_S6_PKS8_SC_S6_SE_S9_SC_S6_SE_SC_PS4_PS8_PSA_21rocsparse_index_base_SI_SI_SI_bbb,"axG",@progbits,_ZN9rocsparseL38bsrgemm_block_per_row_atomic_multipassILj256ELj32ELj4Ell21rocsparse_complex_numIfEEEv20rocsparse_direction_T3_S4_PKS4_S6_NS_24const_host_device_scalarIT4_EEPKT2_S6_PKS8_SC_S6_SE_S9_SC_S6_SE_SC_PS4_PS8_PSA_21rocsparse_index_base_SI_SI_SI_bbb,comdat
.Lfunc_end137:
	.size	_ZN9rocsparseL38bsrgemm_block_per_row_atomic_multipassILj256ELj32ELj4Ell21rocsparse_complex_numIfEEEv20rocsparse_direction_T3_S4_PKS4_S6_NS_24const_host_device_scalarIT4_EEPKT2_S6_PKS8_SC_S6_SE_S9_SC_S6_SE_SC_PS4_PS8_PSA_21rocsparse_index_base_SI_SI_SI_bbb, .Lfunc_end137-_ZN9rocsparseL38bsrgemm_block_per_row_atomic_multipassILj256ELj32ELj4Ell21rocsparse_complex_numIfEEEv20rocsparse_direction_T3_S4_PKS4_S6_NS_24const_host_device_scalarIT4_EEPKT2_S6_PKS8_SC_S6_SE_S9_SC_S6_SE_SC_PS4_PS8_PSA_21rocsparse_index_base_SI_SI_SI_bbb
                                        ; -- End function
	.section	.AMDGPU.csdata,"",@progbits
; Kernel info:
; codeLenInByte = 3792
; NumSgprs: 100
; NumVgprs: 63
; NumAgprs: 0
; TotalNumVgprs: 63
; ScratchSize: 0
; MemoryBound: 0
; FloatMode: 240
; IeeeMode: 1
; LDSByteSize: 6280 bytes/workgroup (compile time only)
; SGPRBlocks: 12
; VGPRBlocks: 7
; NumSGPRsForWavesPerEU: 100
; NumVGPRsForWavesPerEU: 63
; AccumOffset: 64
; Occupancy: 8
; WaveLimiterHint : 1
; COMPUTE_PGM_RSRC2:SCRATCH_EN: 0
; COMPUTE_PGM_RSRC2:USER_SGPR: 6
; COMPUTE_PGM_RSRC2:TRAP_HANDLER: 0
; COMPUTE_PGM_RSRC2:TGID_X_EN: 1
; COMPUTE_PGM_RSRC2:TGID_Y_EN: 0
; COMPUTE_PGM_RSRC2:TGID_Z_EN: 0
; COMPUTE_PGM_RSRC2:TIDIG_COMP_CNT: 0
; COMPUTE_PGM_RSRC3_GFX90A:ACCUM_OFFSET: 15
; COMPUTE_PGM_RSRC3_GFX90A:TG_SPLIT: 0
	.section	.text._ZN9rocsparseL38bsrgemm_block_per_row_atomic_multipassILj256ELj64ELj4Ell21rocsparse_complex_numIfEEEv20rocsparse_direction_T3_S4_PKS4_S6_NS_24const_host_device_scalarIT4_EEPKT2_S6_PKS8_SC_S6_SE_S9_SC_S6_SE_SC_PS4_PS8_PSA_21rocsparse_index_base_SI_SI_SI_bbb,"axG",@progbits,_ZN9rocsparseL38bsrgemm_block_per_row_atomic_multipassILj256ELj64ELj4Ell21rocsparse_complex_numIfEEEv20rocsparse_direction_T3_S4_PKS4_S6_NS_24const_host_device_scalarIT4_EEPKT2_S6_PKS8_SC_S6_SE_S9_SC_S6_SE_SC_PS4_PS8_PSA_21rocsparse_index_base_SI_SI_SI_bbb,comdat
	.globl	_ZN9rocsparseL38bsrgemm_block_per_row_atomic_multipassILj256ELj64ELj4Ell21rocsparse_complex_numIfEEEv20rocsparse_direction_T3_S4_PKS4_S6_NS_24const_host_device_scalarIT4_EEPKT2_S6_PKS8_SC_S6_SE_S9_SC_S6_SE_SC_PS4_PS8_PSA_21rocsparse_index_base_SI_SI_SI_bbb ; -- Begin function _ZN9rocsparseL38bsrgemm_block_per_row_atomic_multipassILj256ELj64ELj4Ell21rocsparse_complex_numIfEEEv20rocsparse_direction_T3_S4_PKS4_S6_NS_24const_host_device_scalarIT4_EEPKT2_S6_PKS8_SC_S6_SE_S9_SC_S6_SE_SC_PS4_PS8_PSA_21rocsparse_index_base_SI_SI_SI_bbb
	.p2align	8
	.type	_ZN9rocsparseL38bsrgemm_block_per_row_atomic_multipassILj256ELj64ELj4Ell21rocsparse_complex_numIfEEEv20rocsparse_direction_T3_S4_PKS4_S6_NS_24const_host_device_scalarIT4_EEPKT2_S6_PKS8_SC_S6_SE_S9_SC_S6_SE_SC_PS4_PS8_PSA_21rocsparse_index_base_SI_SI_SI_bbb,@function
_ZN9rocsparseL38bsrgemm_block_per_row_atomic_multipassILj256ELj64ELj4Ell21rocsparse_complex_numIfEEEv20rocsparse_direction_T3_S4_PKS4_S6_NS_24const_host_device_scalarIT4_EEPKT2_S6_PKS8_SC_S6_SE_S9_SC_S6_SE_SC_PS4_PS8_PSA_21rocsparse_index_base_SI_SI_SI_bbb: ; @_ZN9rocsparseL38bsrgemm_block_per_row_atomic_multipassILj256ELj64ELj4Ell21rocsparse_complex_numIfEEEv20rocsparse_direction_T3_S4_PKS4_S6_NS_24const_host_device_scalarIT4_EEPKT2_S6_PKS8_SC_S6_SE_S9_SC_S6_SE_SC_PS4_PS8_PSA_21rocsparse_index_base_SI_SI_SI_bbb
; %bb.0:
	s_load_dwordx8 s[24:31], s[4:5], 0x90
	s_load_dword s7, s[4:5], 0xb0
	s_load_dwordx8 s[8:15], s[4:5], 0x70
                                        ; implicit-def: $vgpr61 : SGPR spill to VGPR lane
	s_mov_b32 s35, 0
	s_mov_b32 s33, 0
	s_waitcnt lgkmcnt(0)
	s_bitcmp1_b32 s7, 0
	v_writelane_b32 v61, s8, 0
	v_writelane_b32 v61, s9, 1
	v_writelane_b32 v61, s10, 2
	v_writelane_b32 v61, s11, 3
	v_writelane_b32 v61, s12, 4
	v_writelane_b32 v61, s13, 5
	v_writelane_b32 v61, s14, 6
	v_writelane_b32 v61, s15, 7
	s_load_dwordx8 s[44:51], s[4:5], 0x50
	s_load_dwordx4 s[8:11], s[4:5], 0x18
	s_load_dwordx8 s[52:59], s[4:5], 0x30
	s_cselect_b64 s[12:13], -1, 0
	s_bitcmp1_b32 s7, 16
	s_cselect_b64 s[0:1], -1, 0
	s_xor_b64 s[2:3], s[0:1], -1
	s_bitcmp0_b32 s7, 0
	s_cbranch_scc1 .LBB138_5
; %bb.1:
	s_load_dwordx2 s[34:35], s[4:5], 0x28
	v_cndmask_b32_e64 v1, 0, 1, s[2:3]
	v_cmp_ne_u32_e64 s[0:1], 1, v1
	s_andn2_b64 vcc, exec, s[2:3]
	s_waitcnt lgkmcnt(0)
	s_mov_b32 s33, s34
	s_cbranch_vccnz .LBB138_3
; %bb.2:
	s_load_dword s33, s[34:35], 0x0
.LBB138_3:
	s_and_b64 vcc, exec, s[0:1]
	s_cbranch_vccnz .LBB138_5
; %bb.4:
	s_load_dword s35, s[34:35], 0x4
.LBB138_5:
	s_bitcmp1_b32 s7, 8
	s_cselect_b64 s[64:65], -1, 0
	s_bfe_u32 s0, s7, 0x10008
	s_mov_b32 s90, 0
	s_cmp_eq_u32 s0, 0
	s_mov_b32 s34, 0
	s_cbranch_scc1 .LBB138_11
; %bb.6:
	v_cndmask_b32_e64 v1, 0, 1, s[2:3]
	v_cmp_ne_u32_e64 s[0:1], 1, v1
	s_andn2_b64 vcc, exec, s[2:3]
	s_waitcnt lgkmcnt(0)
	s_mov_b32 s34, s48
	s_cbranch_vccnz .LBB138_8
; %bb.7:
	s_load_dword s34, s[48:49], 0x0
.LBB138_8:
	s_and_b64 vcc, exec, s[0:1]
	s_cbranch_vccnz .LBB138_10
; %bb.9:
	s_load_dword s49, s[48:49], 0x4
.LBB138_10:
	s_waitcnt lgkmcnt(0)
	s_mov_b32 s90, s49
.LBB138_11:
	s_mov_b64 s[0:1], 0
	v_writelane_b32 v61, s0, 8
	s_waitcnt lgkmcnt(0)
	s_cmp_eq_u64 s[10:11], 0
	s_mov_b32 s7, 0
	v_writelane_b32 v61, s1, 9
	s_cbranch_scc1 .LBB138_13
; %bb.12:
	s_load_dwordx2 s[0:1], s[8:9], 0x0
	s_waitcnt lgkmcnt(0)
	s_lshl_b64 s[0:1], s[0:1], 3
	s_add_u32 s2, s10, s0
	s_addc_u32 s3, s11, s1
	s_lshl_b64 s[0:1], s[6:7], 3
	s_add_u32 s0, s2, s0
	s_addc_u32 s1, s3, s1
	s_load_dwordx2 s[6:7], s[0:1], 0x0
.LBB138_13:
	v_cndmask_b32_e64 v1, 0, 1, s[12:13]
	v_cmp_ne_u32_e64 s[0:1], 1, v1
	s_andn2_b64 vcc, exec, s[12:13]
	s_cbranch_vccz .LBB138_16
; %bb.14:
	s_and_b64 vcc, exec, s[0:1]
	s_mov_b64 s[66:67], 0
	s_cbranch_vccz .LBB138_17
.LBB138_15:
	s_load_dwordx4 s[60:63], s[4:5], 0x8
	s_waitcnt lgkmcnt(0)
	v_cmp_lt_i64_e64 s[0:1], s[60:61], 1
	s_and_b64 vcc, exec, s[0:1]
	s_cbranch_vccz .LBB138_18
	s_branch .LBB138_100
.LBB138_16:
	s_waitcnt lgkmcnt(0)
	s_lshl_b64 s[2:3], s[6:7], 3
	s_add_u32 s2, s52, s2
	s_addc_u32 s3, s53, s3
	s_load_dwordx2 s[2:3], s[2:3], 0x0
	s_waitcnt lgkmcnt(0)
	s_sub_u32 s2, s2, s28
	s_subb_u32 s3, s3, 0
	v_writelane_b32 v61, s2, 8
	v_writelane_b32 v61, s3, 9
	s_and_b64 vcc, exec, s[0:1]
	s_mov_b64 s[66:67], 0
	s_cbranch_vccnz .LBB138_15
.LBB138_17:
	s_waitcnt lgkmcnt(0)
	s_lshl_b64 s[0:1], s[6:7], 3
	s_add_u32 s0, s52, s0
	s_addc_u32 s1, s53, s1
	s_load_dwordx2 s[0:1], s[0:1], 0x8
	s_waitcnt lgkmcnt(0)
	s_sub_u32 s66, s0, s28
	s_subb_u32 s67, s1, 0
	s_load_dwordx4 s[60:63], s[4:5], 0x8
	s_waitcnt lgkmcnt(0)
	v_cmp_lt_i64_e64 s[0:1], s[60:61], 1
	s_and_b64 vcc, exec, s[0:1]
	s_cbranch_vccnz .LBB138_100
.LBB138_18:
	s_load_dwordx8 s[36:43], s[4:5], 0x70
	s_lshl_b64 s[6:7], s[6:7], 3
	s_load_dword s14, s[4:5], 0x0
	v_readlane_b32 s4, v61, 8
	v_pk_mov_b32 v[6:7], s[66:67], s[66:67] op_sel:[0,1]
	s_waitcnt lgkmcnt(0)
	s_add_u32 s0, s40, s6
	s_addc_u32 s1, s41, s7
	s_load_dwordx2 s[0:1], s[0:1], 0x0
	v_readlane_b32 s5, v61, 9
	v_cmp_lt_i64_e32 vcc, s[4:5], v[6:7]
	s_mul_i32 s4, s62, s63
	s_mul_hi_u32 s5, s62, s62
	s_waitcnt lgkmcnt(0)
	s_sub_u32 s22, s0, s30
	v_bfe_u32 v12, v0, 2, 2
	s_subb_u32 s23, s1, 0
	s_add_i32 s5, s5, s4
	s_add_i32 s41, s5, s4
	v_mad_u64_u32 v[8:9], s[4:5], v12, s62, 0
	v_lshlrev_b32_e32 v11, 3, v0
	v_mov_b32_e32 v10, v9
	v_mad_u64_u32 v[14:15], s[4:5], v12, s63, v[10:11]
	v_mov_b32_e32 v9, v14
	v_lshlrev_b64 v[14:15], 3, v[8:9]
	v_and_b32_e32 v4, 3, v0
	v_mov_b32_e32 v7, s57
	v_add_co_u32_e64 v10, s[4:5], s56, v14
	v_addc_co_u32_e64 v7, s[4:5], v7, v15, s[4:5]
	v_lshlrev_b32_e32 v8, 3, v4
	v_mov_b32_e32 v6, 0
	v_add_co_u32_e64 v41, s[4:5], v10, v8
	v_mov_b32_e32 v5, v6
	v_mov_b32_e32 v13, v6
	v_addc_co_u32_e64 v42, s[4:5], 0, v7, s[4:5]
	v_cmp_gt_i64_e64 s[10:11], s[62:63], v[4:5]
	v_cmp_gt_i64_e64 s[4:5], s[62:63], v[12:13]
	s_and_b64 s[52:53], s[10:11], s[4:5]
	v_mad_u64_u32 v[16:17], s[4:5], v4, s62, 0
	v_mov_b32_e32 v10, v17
	v_mad_u64_u32 v[18:19], s[4:5], v4, s63, v[10:11]
	v_mov_b32_e32 v17, v18
	v_lshlrev_b64 v[16:17], 3, v[16:17]
	v_mov_b32_e32 v5, s25
	v_add_co_u32_e64 v7, s[4:5], s24, v16
	v_lshlrev_b64 v[18:19], 3, v[12:13]
	v_addc_co_u32_e64 v10, s[4:5], v5, v17, s[4:5]
	v_add_co_u32_e64 v7, s[4:5], v7, v18
	v_addc_co_u32_e64 v10, s[4:5], v10, v19, s[4:5]
	v_cmp_gt_u64_e64 s[8:9], s[62:63], v[12:13]
	v_add_co_u32_e64 v13, s[4:5], s24, v14
	v_addc_co_u32_e64 v5, s[4:5], v5, v15, s[4:5]
	v_add_co_u32_e64 v13, s[4:5], v13, v8
	v_lshrrev_b32_e32 v2, 4, v0
	v_addc_co_u32_e64 v5, s[4:5], 0, v5, s[4:5]
	v_subrev_co_u32_e64 v44, s[4:5], s31, v2
	v_subb_co_u32_e64 v45, s[4:5], 0, 0, s[4:5]
	v_mov_b32_e32 v20, s39
	v_add_co_u32_e64 v16, s[4:5], s38, v16
	s_cmp_eq_u32 s14, 0
	v_addc_co_u32_e64 v17, s[4:5], v20, v17, s[4:5]
	s_cselect_b64 s[20:21], -1, 0
	s_cmp_lg_u32 s14, 0
	v_add_co_u32_e64 v16, s[4:5], v16, v18
	s_cselect_b64 s[24:25], -1, 0
	s_add_u32 s50, s50, s6
	v_addc_co_u32_e64 v17, s[4:5], v17, v19, s[4:5]
	s_addc_u32 s51, s51, s7
	v_add_co_u32_e64 v14, s[4:5], s38, v14
	s_and_b64 s[38:39], s[12:13], vcc
	s_and_b64 s[56:57], s[10:11], s[8:9]
	s_mov_b32 s93, s31
	s_add_u32 s31, s58, 8
	v_addc_co_u32_e64 v15, s[4:5], v20, v15, s[4:5]
	s_addc_u32 s95, s59, 0
	v_add_co_u32_e64 v14, s[4:5], v14, v8
	s_add_u32 s36, s42, -8
	v_and_b32_e32 v1, 15, v0
	v_addc_co_u32_e64 v15, s[4:5], 0, v15, s[4:5]
	v_mov_b32_e32 v20, 0x2800
	s_addc_u32 s37, s43, -1
	v_cmp_gt_u32_e64 s[0:1], 64, v0
	v_cmp_eq_u32_e64 s[2:3], 0, v0
	v_and_b32_e32 v43, 12, v0
	v_cmp_eq_u32_e64 s[4:5], 15, v1
	v_and_b32_e32 v1, 63, v0
	v_lshl_or_b32 v48, v0, 2, v20
	v_or_b32_e32 v54, 0xffffff00, v0
	s_add_u32 s42, s46, 4
	v_lshlrev_b32_e32 v0, 3, v12
	s_addc_u32 s43, s47, 0
	v_lshl_or_b32 v0, v2, 7, v0
	v_add_u32_e32 v55, 0x2000, v0
	v_mov_b32_e32 v0, s43
	v_add_co_u32_e32 v12, vcc, s42, v8
	v_lshlrev_b32_e32 v18, 2, v1
	v_add_co_u32_e64 v19, s[6:7], -1, v1
	v_cmp_ne_u32_e64 s[8:9], 0, v1
	v_cmp_lt_u32_e64 s[10:11], 1, v1
	v_cmp_lt_u32_e64 s[12:13], 3, v1
	v_cmp_lt_u32_e64 s[14:15], 7, v1
	v_cmp_lt_u32_e64 s[16:17], 15, v1
	v_cmp_lt_u32_e64 s[18:19], 31, v1
	v_cndmask_b32_e64 v1, v10, v5, s[20:21]
	v_cndmask_b32_e64 v10, v7, v13, s[20:21]
	;; [unrolled: 1-line block ×3, first 2 shown]
	v_addc_co_u32_e32 v13, vcc, 0, v0, vcc
	v_cndmask_b32_e64 v5, v17, v15, s[20:21]
	v_add_co_u32_e32 v14, vcc, 4, v7
	v_addc_co_u32_e32 v15, vcc, 0, v5, vcc
	s_mov_b32 s91, 0
	s_mul_i32 s40, s62, s62
	v_lshl_add_u32 v47, v19, 2, v20
	v_and_b32_e32 v0, 0x7e0, v11
	v_add_co_u32_e32 v57, vcc, 16, v44
	v_lshl_or_b32 v59, v2, 2, v20
	v_mov_b32_e32 v20, 64
	v_mov_b32_e32 v3, v6
	v_or_b32_e32 v40, 0x2000, v11
	v_mov_b32_e32 v9, v6
	s_mov_b32 s92, s91
	s_mov_b32 s94, s91
	v_or_b32_e32 v46, 0x2800, v18
	v_add_u32_e32 v49, 0x27f8, v18
	v_add_u32_e32 v50, 0x27f0, v18
	;; [unrolled: 1-line block ×5, first 2 shown]
	s_lshl_b64 s[46:47], s[62:63], 3
	s_lshl_b64 s[68:69], s[40:41], 3
	v_or_b32_e32 v56, 0x2000, v0
	v_addc_co_u32_e32 v58, vcc, 0, v45, vcc
	s_lshl_b64 s[70:71], s[40:41], 7
	v_pk_mov_b32 v[16:17], s[22:23], s[22:23] op_sel:[0,1]
	s_mov_b64 s[72:73], 0
	v_mov_b32_e32 v21, 0
	s_movk_i32 s48, 0x2ff
	v_mov_b32_e32 v60, 1
	v_mov_b32_e32 v18, 0
	;; [unrolled: 1-line block ×3, first 2 shown]
	s_branch .LBB138_20
.LBB138_19:                             ;   in Loop: Header=BB138_20 Depth=1
	s_or_b64 exec, exec, s[20:21]
	s_barrier
	ds_read_b64 v[22:23], v6 offset:10496
	v_ashrrev_i32_e32 v0, 31, v7
	v_add_co_u32_e32 v16, vcc, v16, v7
	v_addc_co_u32_e32 v17, vcc, v17, v0, vcc
	s_waitcnt lgkmcnt(0)
	v_add_co_u32_e32 v20, vcc, 64, v22
	v_addc_co_u32_e32 v21, vcc, 0, v23, vcc
	v_cmp_le_i64_e32 vcc, s[60:61], v[22:23]
	v_readfirstlane_b32 s72, v22
	v_readfirstlane_b32 s73, v23
	s_barrier
	s_cbranch_vccnz .LBB138_100
.LBB138_20:                             ; =>This Loop Header: Depth=1
                                        ;     Child Loop BB138_23 Depth 2
                                        ;     Child Loop BB138_29 Depth 2
                                        ;       Child Loop BB138_45 Depth 3
                                        ;         Child Loop BB138_57 Depth 4
                                        ;         Child Loop BB138_53 Depth 4
                                        ;     Child Loop BB138_67 Depth 2
                                        ;     Child Loop BB138_76 Depth 2
	;; [unrolled: 1-line block ×3, first 2 shown]
	s_and_saveexec_b64 s[20:21], s[0:1]
	s_cbranch_execz .LBB138_22
; %bb.21:                               ;   in Loop: Header=BB138_20 Depth=1
	ds_write_b32 v48, v6
.LBB138_22:                             ;   in Loop: Header=BB138_20 Depth=1
	s_or_b64 exec, exec, s[20:21]
	s_mov_b64 s[20:21], 0
	v_mov_b32_e32 v0, v11
	v_mov_b32_e32 v5, v54
.LBB138_23:                             ;   Parent Loop BB138_20 Depth=1
                                        ; =>  This Inner Loop Header: Depth=2
	v_add_u32_e32 v5, 0x100, v5
	v_cmp_lt_u32_e32 vcc, s48, v5
	ds_write_b64 v0, v[18:19]
	s_or_b64 s[20:21], vcc, s[20:21]
	v_add_u32_e32 v0, 0x800, v0
	s_andn2_b64 exec, exec, s[20:21]
	s_cbranch_execnz .LBB138_23
; %bb.24:                               ;   in Loop: Header=BB138_20 Depth=1
	s_or_b64 exec, exec, s[20:21]
	s_and_saveexec_b64 s[20:21], s[2:3]
	s_cbranch_execz .LBB138_26
; %bb.25:                               ;   in Loop: Header=BB138_20 Depth=1
	v_pk_mov_b32 v[22:23], s[60:61], s[60:61] op_sel:[0,1]
	ds_write_b64 v6, v[22:23] offset:10496
.LBB138_26:                             ;   in Loop: Header=BB138_20 Depth=1
	s_or_b64 exec, exec, s[20:21]
	s_andn2_b64 vcc, exec, s[38:39]
	v_pk_mov_b32 v[22:23], s[60:61], s[60:61] op_sel:[0,1]
	s_waitcnt lgkmcnt(0)
	s_barrier
	s_cbranch_vccnz .LBB138_62
; %bb.27:                               ;   in Loop: Header=BB138_20 Depth=1
	s_cmp_lg_u64 s[72:73], 0
	v_readlane_b32 s76, v61, 8
	s_cselect_b64 s[74:75], -1, 0
	v_pk_mov_b32 v[22:23], s[60:61], s[60:61] op_sel:[0,1]
	v_readlane_b32 s77, v61, 9
	s_branch .LBB138_29
.LBB138_28:                             ;   in Loop: Header=BB138_29 Depth=2
	s_or_b64 exec, exec, s[22:23]
	s_add_u32 s76, s76, 16
	s_addc_u32 s77, s77, 0
	v_pk_mov_b32 v[24:25], s[66:67], s[66:67] op_sel:[0,1]
	v_cmp_lt_i64_e32 vcc, s[76:77], v[24:25]
	s_cbranch_vccz .LBB138_62
.LBB138_29:                             ;   Parent Loop BB138_20 Depth=1
                                        ; =>  This Loop Header: Depth=2
                                        ;       Child Loop BB138_45 Depth 3
                                        ;         Child Loop BB138_57 Depth 4
                                        ;         Child Loop BB138_53 Depth 4
	v_mov_b32_e32 v0, s77
	v_add_co_u32_e32 v24, vcc, s76, v2
	v_addc_co_u32_e32 v25, vcc, 0, v0, vcc
	v_cmp_gt_i64_e64 s[20:21], s[66:67], v[24:25]
	s_barrier
	s_and_saveexec_b64 s[22:23], s[20:21]
	s_cbranch_execz .LBB138_34
; %bb.30:                               ;   in Loop: Header=BB138_29 Depth=2
	s_and_saveexec_b64 s[78:79], s[56:57]
	s_xor_b64 s[78:79], exec, s[78:79]
	s_cbranch_execz .LBB138_32
; %bb.31:                               ;   in Loop: Header=BB138_29 Depth=2
	v_mul_lo_u32 v0, v25, s40
	v_mul_lo_u32 v5, v24, s41
	v_mad_u64_u32 v[26:27], s[80:81], v24, s40, 0
	v_add3_u32 v27, v27, v5, v0
	v_lshlrev_b64 v[26:27], 3, v[26:27]
	v_add_co_u32_e32 v26, vcc, v41, v26
	v_addc_co_u32_e32 v27, vcc, v42, v27, vcc
	global_load_dwordx2 v[26:27], v[26:27], off
	s_waitcnt vmcnt(0)
	ds_write_b64 v40, v[26:27]
.LBB138_32:                             ;   in Loop: Header=BB138_29 Depth=2
	s_andn2_saveexec_b64 s[78:79], s[78:79]
	s_cbranch_execz .LBB138_34
; %bb.33:                               ;   in Loop: Header=BB138_29 Depth=2
	v_mov_b32_e32 v7, v6
	ds_write_b64 v40, v[6:7]
.LBB138_34:                             ;   in Loop: Header=BB138_29 Depth=2
	s_or_b64 exec, exec, s[22:23]
	v_pk_mov_b32 v[26:27], 0, 0
	v_lshlrev_b64 v[24:25], 3, v[24:25]
	s_waitcnt lgkmcnt(0)
	s_barrier
	s_and_saveexec_b64 s[78:79], s[20:21]
	s_cbranch_execz .LBB138_60
; %bb.35:                               ;   in Loop: Header=BB138_29 Depth=2
	v_mov_b32_e32 v0, s55
	v_add_co_u32_e32 v26, vcc, s54, v24
	v_addc_co_u32_e32 v27, vcc, v0, v25, vcc
	global_load_dwordx2 v[28:29], v[26:27], off
	s_and_b64 vcc, exec, s[74:75]
	s_cbranch_vccz .LBB138_37
; %bb.36:                               ;   in Loop: Header=BB138_29 Depth=2
	v_mov_b32_e32 v0, s27
	v_add_co_u32_e32 v26, vcc, s26, v24
	v_addc_co_u32_e32 v27, vcc, v0, v25, vcc
	global_load_dwordx2 v[26:27], v[26:27], off
	s_mov_b64 s[22:23], 0
	s_branch .LBB138_38
.LBB138_37:                             ;   in Loop: Header=BB138_29 Depth=2
	s_mov_b64 s[22:23], -1
                                        ; implicit-def: $vgpr26_vgpr27
.LBB138_38:                             ;   in Loop: Header=BB138_29 Depth=2
	v_mov_b32_e32 v0, s92
	s_waitcnt vmcnt(0)
	v_subrev_co_u32_e32 v28, vcc, s28, v28
	v_subb_co_u32_e32 v29, vcc, v29, v0, vcc
	s_andn2_b64 vcc, exec, s[22:23]
	v_lshlrev_b64 v[28:29], 3, v[28:29]
	s_cbranch_vccnz .LBB138_40
; %bb.39:                               ;   in Loop: Header=BB138_29 Depth=2
	v_mov_b32_e32 v0, s59
	v_add_co_u32_e32 v26, vcc, s58, v28
	v_addc_co_u32_e32 v27, vcc, v0, v29, vcc
	global_load_dwordx2 v[26:27], v[26:27], off
	v_mov_b32_e32 v0, s91
	s_waitcnt vmcnt(0)
	v_subrev_co_u32_e32 v26, vcc, s29, v26
	v_subb_co_u32_e32 v27, vcc, v27, v0, vcc
.LBB138_40:                             ;   in Loop: Header=BB138_29 Depth=2
	v_mov_b32_e32 v0, s95
	v_add_co_u32_e32 v28, vcc, s31, v28
	v_addc_co_u32_e32 v29, vcc, v0, v29, vcc
	global_load_dwordx2 v[28:29], v[28:29], off
	v_mov_b32_e32 v0, s91
	s_waitcnt vmcnt(0)
	v_subrev_co_u32_e32 v28, vcc, s29, v28
	v_subb_co_u32_e32 v29, vcc, v29, v0, vcc
	v_cmp_lt_i64_e32 vcc, v[26:27], v[28:29]
	s_and_saveexec_b64 s[80:81], vcc
	s_cbranch_execz .LBB138_59
; %bb.41:                               ;   in Loop: Header=BB138_29 Depth=2
	v_mad_u64_u32 v[30:31], s[22:23], s46, v26, v[8:9]
	v_mul_lo_u32 v0, s46, v27
	v_mul_lo_u32 v5, s47, v26
	v_add3_u32 v0, v5, v31, v0
	v_pk_mov_b32 v[32:33], s[42:43], s[42:43] op_sel:[0,1]
	v_mul_lo_u32 v5, s63, v30
	v_mul_lo_u32 v0, s62, v0
	v_mad_u64_u32 v[30:31], s[22:23], s62, v30, v[32:33]
	v_add3_u32 v31, v5, v31, v0
	v_mad_u64_u32 v[32:33], s[22:23], s68, v26, v[12:13]
	v_mul_lo_u32 v0, s68, v27
	v_mul_lo_u32 v5, s69, v26
	v_add3_u32 v33, v5, v33, v0
	s_mov_b64 s[82:83], 0
	v_pk_mov_b32 v[34:35], v[26:27], v[26:27] op_sel:[0,1]
	s_branch .LBB138_45
.LBB138_42:                             ;   in Loop: Header=BB138_45 Depth=3
	v_lshlrev_b32_e32 v0, 4, v0
	v_or3_b32 v0, v0, v43, v4
	v_mul_f32_e64 v5, v37, -s35
	v_lshlrev_b32_e32 v0, 3, v0
	v_fmac_f32_e32 v5, s33, v36
	v_mul_f32_e32 v7, s33, v37
	v_fmac_f32_e32 v7, s35, v36
	ds_add_f32 v0, v5
	ds_add_f32 v0, v7 offset:4
.LBB138_43:                             ;   in Loop: Header=BB138_45 Depth=3
	s_or_b64 exec, exec, s[86:87]
	s_or_b64 s[22:23], s[22:23], exec
.LBB138_44:                             ;   in Loop: Header=BB138_45 Depth=3
	s_or_b64 exec, exec, s[84:85]
	v_add_co_u32_e32 v34, vcc, 1, v34
	v_addc_co_u32_e32 v35, vcc, 0, v35, vcc
	v_cmp_ge_i64_e32 vcc, v[34:35], v[28:29]
	s_xor_b64 s[22:23], s[22:23], -1
	s_or_b64 s[22:23], s[22:23], vcc
	v_mov_b32_e32 v0, s69
	v_add_co_u32_e32 v30, vcc, s68, v30
	v_addc_co_u32_e32 v31, vcc, v31, v0, vcc
	s_and_b64 s[22:23], exec, s[22:23]
	v_add_co_u32_e32 v32, vcc, s68, v32
	s_or_b64 s[82:83], s[22:23], s[82:83]
	v_addc_co_u32_e32 v33, vcc, v33, v0, vcc
	s_andn2_b64 exec, exec, s[82:83]
	s_cbranch_execz .LBB138_58
.LBB138_45:                             ;   Parent Loop BB138_20 Depth=1
                                        ;     Parent Loop BB138_29 Depth=2
                                        ; =>    This Loop Header: Depth=3
                                        ;         Child Loop BB138_57 Depth 4
                                        ;         Child Loop BB138_53 Depth 4
	v_lshlrev_b64 v[36:37], 3, v[34:35]
	v_mov_b32_e32 v0, s45
	v_add_co_u32_e32 v36, vcc, s44, v36
	v_addc_co_u32_e32 v37, vcc, v0, v37, vcc
	global_load_dwordx2 v[36:37], v[36:37], off
	v_mov_b32_e32 v0, s91
	s_waitcnt vmcnt(0)
	v_subrev_co_u32_e32 v36, vcc, s29, v36
	v_subb_co_u32_e32 v37, vcc, v37, v0, vcc
	v_cmp_gt_i64_e64 s[22:23], s[72:73], v[36:37]
	v_cmp_ge_i64_e32 vcc, v[36:37], v[20:21]
	s_or_b64 s[84:85], s[22:23], vcc
                                        ; implicit-def: $sgpr22_sgpr23
	s_and_saveexec_b64 s[86:87], s[84:85]
	s_xor_b64 s[84:85], exec, s[86:87]
	s_cbranch_execz .LBB138_49
; %bb.46:                               ;   in Loop: Header=BB138_45 Depth=3
	s_mov_b64 s[22:23], -1
	s_and_saveexec_b64 s[86:87], vcc
; %bb.47:                               ;   in Loop: Header=BB138_45 Depth=3
	v_cmp_lt_i64_e32 vcc, v[36:37], v[22:23]
	v_cndmask_b32_e32 v23, v23, v37, vcc
	v_cndmask_b32_e32 v22, v22, v36, vcc
	s_xor_b64 s[22:23], exec, -1
	v_pk_mov_b32 v[26:27], v[34:35], v[34:35] op_sel:[0,1]
; %bb.48:                               ;   in Loop: Header=BB138_45 Depth=3
	s_or_b64 exec, exec, s[86:87]
	s_and_b64 s[22:23], s[22:23], exec
                                        ; implicit-def: $vgpr36_vgpr37
.LBB138_49:                             ;   in Loop: Header=BB138_45 Depth=3
	s_andn2_saveexec_b64 s[84:85], s[84:85]
	s_cbranch_execz .LBB138_44
; %bb.50:                               ;   in Loop: Header=BB138_45 Depth=3
	v_subrev_u32_e32 v0, s72, v36
	v_lshlrev_b32_e32 v5, 2, v0
	ds_write_b32 v5, v60 offset:10240
	s_and_saveexec_b64 s[86:87], s[52:53]
	s_cbranch_execz .LBB138_43
; %bb.51:                               ;   in Loop: Header=BB138_45 Depth=3
	s_andn2_b64 vcc, exec, s[24:25]
	s_cbranch_vccnz .LBB138_55
; %bb.52:                               ;   in Loop: Header=BB138_45 Depth=3
	v_mov_b32_e32 v36, 0
	v_mov_b32_e32 v5, v55
	s_mov_b64 s[88:89], s[62:63]
	v_pk_mov_b32 v[38:39], v[30:31], v[30:31] op_sel:[0,1]
	v_mov_b32_e32 v37, v36
.LBB138_53:                             ;   Parent Loop BB138_20 Depth=1
                                        ;     Parent Loop BB138_29 Depth=2
                                        ;       Parent Loop BB138_45 Depth=3
                                        ; =>      This Inner Loop Header: Depth=4
	global_load_dwordx2 v[62:63], v[38:39], off offset:-4
	ds_read_b64 v[64:65], v5
	s_add_u32 s88, s88, -1
	v_add_co_u32_e32 v38, vcc, 8, v38
	s_addc_u32 s89, s89, -1
	v_addc_co_u32_e32 v39, vcc, 0, v39, vcc
	v_add_u32_e32 v5, 32, v5
	s_cmp_lg_u64 s[88:89], 0
	s_waitcnt vmcnt(0) lgkmcnt(0)
	v_pk_fma_f32 v[36:37], v[64:65], v[62:63], v[36:37] op_sel_hi:[1,0,1]
	v_pk_fma_f32 v[36:37], v[64:65], v[62:63], v[36:37] op_sel:[1,1,0] op_sel_hi:[0,1,1] neg_lo:[1,0,0]
	s_cbranch_scc1 .LBB138_53
; %bb.54:                               ;   in Loop: Header=BB138_45 Depth=3
	s_branch .LBB138_42
.LBB138_55:                             ;   in Loop: Header=BB138_45 Depth=3
                                        ; implicit-def: $vgpr37
	s_cbranch_execz .LBB138_42
; %bb.56:                               ;   in Loop: Header=BB138_45 Depth=3
	v_mov_b32_e32 v36, 0
	v_mov_b32_e32 v5, v56
	v_pk_mov_b32 v[38:39], v[32:33], v[32:33] op_sel:[0,1]
	s_mov_b64 s[88:89], s[62:63]
	v_mov_b32_e32 v37, v36
.LBB138_57:                             ;   Parent Loop BB138_20 Depth=1
                                        ;     Parent Loop BB138_29 Depth=2
                                        ;       Parent Loop BB138_45 Depth=3
                                        ; =>      This Inner Loop Header: Depth=4
	global_load_dwordx2 v[62:63], v[38:39], off offset:-4
	ds_read_b64 v[64:65], v5
	s_add_u32 s88, s88, -1
	v_mov_b32_e32 v7, s47
	v_add_co_u32_e32 v38, vcc, s46, v38
	s_addc_u32 s89, s89, -1
	v_add_u32_e32 v5, 8, v5
	v_addc_co_u32_e32 v39, vcc, v39, v7, vcc
	s_cmp_eq_u64 s[88:89], 0
	s_waitcnt vmcnt(0) lgkmcnt(0)
	v_pk_fma_f32 v[36:37], v[64:65], v[62:63], v[36:37] op_sel_hi:[1,0,1]
	v_pk_fma_f32 v[36:37], v[64:65], v[62:63], v[36:37] op_sel:[1,1,0] op_sel_hi:[0,1,1] neg_lo:[1,0,0]
	s_cbranch_scc0 .LBB138_57
	s_branch .LBB138_42
.LBB138_58:                             ;   in Loop: Header=BB138_29 Depth=2
	s_or_b64 exec, exec, s[82:83]
.LBB138_59:                             ;   in Loop: Header=BB138_29 Depth=2
	s_or_b64 exec, exec, s[80:81]
.LBB138_60:                             ;   in Loop: Header=BB138_29 Depth=2
	s_or_b64 exec, exec, s[78:79]
	s_waitcnt lgkmcnt(0)
	s_barrier
	s_and_saveexec_b64 s[22:23], s[20:21]
	s_cbranch_execz .LBB138_28
; %bb.61:                               ;   in Loop: Header=BB138_29 Depth=2
	v_mov_b32_e32 v0, s27
	v_add_co_u32_e32 v24, vcc, s26, v24
	v_addc_co_u32_e32 v25, vcc, v0, v25, vcc
	global_store_dwordx2 v[24:25], v[26:27], off
	s_branch .LBB138_28
.LBB138_62:                             ;   in Loop: Header=BB138_20 Depth=1
	s_andn2_b64 vcc, exec, s[64:65]
	s_cbranch_vccnz .LBB138_74
; %bb.63:                               ;   in Loop: Header=BB138_20 Depth=1
	s_load_dwordx4 s[20:23], s[50:51], 0x0
	s_waitcnt lgkmcnt(0)
	s_sub_u32 s22, s22, s93
	v_mov_b32_e32 v0, s21
	v_add_co_u32_e32 v28, vcc, s20, v44
	s_subb_u32 s23, s23, 0
	v_addc_co_u32_e32 v29, vcc, v0, v45, vcc
	v_cmp_gt_i64_e32 vcc, s[22:23], v[28:29]
	s_and_saveexec_b64 s[74:75], vcc
	s_cbranch_execz .LBB138_73
; %bb.64:                               ;   in Loop: Header=BB138_20 Depth=1
	v_readlane_b32 s76, v61, 0
	v_lshlrev_b64 v[24:25], 3, v[28:29]
	v_readlane_b32 s77, v61, 1
	v_mov_b32_e32 v0, s77
	v_add_co_u32_e32 v24, vcc, s76, v24
	v_addc_co_u32_e32 v25, vcc, v0, v25, vcc
	v_mad_u64_u32 v[26:27], s[76:77], s68, v28, v[14:15]
	v_mul_lo_u32 v0, s68, v29
	v_mul_lo_u32 v5, s69, v28
	v_add3_u32 v27, v5, v27, v0
	v_mov_b32_e32 v0, s21
	v_add_co_u32_e32 v28, vcc, s20, v57
	v_addc_co_u32_e32 v29, vcc, v58, v0, vcc
	s_mov_b64 s[76:77], 0
	v_readlane_b32 s78, v61, 2
	v_readlane_b32 s79, v61, 3
	;; [unrolled: 1-line block ×6, first 2 shown]
	s_branch .LBB138_67
.LBB138_65:                             ;   in Loop: Header=BB138_67 Depth=2
	s_or_b64 exec, exec, s[80:81]
	s_or_b64 s[20:21], s[20:21], exec
.LBB138_66:                             ;   in Loop: Header=BB138_67 Depth=2
	s_or_b64 exec, exec, s[78:79]
	v_cmp_le_i64_e32 vcc, s[22:23], v[28:29]
	s_xor_b64 s[20:21], s[20:21], -1
	s_or_b64 s[20:21], s[20:21], vcc
	v_add_co_u32_e32 v24, vcc, 0x80, v24
	v_addc_co_u32_e32 v25, vcc, 0, v25, vcc
	v_mov_b32_e32 v0, s71
	v_add_co_u32_e32 v26, vcc, s70, v26
	v_addc_co_u32_e32 v27, vcc, v27, v0, vcc
	s_and_b64 s[20:21], exec, s[20:21]
	v_add_co_u32_e32 v28, vcc, 16, v28
	s_or_b64 s[76:77], s[20:21], s[76:77]
	v_addc_co_u32_e32 v29, vcc, 0, v29, vcc
	s_andn2_b64 exec, exec, s[76:77]
	s_cbranch_execz .LBB138_72
.LBB138_67:                             ;   Parent Loop BB138_20 Depth=1
                                        ; =>  This Inner Loop Header: Depth=2
	global_load_dwordx2 v[30:31], v[24:25], off
	v_mov_b32_e32 v0, s94
	s_waitcnt vmcnt(0)
	v_subrev_co_u32_e32 v30, vcc, s93, v30
	v_subb_co_u32_e32 v31, vcc, v31, v0, vcc
	v_cmp_lt_i64_e32 vcc, v[30:31], v[20:21]
	v_cmp_gt_i64_e64 s[20:21], s[72:73], v[30:31]
	s_xor_b64 s[78:79], vcc, -1
	s_or_b64 s[78:79], s[20:21], s[78:79]
                                        ; implicit-def: $sgpr20_sgpr21
	s_and_saveexec_b64 s[80:81], s[78:79]
	s_xor_b64 s[78:79], exec, s[80:81]
; %bb.68:                               ;   in Loop: Header=BB138_67 Depth=2
	v_cmp_lt_i64_e64 s[20:21], v[30:31], v[22:23]
	v_cndmask_b32_e64 v0, v22, v30, s[20:21]
	v_cndmask_b32_e64 v5, v23, v31, s[20:21]
	v_cndmask_b32_e32 v23, v5, v23, vcc
	v_cndmask_b32_e32 v22, v0, v22, vcc
	s_and_b64 s[20:21], vcc, exec
                                        ; implicit-def: $vgpr30
; %bb.69:                               ;   in Loop: Header=BB138_67 Depth=2
	s_andn2_saveexec_b64 s[78:79], s[78:79]
	s_cbranch_execz .LBB138_66
; %bb.70:                               ;   in Loop: Header=BB138_67 Depth=2
	v_subrev_u32_e32 v0, s72, v30
	v_lshlrev_b32_e32 v5, 2, v0
	ds_write_b32 v5, v60 offset:10240
	s_and_saveexec_b64 s[80:81], s[56:57]
	s_cbranch_execz .LBB138_65
; %bb.71:                               ;   in Loop: Header=BB138_67 Depth=2
	global_load_dwordx2 v[30:31], v[26:27], off offset:-4
	v_lshlrev_b32_e32 v0, 4, v0
	v_or3_b32 v0, v0, v43, v4
	v_lshlrev_b32_e32 v0, 3, v0
	s_waitcnt vmcnt(0)
	v_mul_f32_e64 v5, v31, -s90
	v_mul_f32_e32 v7, s34, v31
	v_fmac_f32_e32 v5, s34, v30
	v_fmac_f32_e32 v7, s90, v30
	ds_add_f32 v0, v5
	ds_add_f32 v0, v7 offset:4
	s_branch .LBB138_65
.LBB138_72:                             ;   in Loop: Header=BB138_20 Depth=1
	s_or_b64 exec, exec, s[76:77]
.LBB138_73:                             ;   in Loop: Header=BB138_20 Depth=1
	s_or_b64 exec, exec, s[74:75]
.LBB138_74:                             ;   in Loop: Header=BB138_20 Depth=1
	s_and_saveexec_b64 s[20:21], s[4:5]
	s_cbranch_execz .LBB138_79
; %bb.75:                               ;   in Loop: Header=BB138_20 Depth=1
	s_mov_b64 s[74:75], exec
	s_mov_b64 s[22:23], -1
.LBB138_76:                             ;   Parent Loop BB138_20 Depth=1
                                        ; =>  This Inner Loop Header: Depth=2
	s_ff1_i32_b64 s49, s[74:75]
	v_readlane_b32 s78, v23, s49
	v_readlane_b32 s79, v22, s49
	v_mov_b32_e32 v20, s79
	v_mov_b32_e32 v21, s78
	v_cmp_lt_u64_e32 vcc, s[22:23], v[20:21]
	s_and_b64 s[76:77], vcc, exec
	s_cselect_b32 s23, s23, s78
	s_cselect_b32 s22, s22, s79
	s_lshl_b64 s[76:77], 1, s49
	s_andn2_b64 s[74:75], s[74:75], s[76:77]
	s_cmp_lg_u64 s[74:75], 0
	s_cbranch_scc1 .LBB138_76
; %bb.77:                               ;   in Loop: Header=BB138_20 Depth=1
	v_mbcnt_lo_u32_b32 v0, exec_lo, 0
	v_mbcnt_hi_u32_b32 v0, exec_hi, v0
	v_cmp_eq_u32_e32 vcc, 0, v0
	s_and_saveexec_b64 s[74:75], vcc
	s_xor_b64 s[74:75], exec, s[74:75]
	s_cbranch_execz .LBB138_79
; %bb.78:                               ;   in Loop: Header=BB138_20 Depth=1
	v_pk_mov_b32 v[20:21], s[22:23], s[22:23] op_sel:[0,1]
	ds_min_u64 v6, v[20:21] offset:10496
.LBB138_79:                             ;   in Loop: Header=BB138_20 Depth=1
	s_or_b64 exec, exec, s[20:21]
	s_waitcnt lgkmcnt(0)
	s_barrier
	ds_read_b32 v0, v46
	s_waitcnt lgkmcnt(0)
	s_barrier
	s_and_saveexec_b64 s[20:21], s[8:9]
	s_cbranch_execz .LBB138_81
; %bb.80:                               ;   in Loop: Header=BB138_20 Depth=1
	ds_read_b32 v5, v47
	s_waitcnt lgkmcnt(0)
	v_add_u32_e32 v0, v5, v0
.LBB138_81:                             ;   in Loop: Header=BB138_20 Depth=1
	s_or_b64 exec, exec, s[20:21]
	s_barrier
	ds_write_b32 v46, v0
	s_waitcnt lgkmcnt(0)
	s_barrier
	s_and_saveexec_b64 s[20:21], s[10:11]
	s_cbranch_execz .LBB138_83
; %bb.82:                               ;   in Loop: Header=BB138_20 Depth=1
	ds_read_b32 v5, v49
	s_waitcnt lgkmcnt(0)
	v_add_u32_e32 v0, v5, v0
.LBB138_83:                             ;   in Loop: Header=BB138_20 Depth=1
	s_or_b64 exec, exec, s[20:21]
	s_barrier
	ds_write_b32 v46, v0
	;; [unrolled: 12-line block ×6, first 2 shown]
	s_waitcnt lgkmcnt(0)
	s_barrier
	ds_read_b32 v7, v6 offset:10492
	v_mov_b32_e32 v5, 0
	s_and_saveexec_b64 s[20:21], s[6:7]
	s_cbranch_execz .LBB138_93
; %bb.92:                               ;   in Loop: Header=BB138_20 Depth=1
	ds_read_b32 v5, v47
.LBB138_93:                             ;   in Loop: Header=BB138_20 Depth=1
	s_or_b64 exec, exec, s[20:21]
	s_waitcnt lgkmcnt(0)
	v_cmp_eq_u32_e32 vcc, v0, v5
	s_and_b64 s[22:23], s[6:7], vcc
	s_barrier
	s_and_saveexec_b64 s[20:21], s[22:23]
	s_cbranch_execz .LBB138_95
; %bb.94:                               ;   in Loop: Header=BB138_20 Depth=1
	ds_write_b32 v46, v6
.LBB138_95:                             ;   in Loop: Header=BB138_20 Depth=1
	s_or_b64 exec, exec, s[20:21]
	v_add_co_u32_e32 v22, vcc, -1, v16
	s_add_u32 s49, s30, s72
	v_addc_co_u32_e32 v23, vcc, -1, v17, vcc
	s_addc_u32 s72, 0, s73
	s_mov_b64 s[20:21], 0
	v_mov_b32_e32 v24, v59
	v_mov_b32_e32 v25, v11
	v_pk_mov_b32 v[20:21], v[2:3], v[2:3] op_sel:[0,1]
	s_waitcnt lgkmcnt(0)
	s_barrier
	s_branch .LBB138_97
.LBB138_96:                             ;   in Loop: Header=BB138_97 Depth=2
	s_or_b64 exec, exec, s[22:23]
	v_add_co_u32_e32 v20, vcc, 16, v20
	v_addc_co_u32_e32 v21, vcc, 0, v21, vcc
	v_add_u32_e32 v0, -16, v20
	v_cmp_lt_u32_e32 vcc, 47, v0
	v_add_u32_e32 v25, 0x800, v25
	s_or_b64 s[20:21], vcc, s[20:21]
	v_add_u32_e32 v24, 64, v24
	s_andn2_b64 exec, exec, s[20:21]
	s_cbranch_execz .LBB138_19
.LBB138_97:                             ;   Parent Loop BB138_20 Depth=1
                                        ; =>  This Inner Loop Header: Depth=2
	ds_read_b32 v0, v24
	s_waitcnt lgkmcnt(0)
	v_cmp_ne_u32_e32 vcc, 0, v0
	s_and_saveexec_b64 s[22:23], vcc
	s_cbranch_execz .LBB138_96
; %bb.98:                               ;   in Loop: Header=BB138_97 Depth=2
	v_mov_b32_e32 v27, s72
	v_add_co_u32_e32 v26, vcc, s49, v20
	v_addc_co_u32_e32 v27, vcc, v27, v21, vcc
	v_ashrrev_i32_e32 v5, 31, v0
	v_add_co_u32_e32 v28, vcc, v16, v0
	v_addc_co_u32_e32 v29, vcc, v17, v5, vcc
	v_lshlrev_b64 v[28:29], 3, v[28:29]
	v_mov_b32_e32 v30, s37
	v_add_co_u32_e32 v28, vcc, s36, v28
	v_addc_co_u32_e32 v29, vcc, v30, v29, vcc
	global_store_dwordx2 v[28:29], v[26:27], off
	s_and_b64 exec, exec, s[56:57]
	s_cbranch_execz .LBB138_96
; %bb.99:                               ;   in Loop: Header=BB138_97 Depth=2
	v_add_co_u32_e32 v0, vcc, v22, v0
	v_addc_co_u32_e32 v5, vcc, v23, v5, vcc
	v_mul_lo_u32 v5, v5, s40
	v_mul_lo_u32 v28, v0, s41
	v_mad_u64_u32 v[26:27], s[74:75], v0, s40, 0
	v_add3_u32 v27, v27, v28, v5
	ds_read_b64 v[28:29], v25
	v_lshlrev_b64 v[26:27], 3, v[26:27]
	v_add_co_u32_e32 v26, vcc, v10, v26
	v_addc_co_u32_e32 v27, vcc, v1, v27, vcc
	s_waitcnt lgkmcnt(0)
	global_store_dwordx2 v[26:27], v[28:29], off
	s_branch .LBB138_96
.LBB138_100:
	s_endpgm
	.section	.rodata,"a",@progbits
	.p2align	6, 0x0
	.amdhsa_kernel _ZN9rocsparseL38bsrgemm_block_per_row_atomic_multipassILj256ELj64ELj4Ell21rocsparse_complex_numIfEEEv20rocsparse_direction_T3_S4_PKS4_S6_NS_24const_host_device_scalarIT4_EEPKT2_S6_PKS8_SC_S6_SE_S9_SC_S6_SE_SC_PS4_PS8_PSA_21rocsparse_index_base_SI_SI_SI_bbb
		.amdhsa_group_segment_fixed_size 10504
		.amdhsa_private_segment_fixed_size 0
		.amdhsa_kernarg_size 180
		.amdhsa_user_sgpr_count 6
		.amdhsa_user_sgpr_private_segment_buffer 1
		.amdhsa_user_sgpr_dispatch_ptr 0
		.amdhsa_user_sgpr_queue_ptr 0
		.amdhsa_user_sgpr_kernarg_segment_ptr 1
		.amdhsa_user_sgpr_dispatch_id 0
		.amdhsa_user_sgpr_flat_scratch_init 0
		.amdhsa_user_sgpr_kernarg_preload_length 0
		.amdhsa_user_sgpr_kernarg_preload_offset 0
		.amdhsa_user_sgpr_private_segment_size 0
		.amdhsa_uses_dynamic_stack 0
		.amdhsa_system_sgpr_private_segment_wavefront_offset 0
		.amdhsa_system_sgpr_workgroup_id_x 1
		.amdhsa_system_sgpr_workgroup_id_y 0
		.amdhsa_system_sgpr_workgroup_id_z 0
		.amdhsa_system_sgpr_workgroup_info 0
		.amdhsa_system_vgpr_workitem_id 0
		.amdhsa_next_free_vgpr 66
		.amdhsa_next_free_sgpr 96
		.amdhsa_accum_offset 68
		.amdhsa_reserve_vcc 1
		.amdhsa_reserve_flat_scratch 0
		.amdhsa_float_round_mode_32 0
		.amdhsa_float_round_mode_16_64 0
		.amdhsa_float_denorm_mode_32 3
		.amdhsa_float_denorm_mode_16_64 3
		.amdhsa_dx10_clamp 1
		.amdhsa_ieee_mode 1
		.amdhsa_fp16_overflow 0
		.amdhsa_tg_split 0
		.amdhsa_exception_fp_ieee_invalid_op 0
		.amdhsa_exception_fp_denorm_src 0
		.amdhsa_exception_fp_ieee_div_zero 0
		.amdhsa_exception_fp_ieee_overflow 0
		.amdhsa_exception_fp_ieee_underflow 0
		.amdhsa_exception_fp_ieee_inexact 0
		.amdhsa_exception_int_div_zero 0
	.end_amdhsa_kernel
	.section	.text._ZN9rocsparseL38bsrgemm_block_per_row_atomic_multipassILj256ELj64ELj4Ell21rocsparse_complex_numIfEEEv20rocsparse_direction_T3_S4_PKS4_S6_NS_24const_host_device_scalarIT4_EEPKT2_S6_PKS8_SC_S6_SE_S9_SC_S6_SE_SC_PS4_PS8_PSA_21rocsparse_index_base_SI_SI_SI_bbb,"axG",@progbits,_ZN9rocsparseL38bsrgemm_block_per_row_atomic_multipassILj256ELj64ELj4Ell21rocsparse_complex_numIfEEEv20rocsparse_direction_T3_S4_PKS4_S6_NS_24const_host_device_scalarIT4_EEPKT2_S6_PKS8_SC_S6_SE_S9_SC_S6_SE_SC_PS4_PS8_PSA_21rocsparse_index_base_SI_SI_SI_bbb,comdat
.Lfunc_end138:
	.size	_ZN9rocsparseL38bsrgemm_block_per_row_atomic_multipassILj256ELj64ELj4Ell21rocsparse_complex_numIfEEEv20rocsparse_direction_T3_S4_PKS4_S6_NS_24const_host_device_scalarIT4_EEPKT2_S6_PKS8_SC_S6_SE_S9_SC_S6_SE_SC_PS4_PS8_PSA_21rocsparse_index_base_SI_SI_SI_bbb, .Lfunc_end138-_ZN9rocsparseL38bsrgemm_block_per_row_atomic_multipassILj256ELj64ELj4Ell21rocsparse_complex_numIfEEEv20rocsparse_direction_T3_S4_PKS4_S6_NS_24const_host_device_scalarIT4_EEPKT2_S6_PKS8_SC_S6_SE_S9_SC_S6_SE_SC_PS4_PS8_PSA_21rocsparse_index_base_SI_SI_SI_bbb
                                        ; -- End function
	.section	.AMDGPU.csdata,"",@progbits
; Kernel info:
; codeLenInByte = 3888
; NumSgprs: 100
; NumVgprs: 66
; NumAgprs: 0
; TotalNumVgprs: 66
; ScratchSize: 0
; MemoryBound: 0
; FloatMode: 240
; IeeeMode: 1
; LDSByteSize: 10504 bytes/workgroup (compile time only)
; SGPRBlocks: 12
; VGPRBlocks: 8
; NumSGPRsForWavesPerEU: 100
; NumVGPRsForWavesPerEU: 66
; AccumOffset: 68
; Occupancy: 6
; WaveLimiterHint : 1
; COMPUTE_PGM_RSRC2:SCRATCH_EN: 0
; COMPUTE_PGM_RSRC2:USER_SGPR: 6
; COMPUTE_PGM_RSRC2:TRAP_HANDLER: 0
; COMPUTE_PGM_RSRC2:TGID_X_EN: 1
; COMPUTE_PGM_RSRC2:TGID_Y_EN: 0
; COMPUTE_PGM_RSRC2:TGID_Z_EN: 0
; COMPUTE_PGM_RSRC2:TIDIG_COMP_CNT: 0
; COMPUTE_PGM_RSRC3_GFX90A:ACCUM_OFFSET: 16
; COMPUTE_PGM_RSRC3_GFX90A:TG_SPLIT: 0
	.section	.text._ZN9rocsparseL38bsrgemm_block_per_row_atomic_multipassILj256ELj128ELj4Ell21rocsparse_complex_numIfEEEv20rocsparse_direction_T3_S4_PKS4_S6_NS_24const_host_device_scalarIT4_EEPKT2_S6_PKS8_SC_S6_SE_S9_SC_S6_SE_SC_PS4_PS8_PSA_21rocsparse_index_base_SI_SI_SI_bbb,"axG",@progbits,_ZN9rocsparseL38bsrgemm_block_per_row_atomic_multipassILj256ELj128ELj4Ell21rocsparse_complex_numIfEEEv20rocsparse_direction_T3_S4_PKS4_S6_NS_24const_host_device_scalarIT4_EEPKT2_S6_PKS8_SC_S6_SE_S9_SC_S6_SE_SC_PS4_PS8_PSA_21rocsparse_index_base_SI_SI_SI_bbb,comdat
	.globl	_ZN9rocsparseL38bsrgemm_block_per_row_atomic_multipassILj256ELj128ELj4Ell21rocsparse_complex_numIfEEEv20rocsparse_direction_T3_S4_PKS4_S6_NS_24const_host_device_scalarIT4_EEPKT2_S6_PKS8_SC_S6_SE_S9_SC_S6_SE_SC_PS4_PS8_PSA_21rocsparse_index_base_SI_SI_SI_bbb ; -- Begin function _ZN9rocsparseL38bsrgemm_block_per_row_atomic_multipassILj256ELj128ELj4Ell21rocsparse_complex_numIfEEEv20rocsparse_direction_T3_S4_PKS4_S6_NS_24const_host_device_scalarIT4_EEPKT2_S6_PKS8_SC_S6_SE_S9_SC_S6_SE_SC_PS4_PS8_PSA_21rocsparse_index_base_SI_SI_SI_bbb
	.p2align	8
	.type	_ZN9rocsparseL38bsrgemm_block_per_row_atomic_multipassILj256ELj128ELj4Ell21rocsparse_complex_numIfEEEv20rocsparse_direction_T3_S4_PKS4_S6_NS_24const_host_device_scalarIT4_EEPKT2_S6_PKS8_SC_S6_SE_S9_SC_S6_SE_SC_PS4_PS8_PSA_21rocsparse_index_base_SI_SI_SI_bbb,@function
_ZN9rocsparseL38bsrgemm_block_per_row_atomic_multipassILj256ELj128ELj4Ell21rocsparse_complex_numIfEEEv20rocsparse_direction_T3_S4_PKS4_S6_NS_24const_host_device_scalarIT4_EEPKT2_S6_PKS8_SC_S6_SE_S9_SC_S6_SE_SC_PS4_PS8_PSA_21rocsparse_index_base_SI_SI_SI_bbb: ; @_ZN9rocsparseL38bsrgemm_block_per_row_atomic_multipassILj256ELj128ELj4Ell21rocsparse_complex_numIfEEEv20rocsparse_direction_T3_S4_PKS4_S6_NS_24const_host_device_scalarIT4_EEPKT2_S6_PKS8_SC_S6_SE_S9_SC_S6_SE_SC_PS4_PS8_PSA_21rocsparse_index_base_SI_SI_SI_bbb
; %bb.0:
	s_load_dwordx8 s[36:43], s[4:5], 0x90
	s_load_dword s7, s[4:5], 0xb0
	s_load_dwordx8 s[8:15], s[4:5], 0x70
                                        ; implicit-def: $vgpr61 : SGPR spill to VGPR lane
	s_mov_b32 s35, 0
	s_mov_b32 s33, 0
	s_waitcnt lgkmcnt(0)
	s_bitcmp1_b32 s7, 0
	v_writelane_b32 v61, s8, 0
	v_writelane_b32 v61, s9, 1
	;; [unrolled: 1-line block ×8, first 2 shown]
	s_load_dwordx8 s[52:59], s[4:5], 0x50
	s_load_dwordx4 s[8:11], s[4:5], 0x18
	s_load_dwordx8 s[60:67], s[4:5], 0x30
	s_cselect_b64 s[12:13], -1, 0
	s_bitcmp1_b32 s7, 16
	s_cselect_b64 s[0:1], -1, 0
	s_xor_b64 s[2:3], s[0:1], -1
	s_bitcmp0_b32 s7, 0
	s_cbranch_scc1 .LBB139_5
; %bb.1:
	s_load_dwordx2 s[34:35], s[4:5], 0x28
	v_cndmask_b32_e64 v1, 0, 1, s[2:3]
	v_cmp_ne_u32_e64 s[0:1], 1, v1
	s_andn2_b64 vcc, exec, s[2:3]
	s_waitcnt lgkmcnt(0)
	s_mov_b32 s33, s34
	s_cbranch_vccnz .LBB139_3
; %bb.2:
	s_load_dword s33, s[34:35], 0x0
.LBB139_3:
	s_and_b64 vcc, exec, s[0:1]
	s_cbranch_vccnz .LBB139_5
; %bb.4:
	s_load_dword s35, s[34:35], 0x4
.LBB139_5:
	s_bitcmp1_b32 s7, 8
	s_cselect_b64 s[0:1], -1, 0
	v_writelane_b32 v61, s0, 8
	v_writelane_b32 v61, s1, 9
	s_bfe_u32 s0, s7, 0x10008
	s_mov_b32 s44, 0
	s_cmp_eq_u32 s0, 0
	s_mov_b32 s34, 0
	s_cbranch_scc1 .LBB139_11
; %bb.6:
	v_cndmask_b32_e64 v1, 0, 1, s[2:3]
	v_cmp_ne_u32_e64 s[0:1], 1, v1
	s_andn2_b64 vcc, exec, s[2:3]
	s_waitcnt lgkmcnt(0)
	s_mov_b32 s34, s56
	s_cbranch_vccnz .LBB139_8
; %bb.7:
	s_load_dword s34, s[56:57], 0x0
.LBB139_8:
	s_and_b64 vcc, exec, s[0:1]
	s_cbranch_vccnz .LBB139_10
; %bb.9:
	s_load_dword s57, s[56:57], 0x4
.LBB139_10:
	s_waitcnt lgkmcnt(0)
	s_mov_b32 s44, s57
.LBB139_11:
	s_mov_b64 s[0:1], 0
	v_writelane_b32 v61, s0, 10
	s_waitcnt lgkmcnt(0)
	s_cmp_eq_u64 s[10:11], 0
	s_mov_b32 s7, 0
	v_writelane_b32 v61, s1, 11
	s_cbranch_scc1 .LBB139_13
; %bb.12:
	s_load_dwordx2 s[0:1], s[8:9], 0x0
	s_waitcnt lgkmcnt(0)
	s_lshl_b64 s[0:1], s[0:1], 3
	s_add_u32 s2, s10, s0
	s_addc_u32 s3, s11, s1
	s_lshl_b64 s[0:1], s[6:7], 3
	s_add_u32 s0, s2, s0
	s_addc_u32 s1, s3, s1
	s_load_dwordx2 s[6:7], s[0:1], 0x0
.LBB139_13:
	v_cndmask_b32_e64 v1, 0, 1, s[12:13]
	v_cmp_ne_u32_e64 s[0:1], 1, v1
	s_andn2_b64 vcc, exec, s[12:13]
	s_cbranch_vccz .LBB139_16
; %bb.14:
	s_and_b64 vcc, exec, s[0:1]
	s_mov_b64 s[74:75], 0
	s_cbranch_vccz .LBB139_17
.LBB139_15:
	s_load_dwordx4 s[68:71], s[4:5], 0x8
	s_waitcnt lgkmcnt(0)
	v_cmp_lt_i64_e64 s[0:1], s[68:69], 1
	s_and_b64 vcc, exec, s[0:1]
	s_cbranch_vccz .LBB139_18
	s_branch .LBB139_106
.LBB139_16:
	s_waitcnt lgkmcnt(0)
	s_lshl_b64 s[2:3], s[6:7], 3
	s_add_u32 s2, s60, s2
	s_addc_u32 s3, s61, s3
	s_load_dwordx2 s[2:3], s[2:3], 0x0
	s_waitcnt lgkmcnt(0)
	s_sub_u32 s2, s2, s40
	s_subb_u32 s3, s3, 0
	v_writelane_b32 v61, s2, 10
	v_writelane_b32 v61, s3, 11
	s_and_b64 vcc, exec, s[0:1]
	s_mov_b64 s[74:75], 0
	s_cbranch_vccnz .LBB139_15
.LBB139_17:
	s_waitcnt lgkmcnt(0)
	s_lshl_b64 s[0:1], s[6:7], 3
	s_add_u32 s0, s60, s0
	s_addc_u32 s1, s61, s1
	s_load_dwordx2 s[0:1], s[0:1], 0x8
	s_waitcnt lgkmcnt(0)
	s_sub_u32 s74, s0, s40
	s_subb_u32 s75, s1, 0
	s_load_dwordx4 s[68:71], s[4:5], 0x8
	s_waitcnt lgkmcnt(0)
	v_cmp_lt_i64_e64 s[0:1], s[68:69], 1
	s_and_b64 vcc, exec, s[0:1]
	s_cbranch_vccnz .LBB139_106
.LBB139_18:
	s_load_dwordx8 s[76:83], s[4:5], 0x70
	s_lshl_b64 s[6:7], s[6:7], 3
	s_load_dword s14, s[4:5], 0x0
	v_readlane_b32 s4, v61, 10
	v_pk_mov_b32 v[6:7], s[74:75], s[74:75] op_sel:[0,1]
	s_waitcnt lgkmcnt(0)
	s_add_u32 s0, s80, s6
	s_addc_u32 s1, s81, s7
	s_load_dwordx2 s[0:1], s[0:1], 0x0
	v_readlane_b32 s5, v61, 11
	v_cmp_lt_i64_e32 vcc, s[4:5], v[6:7]
	s_mul_i32 s4, s70, s71
	s_mul_hi_u32 s5, s70, s70
	s_waitcnt lgkmcnt(0)
	s_sub_u32 s26, s0, s42
	v_bfe_u32 v20, v0, 2, 2
	s_subb_u32 s27, s1, 0
	s_add_i32 s5, s5, s4
	s_add_i32 s49, s5, s4
	v_mad_u64_u32 v[8:9], s[4:5], v20, s70, 0
	v_lshlrev_b32_e32 v11, 3, v0
	v_mov_b32_e32 v10, v9
	v_mad_u64_u32 v[12:13], s[4:5], v20, s71, v[10:11]
	v_mov_b32_e32 v9, v12
	v_lshlrev_b64 v[12:13], 3, v[8:9]
	v_and_b32_e32 v4, 3, v0
	v_mov_b32_e32 v7, s65
	v_add_co_u32_e64 v10, s[4:5], s64, v12
	v_addc_co_u32_e64 v7, s[4:5], v7, v13, s[4:5]
	v_lshlrev_b32_e32 v8, 3, v4
	v_mov_b32_e32 v6, 0
	v_add_co_u32_e64 v41, s[4:5], v10, v8
	v_mov_b32_e32 v5, v6
	v_mov_b32_e32 v21, v6
	v_addc_co_u32_e64 v42, s[4:5], 0, v7, s[4:5]
	v_cmp_gt_i64_e64 s[10:11], s[70:71], v[4:5]
	v_cmp_gt_i64_e64 s[4:5], s[70:71], v[20:21]
	s_and_b64 s[60:61], s[10:11], s[4:5]
	v_mad_u64_u32 v[14:15], s[4:5], v4, s70, 0
	v_mov_b32_e32 v10, v15
	v_mad_u64_u32 v[16:17], s[4:5], v4, s71, v[10:11]
	v_mov_b32_e32 v15, v16
	v_lshlrev_b64 v[14:15], 3, v[14:15]
	v_mov_b32_e32 v5, s37
	v_add_co_u32_e64 v7, s[4:5], s36, v14
	v_lshlrev_b64 v[16:17], 3, v[20:21]
	v_addc_co_u32_e64 v10, s[4:5], v5, v15, s[4:5]
	v_add_co_u32_e64 v7, s[4:5], v7, v16
	v_addc_co_u32_e64 v10, s[4:5], v10, v17, s[4:5]
	v_add_co_u32_e64 v18, s[4:5], s36, v12
	v_addc_co_u32_e64 v5, s[4:5], v5, v13, s[4:5]
	s_cmp_eq_u32 s14, 0
	v_add_co_u32_e64 v18, s[4:5], v18, v8
	v_addc_co_u32_e64 v5, s[4:5], 0, v5, s[4:5]
	s_cselect_b64 s[22:23], -1, 0
	s_cmp_lg_u32 s14, 0
	s_cselect_b64 s[36:37], -1, 0
	s_add_u32 s4, s58, s6
	s_addc_u32 s5, s59, s7
	v_lshrrev_b32_e32 v2, 4, v0
	v_writelane_b32 v61, s4, 12
	v_writelane_b32 v61, s5, 13
	v_subrev_co_u32_e64 v44, s[4:5], s43, v2
	v_subb_co_u32_e64 v45, s[4:5], 0, 0, s[4:5]
	v_mov_b32_e32 v19, s79
	v_add_co_u32_e64 v14, s[4:5], s78, v14
	v_addc_co_u32_e64 v15, s[4:5], v19, v15, s[4:5]
	v_cmp_gt_u64_e64 s[8:9], s[70:71], v[20:21]
	v_add_co_u32_e64 v14, s[4:5], v14, v16
	v_addc_co_u32_e64 v15, s[4:5], v15, v17, s[4:5]
	s_and_b64 s[46:47], s[12:13], vcc
	s_and_b64 s[64:65], s[10:11], s[8:9]
	s_mov_b32 s25, s43
	v_add_co_u32_e64 v12, s[4:5], s78, v12
	s_add_u32 s43, s66, 8
	v_addc_co_u32_e64 v13, s[4:5], v19, v13, s[4:5]
	s_addc_u32 s57, s67, 0
	v_add_co_u32_e64 v12, s[4:5], v12, v8
	s_add_u32 s58, s82, -8
	v_and_b32_e32 v1, 15, v0
	v_addc_co_u32_e64 v13, s[4:5], 0, v13, s[4:5]
	s_addc_u32 s59, s83, -1
	v_cmp_eq_u32_e64 s[4:5], 15, v1
	v_and_b32_e32 v1, 0x7f, v0
	s_add_u32 s50, s54, 4
	s_mov_b32 s45, 0
	v_lshlrev_b32_e32 v16, 2, v1
	v_add_co_u32_e64 v17, s[6:7], -1, v1
	v_mov_b32_e32 v21, 0x4800
	v_cmp_ne_u32_e64 s[8:9], 0, v1
	v_cmp_lt_u32_e64 s[10:11], 1, v1
	v_cmp_lt_u32_e64 s[12:13], 3, v1
	;; [unrolled: 1-line block ×6, first 2 shown]
	v_cndmask_b32_e64 v1, v10, v5, s[22:23]
	v_cndmask_b32_e64 v10, v7, v18, s[22:23]
	;; [unrolled: 1-line block ×4, first 2 shown]
	v_or_b32_e32 v12, 0x400, v0
	s_movk_i32 s22, 0x700
	s_addc_u32 s51, s55, 0
	v_or_b32_e32 v46, 0x4800, v16
	v_lshl_add_u32 v47, v17, 2, v21
	v_add_u32_e32 v49, 0x47f8, v16
	v_add_u32_e32 v50, 0x47f0, v16
	;; [unrolled: 1-line block ×6, first 2 shown]
	v_cmp_gt_u32_e64 s[22:23], s22, v12
	v_mov_b32_e32 v13, s51
	v_add_co_u32_e32 v12, vcc, s50, v8
	v_pk_mov_b32 v[16:17], s[26:27], s[26:27] op_sel:[0,1]
	s_mov_b32 s26, s45
	s_mov_b32 s27, s45
	s_movk_i32 s0, 0x80
	v_addc_co_u32_e32 v13, vcc, 0, v13, vcc
	s_movk_i32 s28, 0x200
	v_pk_mov_b32 v[18:19], s[26:27], s[26:27] op_sel:[0,1]
	s_movk_i32 s26, 0x100
	v_cmp_gt_u32_e64 s[0:1], s0, v0
	v_cmp_eq_u32_e64 s[2:3], 0, v0
	v_and_b32_e32 v43, 12, v0
	v_lshl_or_b32 v48, v0, 2, v21
	v_add_co_u32_e32 v14, vcc, 4, v7
	v_cmp_gt_u32_e64 s[28:29], s28, v0
	v_cmp_gt_u32_e64 s[26:27], s26, v0
	v_lshlrev_b32_e32 v0, 3, v20
	v_addc_co_u32_e32 v15, vcc, 0, v5, vcc
	v_writelane_b32 v61, s28, 14
	v_lshl_or_b32 v0, v2, 7, v0
	s_mul_i32 s48, s70, s70
	v_add_co_u32_e32 v55, vcc, 16, v44
	v_writelane_b32 v61, s29, 15
	v_add_u32_e32 v57, 0x4000, v0
	v_and_b32_e32 v0, 0x7e0, v11
	v_lshl_or_b32 v59, v2, 2, v21
	v_mov_b32_e32 v20, 0x80
	v_mov_b32_e32 v3, v6
	v_or_b32_e32 v40, 0x4000, v11
	v_mov_b32_e32 v9, v6
	s_mov_b32 s24, s45
	s_mov_b32 s56, s45
	v_addc_co_u32_e32 v56, vcc, 0, v45, vcc
	v_writelane_b32 v61, s26, 16
	s_lshl_b64 s[54:55], s[70:71], 3
	s_lshl_b64 s[76:77], s[48:49], 3
	v_or_b32_e32 v58, 0x4000, v0
	v_mov_b32_e32 v21, 0
	v_mov_b32_e32 v60, 1
	s_movk_i32 s72, 0x6f
	s_lshl_b64 s[78:79], s[48:49], 7
	s_mov_b64 s[80:81], 0
	v_writelane_b32 v61, s27, 17
	s_branch .LBB139_20
.LBB139_19:                             ;   in Loop: Header=BB139_20 Depth=1
	s_or_b64 exec, exec, s[28:29]
	s_barrier
	ds_read_b64 v[22:23], v6 offset:18944
	v_ashrrev_i32_e32 v0, 31, v7
	v_add_co_u32_e32 v16, vcc, v16, v7
	v_addc_co_u32_e32 v17, vcc, v17, v0, vcc
	s_waitcnt lgkmcnt(0)
	v_add_co_u32_e32 v20, vcc, 0x80, v22
	v_addc_co_u32_e32 v21, vcc, 0, v23, vcc
	v_cmp_le_i64_e32 vcc, s[68:69], v[22:23]
	v_readfirstlane_b32 s80, v22
	v_readfirstlane_b32 s81, v23
	s_barrier
	s_cbranch_vccnz .LBB139_106
.LBB139_20:                             ; =>This Loop Header: Depth=1
                                        ;     Child Loop BB139_33 Depth 2
                                        ;       Child Loop BB139_49 Depth 3
                                        ;         Child Loop BB139_61 Depth 4
                                        ;         Child Loop BB139_57 Depth 4
                                        ;     Child Loop BB139_71 Depth 2
                                        ;     Child Loop BB139_80 Depth 2
	;; [unrolled: 1-line block ×3, first 2 shown]
	s_and_saveexec_b64 s[26:27], s[0:1]
	s_cbranch_execz .LBB139_22
; %bb.21:                               ;   in Loop: Header=BB139_20 Depth=1
	ds_write_b32 v48, v6
.LBB139_22:                             ;   in Loop: Header=BB139_20 Depth=1
	s_or_b64 exec, exec, s[26:27]
	ds_write2st64_b64 v11, v[18:19], v[18:19] offset1:4
	ds_write2st64_b64 v11, v[18:19], v[18:19] offset0:8 offset1:12
	ds_write_b64 v11, v[18:19] offset:8192
	s_and_saveexec_b64 s[26:27], s[22:23]
	s_xor_b64 s[26:27], exec, s[26:27]
	s_cbranch_execz .LBB139_28
; %bb.23:                               ;   in Loop: Header=BB139_20 Depth=1
	v_mov_b32_e32 v7, v6
	ds_write_b64 v11, v[6:7] offset:10240
	s_mov_b64 s[28:29], exec
	v_readlane_b32 s30, v61, 14
	v_readlane_b32 s31, v61, 15
	s_and_b64 s[30:31], s[28:29], s[30:31]
	s_xor_b64 s[28:29], s[30:31], s[28:29]
	s_mov_b64 exec, s[30:31]
	s_cbranch_execz .LBB139_27
; %bb.24:                               ;   in Loop: Header=BB139_20 Depth=1
	ds_write_b64 v11, v[6:7] offset:12288
	s_mov_b64 s[30:31], exec
	v_readlane_b32 s82, v61, 16
	v_readlane_b32 s83, v61, 17
	s_and_b64 s[82:83], s[30:31], s[82:83]
	s_xor_b64 s[30:31], s[82:83], s[30:31]
	s_mov_b64 exec, s[82:83]
	s_cbranch_execz .LBB139_26
; %bb.25:                               ;   in Loop: Header=BB139_20 Depth=1
	v_mov_b32_e32 v7, v6
	ds_write_b64 v11, v[6:7] offset:14336
.LBB139_26:                             ;   in Loop: Header=BB139_20 Depth=1
	s_or_b64 exec, exec, s[30:31]
.LBB139_27:                             ;   in Loop: Header=BB139_20 Depth=1
	s_or_b64 exec, exec, s[28:29]
.LBB139_28:                             ;   in Loop: Header=BB139_20 Depth=1
	s_or_b64 exec, exec, s[26:27]
	s_and_saveexec_b64 s[26:27], s[2:3]
	s_cbranch_execz .LBB139_30
; %bb.29:                               ;   in Loop: Header=BB139_20 Depth=1
	v_pk_mov_b32 v[22:23], s[68:69], s[68:69] op_sel:[0,1]
	ds_write_b64 v6, v[22:23] offset:18944
.LBB139_30:                             ;   in Loop: Header=BB139_20 Depth=1
	s_or_b64 exec, exec, s[26:27]
	s_andn2_b64 vcc, exec, s[46:47]
	v_pk_mov_b32 v[22:23], s[68:69], s[68:69] op_sel:[0,1]
	s_waitcnt lgkmcnt(0)
	s_barrier
	s_cbranch_vccnz .LBB139_66
; %bb.31:                               ;   in Loop: Header=BB139_20 Depth=1
	s_cmp_lg_u64 s[80:81], 0
	v_readlane_b32 s84, v61, 10
	s_cselect_b64 s[82:83], -1, 0
	v_pk_mov_b32 v[22:23], s[68:69], s[68:69] op_sel:[0,1]
	v_readlane_b32 s85, v61, 11
	s_branch .LBB139_33
.LBB139_32:                             ;   in Loop: Header=BB139_33 Depth=2
	s_or_b64 exec, exec, s[26:27]
	s_add_u32 s84, s84, 16
	s_addc_u32 s85, s85, 0
	v_pk_mov_b32 v[24:25], s[74:75], s[74:75] op_sel:[0,1]
	v_cmp_lt_i64_e32 vcc, s[84:85], v[24:25]
	s_cbranch_vccz .LBB139_66
.LBB139_33:                             ;   Parent Loop BB139_20 Depth=1
                                        ; =>  This Loop Header: Depth=2
                                        ;       Child Loop BB139_49 Depth 3
                                        ;         Child Loop BB139_61 Depth 4
                                        ;         Child Loop BB139_57 Depth 4
	v_mov_b32_e32 v0, s85
	v_add_co_u32_e32 v24, vcc, s84, v2
	v_addc_co_u32_e32 v25, vcc, 0, v0, vcc
	v_cmp_gt_i64_e64 s[28:29], s[74:75], v[24:25]
	s_barrier
	s_and_saveexec_b64 s[26:27], s[28:29]
	s_cbranch_execz .LBB139_38
; %bb.34:                               ;   in Loop: Header=BB139_33 Depth=2
	s_and_saveexec_b64 s[30:31], s[64:65]
	s_xor_b64 s[30:31], exec, s[30:31]
	s_cbranch_execz .LBB139_36
; %bb.35:                               ;   in Loop: Header=BB139_33 Depth=2
	v_mul_lo_u32 v0, v25, s48
	v_mul_lo_u32 v5, v24, s49
	v_mad_u64_u32 v[26:27], s[86:87], v24, s48, 0
	v_add3_u32 v27, v27, v5, v0
	v_lshlrev_b64 v[26:27], 3, v[26:27]
	v_add_co_u32_e32 v26, vcc, v41, v26
	v_addc_co_u32_e32 v27, vcc, v42, v27, vcc
	global_load_dwordx2 v[26:27], v[26:27], off
	s_waitcnt vmcnt(0)
	ds_write_b64 v40, v[26:27]
.LBB139_36:                             ;   in Loop: Header=BB139_33 Depth=2
	s_andn2_saveexec_b64 s[30:31], s[30:31]
	s_cbranch_execz .LBB139_38
; %bb.37:                               ;   in Loop: Header=BB139_33 Depth=2
	v_mov_b32_e32 v7, v6
	ds_write_b64 v40, v[6:7]
.LBB139_38:                             ;   in Loop: Header=BB139_33 Depth=2
	s_or_b64 exec, exec, s[26:27]
	v_pk_mov_b32 v[26:27], 0, 0
	v_lshlrev_b64 v[24:25], 3, v[24:25]
	s_waitcnt lgkmcnt(0)
	s_barrier
	s_and_saveexec_b64 s[86:87], s[28:29]
	s_cbranch_execz .LBB139_64
; %bb.39:                               ;   in Loop: Header=BB139_33 Depth=2
	v_mov_b32_e32 v0, s63
	v_add_co_u32_e32 v26, vcc, s62, v24
	v_addc_co_u32_e32 v27, vcc, v0, v25, vcc
	global_load_dwordx2 v[28:29], v[26:27], off
	s_and_b64 vcc, exec, s[82:83]
	s_cbranch_vccz .LBB139_41
; %bb.40:                               ;   in Loop: Header=BB139_33 Depth=2
	v_mov_b32_e32 v0, s39
	v_add_co_u32_e32 v26, vcc, s38, v24
	v_addc_co_u32_e32 v27, vcc, v0, v25, vcc
	global_load_dwordx2 v[26:27], v[26:27], off
	s_mov_b64 s[26:27], 0
	s_branch .LBB139_42
.LBB139_41:                             ;   in Loop: Header=BB139_33 Depth=2
	s_mov_b64 s[26:27], -1
                                        ; implicit-def: $vgpr26_vgpr27
.LBB139_42:                             ;   in Loop: Header=BB139_33 Depth=2
	v_mov_b32_e32 v0, s24
	s_waitcnt vmcnt(0)
	v_subrev_co_u32_e32 v28, vcc, s40, v28
	v_subb_co_u32_e32 v29, vcc, v29, v0, vcc
	s_andn2_b64 vcc, exec, s[26:27]
	v_lshlrev_b64 v[28:29], 3, v[28:29]
	s_cbranch_vccnz .LBB139_44
; %bb.43:                               ;   in Loop: Header=BB139_33 Depth=2
	v_mov_b32_e32 v0, s67
	v_add_co_u32_e32 v26, vcc, s66, v28
	v_addc_co_u32_e32 v27, vcc, v0, v29, vcc
	global_load_dwordx2 v[26:27], v[26:27], off
	v_mov_b32_e32 v0, s45
	s_waitcnt vmcnt(0)
	v_subrev_co_u32_e32 v26, vcc, s41, v26
	v_subb_co_u32_e32 v27, vcc, v27, v0, vcc
.LBB139_44:                             ;   in Loop: Header=BB139_33 Depth=2
	v_mov_b32_e32 v0, s57
	v_add_co_u32_e32 v28, vcc, s43, v28
	v_addc_co_u32_e32 v29, vcc, v0, v29, vcc
	global_load_dwordx2 v[28:29], v[28:29], off
	v_mov_b32_e32 v0, s45
	s_waitcnt vmcnt(0)
	v_subrev_co_u32_e32 v28, vcc, s41, v28
	v_subb_co_u32_e32 v29, vcc, v29, v0, vcc
	v_cmp_lt_i64_e32 vcc, v[26:27], v[28:29]
	s_and_saveexec_b64 s[88:89], vcc
	s_cbranch_execz .LBB139_63
; %bb.45:                               ;   in Loop: Header=BB139_33 Depth=2
	v_mad_u64_u32 v[30:31], s[26:27], s54, v26, v[8:9]
	v_mul_lo_u32 v0, s54, v27
	v_mul_lo_u32 v5, s55, v26
	v_add3_u32 v0, v5, v31, v0
	v_pk_mov_b32 v[32:33], s[50:51], s[50:51] op_sel:[0,1]
	v_mul_lo_u32 v5, s71, v30
	v_mul_lo_u32 v0, s70, v0
	v_mad_u64_u32 v[30:31], s[26:27], s70, v30, v[32:33]
	v_add3_u32 v31, v5, v31, v0
	v_mad_u64_u32 v[32:33], s[26:27], s76, v26, v[12:13]
	v_mul_lo_u32 v0, s76, v27
	v_mul_lo_u32 v5, s77, v26
	v_add3_u32 v33, v5, v33, v0
	s_mov_b64 s[90:91], 0
	v_pk_mov_b32 v[34:35], v[26:27], v[26:27] op_sel:[0,1]
	s_branch .LBB139_49
.LBB139_46:                             ;   in Loop: Header=BB139_49 Depth=3
	v_lshlrev_b32_e32 v0, 4, v0
	v_or3_b32 v0, v0, v43, v4
	v_mul_f32_e64 v5, v37, -s35
	v_lshlrev_b32_e32 v0, 3, v0
	v_fmac_f32_e32 v5, s33, v36
	v_mul_f32_e32 v7, s33, v37
	v_fmac_f32_e32 v7, s35, v36
	ds_add_f32 v0, v5
	ds_add_f32 v0, v7 offset:4
.LBB139_47:                             ;   in Loop: Header=BB139_49 Depth=3
	s_or_b64 exec, exec, s[94:95]
	s_or_b64 s[30:31], s[30:31], exec
.LBB139_48:                             ;   in Loop: Header=BB139_49 Depth=3
	s_or_b64 exec, exec, s[92:93]
	v_add_co_u32_e32 v34, vcc, 1, v34
	v_addc_co_u32_e32 v35, vcc, 0, v35, vcc
	v_cmp_ge_i64_e32 vcc, v[34:35], v[28:29]
	s_xor_b64 s[26:27], s[30:31], -1
	s_or_b64 s[26:27], s[26:27], vcc
	v_mov_b32_e32 v0, s77
	v_add_co_u32_e32 v30, vcc, s76, v30
	v_addc_co_u32_e32 v31, vcc, v31, v0, vcc
	s_and_b64 s[26:27], exec, s[26:27]
	v_add_co_u32_e32 v32, vcc, s76, v32
	s_or_b64 s[90:91], s[26:27], s[90:91]
	v_addc_co_u32_e32 v33, vcc, v33, v0, vcc
	s_andn2_b64 exec, exec, s[90:91]
	s_cbranch_execz .LBB139_62
.LBB139_49:                             ;   Parent Loop BB139_20 Depth=1
                                        ;     Parent Loop BB139_33 Depth=2
                                        ; =>    This Loop Header: Depth=3
                                        ;         Child Loop BB139_61 Depth 4
                                        ;         Child Loop BB139_57 Depth 4
	v_lshlrev_b64 v[36:37], 3, v[34:35]
	v_mov_b32_e32 v0, s53
	v_add_co_u32_e32 v36, vcc, s52, v36
	v_addc_co_u32_e32 v37, vcc, v0, v37, vcc
	global_load_dwordx2 v[36:37], v[36:37], off
	v_mov_b32_e32 v0, s45
	s_waitcnt vmcnt(0)
	v_subrev_co_u32_e32 v36, vcc, s41, v36
	v_subb_co_u32_e32 v37, vcc, v37, v0, vcc
	v_cmp_gt_i64_e64 s[30:31], s[80:81], v[36:37]
	v_cmp_ge_i64_e32 vcc, v[36:37], v[20:21]
	s_or_b64 s[26:27], s[30:31], vcc
                                        ; implicit-def: $sgpr30_sgpr31
	s_and_saveexec_b64 s[92:93], s[26:27]
	s_xor_b64 s[26:27], exec, s[92:93]
	s_cbranch_execz .LBB139_53
; %bb.50:                               ;   in Loop: Header=BB139_49 Depth=3
	s_mov_b64 s[30:31], -1
	s_and_saveexec_b64 s[92:93], vcc
; %bb.51:                               ;   in Loop: Header=BB139_49 Depth=3
	v_cmp_lt_i64_e32 vcc, v[36:37], v[22:23]
	v_cndmask_b32_e32 v23, v23, v37, vcc
	v_cndmask_b32_e32 v22, v22, v36, vcc
	s_xor_b64 s[30:31], exec, -1
	v_pk_mov_b32 v[26:27], v[34:35], v[34:35] op_sel:[0,1]
; %bb.52:                               ;   in Loop: Header=BB139_49 Depth=3
	s_or_b64 exec, exec, s[92:93]
	s_and_b64 s[30:31], s[30:31], exec
                                        ; implicit-def: $vgpr36_vgpr37
.LBB139_53:                             ;   in Loop: Header=BB139_49 Depth=3
	s_andn2_saveexec_b64 s[92:93], s[26:27]
	s_cbranch_execz .LBB139_48
; %bb.54:                               ;   in Loop: Header=BB139_49 Depth=3
	v_subrev_u32_e32 v0, s80, v36
	v_lshlrev_b32_e32 v5, 2, v0
	ds_write_b32 v5, v60 offset:18432
	s_and_saveexec_b64 s[94:95], s[60:61]
	s_cbranch_execz .LBB139_47
; %bb.55:                               ;   in Loop: Header=BB139_49 Depth=3
	s_andn2_b64 vcc, exec, s[36:37]
	s_cbranch_vccnz .LBB139_59
; %bb.56:                               ;   in Loop: Header=BB139_49 Depth=3
	v_mov_b32_e32 v36, 0
	v_mov_b32_e32 v5, v57
	s_mov_b64 s[26:27], s[70:71]
	v_pk_mov_b32 v[38:39], v[30:31], v[30:31] op_sel:[0,1]
	v_mov_b32_e32 v37, v36
.LBB139_57:                             ;   Parent Loop BB139_20 Depth=1
                                        ;     Parent Loop BB139_33 Depth=2
                                        ;       Parent Loop BB139_49 Depth=3
                                        ; =>      This Inner Loop Header: Depth=4
	global_load_dwordx2 v[62:63], v[38:39], off offset:-4
	ds_read_b64 v[64:65], v5
	s_add_u32 s26, s26, -1
	v_add_co_u32_e32 v38, vcc, 8, v38
	s_addc_u32 s27, s27, -1
	v_add_u32_e32 v5, 32, v5
	v_addc_co_u32_e32 v39, vcc, 0, v39, vcc
	s_cmp_lg_u64 s[26:27], 0
	s_waitcnt vmcnt(0) lgkmcnt(0)
	v_pk_fma_f32 v[36:37], v[64:65], v[62:63], v[36:37] op_sel_hi:[1,0,1]
	v_pk_fma_f32 v[36:37], v[64:65], v[62:63], v[36:37] op_sel:[1,1,0] op_sel_hi:[0,1,1] neg_lo:[1,0,0]
	s_cbranch_scc1 .LBB139_57
; %bb.58:                               ;   in Loop: Header=BB139_49 Depth=3
	s_branch .LBB139_46
.LBB139_59:                             ;   in Loop: Header=BB139_49 Depth=3
                                        ; implicit-def: $vgpr37
	s_cbranch_execz .LBB139_46
; %bb.60:                               ;   in Loop: Header=BB139_49 Depth=3
	v_mov_b32_e32 v36, 0
	v_mov_b32_e32 v5, v58
	v_pk_mov_b32 v[38:39], v[32:33], v[32:33] op_sel:[0,1]
	s_mov_b64 s[26:27], s[70:71]
	v_mov_b32_e32 v37, v36
.LBB139_61:                             ;   Parent Loop BB139_20 Depth=1
                                        ;     Parent Loop BB139_33 Depth=2
                                        ;       Parent Loop BB139_49 Depth=3
                                        ; =>      This Inner Loop Header: Depth=4
	global_load_dwordx2 v[62:63], v[38:39], off offset:-4
	ds_read_b64 v[64:65], v5
	s_add_u32 s26, s26, -1
	v_mov_b32_e32 v7, s55
	v_add_co_u32_e32 v38, vcc, s54, v38
	s_addc_u32 s27, s27, -1
	v_add_u32_e32 v5, 8, v5
	v_addc_co_u32_e32 v39, vcc, v39, v7, vcc
	s_cmp_eq_u64 s[26:27], 0
	s_waitcnt vmcnt(0) lgkmcnt(0)
	v_pk_fma_f32 v[36:37], v[64:65], v[62:63], v[36:37] op_sel_hi:[1,0,1]
	v_pk_fma_f32 v[36:37], v[64:65], v[62:63], v[36:37] op_sel:[1,1,0] op_sel_hi:[0,1,1] neg_lo:[1,0,0]
	s_cbranch_scc0 .LBB139_61
	s_branch .LBB139_46
.LBB139_62:                             ;   in Loop: Header=BB139_33 Depth=2
	s_or_b64 exec, exec, s[90:91]
.LBB139_63:                             ;   in Loop: Header=BB139_33 Depth=2
	s_or_b64 exec, exec, s[88:89]
.LBB139_64:                             ;   in Loop: Header=BB139_33 Depth=2
	s_or_b64 exec, exec, s[86:87]
	s_waitcnt lgkmcnt(0)
	s_barrier
	s_and_saveexec_b64 s[26:27], s[28:29]
	s_cbranch_execz .LBB139_32
; %bb.65:                               ;   in Loop: Header=BB139_33 Depth=2
	v_mov_b32_e32 v0, s39
	v_add_co_u32_e32 v24, vcc, s38, v24
	v_addc_co_u32_e32 v25, vcc, v0, v25, vcc
	global_store_dwordx2 v[24:25], v[26:27], off
	s_branch .LBB139_32
.LBB139_66:                             ;   in Loop: Header=BB139_20 Depth=1
	v_readlane_b32 s26, v61, 8
	v_readlane_b32 s27, v61, 9
	s_andn2_b64 vcc, exec, s[26:27]
	s_cbranch_vccnz .LBB139_78
; %bb.67:                               ;   in Loop: Header=BB139_20 Depth=1
	v_readlane_b32 s26, v61, 12
	v_readlane_b32 s27, v61, 13
	s_load_dwordx4 s[28:31], s[26:27], 0x0
	s_waitcnt lgkmcnt(0)
	s_sub_u32 s30, s30, s25
	v_mov_b32_e32 v0, s29
	v_add_co_u32_e32 v28, vcc, s28, v44
	s_subb_u32 s31, s31, 0
	v_addc_co_u32_e32 v29, vcc, v0, v45, vcc
	v_cmp_gt_i64_e32 vcc, s[30:31], v[28:29]
	s_and_saveexec_b64 s[82:83], vcc
	s_cbranch_execz .LBB139_77
; %bb.68:                               ;   in Loop: Header=BB139_20 Depth=1
	v_readlane_b32 s84, v61, 0
	v_lshlrev_b64 v[24:25], 3, v[28:29]
	v_readlane_b32 s85, v61, 1
	v_mov_b32_e32 v0, s85
	v_add_co_u32_e32 v24, vcc, s84, v24
	v_addc_co_u32_e32 v25, vcc, v0, v25, vcc
	v_mad_u64_u32 v[26:27], s[26:27], s76, v28, v[14:15]
	v_mul_lo_u32 v0, s76, v29
	v_mul_lo_u32 v5, s77, v28
	v_add3_u32 v27, v5, v27, v0
	v_mov_b32_e32 v0, s29
	v_add_co_u32_e32 v28, vcc, s28, v55
	v_addc_co_u32_e32 v29, vcc, v56, v0, vcc
	s_mov_b64 s[84:85], 0
	v_readlane_b32 s86, v61, 2
	v_readlane_b32 s87, v61, 3
	;; [unrolled: 1-line block ×6, first 2 shown]
	s_branch .LBB139_71
.LBB139_69:                             ;   in Loop: Header=BB139_71 Depth=2
	s_or_b64 exec, exec, s[26:27]
	s_or_b64 s[28:29], s[28:29], exec
.LBB139_70:                             ;   in Loop: Header=BB139_71 Depth=2
	s_or_b64 exec, exec, s[86:87]
	v_cmp_le_i64_e32 vcc, s[30:31], v[28:29]
	s_xor_b64 s[26:27], s[28:29], -1
	s_or_b64 s[26:27], s[26:27], vcc
	v_add_co_u32_e32 v24, vcc, 0x80, v24
	v_addc_co_u32_e32 v25, vcc, 0, v25, vcc
	v_mov_b32_e32 v0, s79
	v_add_co_u32_e32 v26, vcc, s78, v26
	v_addc_co_u32_e32 v27, vcc, v27, v0, vcc
	s_and_b64 s[26:27], exec, s[26:27]
	v_add_co_u32_e32 v28, vcc, 16, v28
	s_or_b64 s[84:85], s[26:27], s[84:85]
	v_addc_co_u32_e32 v29, vcc, 0, v29, vcc
	s_andn2_b64 exec, exec, s[84:85]
	s_cbranch_execz .LBB139_76
.LBB139_71:                             ;   Parent Loop BB139_20 Depth=1
                                        ; =>  This Inner Loop Header: Depth=2
	global_load_dwordx2 v[30:31], v[24:25], off
	v_mov_b32_e32 v0, s56
	s_waitcnt vmcnt(0)
	v_subrev_co_u32_e32 v30, vcc, s25, v30
	v_subb_co_u32_e32 v31, vcc, v31, v0, vcc
	v_cmp_lt_i64_e32 vcc, v[30:31], v[20:21]
	v_cmp_gt_i64_e64 s[28:29], s[80:81], v[30:31]
	s_xor_b64 s[26:27], vcc, -1
	s_or_b64 s[26:27], s[28:29], s[26:27]
                                        ; implicit-def: $sgpr28_sgpr29
	s_and_saveexec_b64 s[86:87], s[26:27]
	s_xor_b64 s[26:27], exec, s[86:87]
; %bb.72:                               ;   in Loop: Header=BB139_71 Depth=2
	v_cmp_lt_i64_e64 s[28:29], v[30:31], v[22:23]
	v_cndmask_b32_e64 v0, v22, v30, s[28:29]
	v_cndmask_b32_e64 v5, v23, v31, s[28:29]
	v_cndmask_b32_e32 v23, v5, v23, vcc
	v_cndmask_b32_e32 v22, v0, v22, vcc
	s_and_b64 s[28:29], vcc, exec
                                        ; implicit-def: $vgpr30
; %bb.73:                               ;   in Loop: Header=BB139_71 Depth=2
	s_andn2_saveexec_b64 s[86:87], s[26:27]
	s_cbranch_execz .LBB139_70
; %bb.74:                               ;   in Loop: Header=BB139_71 Depth=2
	v_subrev_u32_e32 v0, s80, v30
	v_lshlrev_b32_e32 v5, 2, v0
	ds_write_b32 v5, v60 offset:18432
	s_and_saveexec_b64 s[26:27], s[64:65]
	s_cbranch_execz .LBB139_69
; %bb.75:                               ;   in Loop: Header=BB139_71 Depth=2
	global_load_dwordx2 v[30:31], v[26:27], off offset:-4
	v_lshlrev_b32_e32 v0, 4, v0
	v_or3_b32 v0, v0, v43, v4
	v_lshlrev_b32_e32 v0, 3, v0
	s_waitcnt vmcnt(0)
	v_mul_f32_e64 v5, v31, -s44
	v_mul_f32_e32 v7, s34, v31
	v_fmac_f32_e32 v5, s34, v30
	v_fmac_f32_e32 v7, s44, v30
	ds_add_f32 v0, v5
	ds_add_f32 v0, v7 offset:4
	s_branch .LBB139_69
.LBB139_76:                             ;   in Loop: Header=BB139_20 Depth=1
	s_or_b64 exec, exec, s[84:85]
.LBB139_77:                             ;   in Loop: Header=BB139_20 Depth=1
	s_or_b64 exec, exec, s[82:83]
.LBB139_78:                             ;   in Loop: Header=BB139_20 Depth=1
	s_and_saveexec_b64 s[28:29], s[4:5]
	s_cbranch_execz .LBB139_83
; %bb.79:                               ;   in Loop: Header=BB139_20 Depth=1
	s_mov_b64 s[26:27], exec
	s_mov_b64 s[30:31], -1
.LBB139_80:                             ;   Parent Loop BB139_20 Depth=1
                                        ; =>  This Inner Loop Header: Depth=2
	s_ff1_i32_b64 s73, s[26:27]
	v_readlane_b32 s84, v23, s73
	v_readlane_b32 s85, v22, s73
	v_mov_b32_e32 v20, s85
	v_mov_b32_e32 v21, s84
	v_cmp_lt_u64_e32 vcc, s[30:31], v[20:21]
	s_and_b64 s[82:83], vcc, exec
	s_cselect_b32 s31, s31, s84
	s_cselect_b32 s30, s30, s85
	s_lshl_b64 s[82:83], 1, s73
	s_andn2_b64 s[26:27], s[26:27], s[82:83]
	s_cmp_lg_u64 s[26:27], 0
	s_cbranch_scc1 .LBB139_80
; %bb.81:                               ;   in Loop: Header=BB139_20 Depth=1
	v_mbcnt_lo_u32_b32 v0, exec_lo, 0
	v_mbcnt_hi_u32_b32 v0, exec_hi, v0
	v_cmp_eq_u32_e32 vcc, 0, v0
	s_and_saveexec_b64 s[26:27], vcc
	s_xor_b64 s[26:27], exec, s[26:27]
	s_cbranch_execz .LBB139_83
; %bb.82:                               ;   in Loop: Header=BB139_20 Depth=1
	v_pk_mov_b32 v[20:21], s[30:31], s[30:31] op_sel:[0,1]
	ds_min_u64 v6, v[20:21] offset:18944
.LBB139_83:                             ;   in Loop: Header=BB139_20 Depth=1
	s_or_b64 exec, exec, s[28:29]
	s_waitcnt lgkmcnt(0)
	s_barrier
	ds_read_b32 v0, v46
	s_waitcnt lgkmcnt(0)
	s_barrier
	s_and_saveexec_b64 s[26:27], s[8:9]
	s_cbranch_execz .LBB139_85
; %bb.84:                               ;   in Loop: Header=BB139_20 Depth=1
	ds_read_b32 v5, v47
	s_waitcnt lgkmcnt(0)
	v_add_u32_e32 v0, v5, v0
.LBB139_85:                             ;   in Loop: Header=BB139_20 Depth=1
	s_or_b64 exec, exec, s[26:27]
	s_barrier
	ds_write_b32 v46, v0
	s_waitcnt lgkmcnt(0)
	s_barrier
	s_and_saveexec_b64 s[26:27], s[10:11]
	s_cbranch_execz .LBB139_87
; %bb.86:                               ;   in Loop: Header=BB139_20 Depth=1
	ds_read_b32 v5, v49
	s_waitcnt lgkmcnt(0)
	v_add_u32_e32 v0, v5, v0
.LBB139_87:                             ;   in Loop: Header=BB139_20 Depth=1
	s_or_b64 exec, exec, s[26:27]
	s_barrier
	ds_write_b32 v46, v0
	;; [unrolled: 12-line block ×7, first 2 shown]
	s_waitcnt lgkmcnt(0)
	s_barrier
	ds_read_b32 v7, v6 offset:18940
	v_mov_b32_e32 v5, 0
	s_and_saveexec_b64 s[26:27], s[6:7]
	s_cbranch_execz .LBB139_99
; %bb.98:                               ;   in Loop: Header=BB139_20 Depth=1
	ds_read_b32 v5, v47
.LBB139_99:                             ;   in Loop: Header=BB139_20 Depth=1
	s_or_b64 exec, exec, s[26:27]
	s_waitcnt lgkmcnt(0)
	v_cmp_eq_u32_e32 vcc, v0, v5
	s_and_b64 s[28:29], s[6:7], vcc
	s_barrier
	s_and_saveexec_b64 s[26:27], s[28:29]
	s_cbranch_execz .LBB139_101
; %bb.100:                              ;   in Loop: Header=BB139_20 Depth=1
	ds_write_b32 v46, v6
.LBB139_101:                            ;   in Loop: Header=BB139_20 Depth=1
	s_or_b64 exec, exec, s[26:27]
	v_add_co_u32_e32 v22, vcc, -1, v16
	s_add_u32 s26, s42, s80
	v_addc_co_u32_e32 v23, vcc, -1, v17, vcc
	s_addc_u32 s27, 0, s81
	s_mov_b64 s[28:29], 0
	v_mov_b32_e32 v24, v59
	v_mov_b32_e32 v25, v11
	v_pk_mov_b32 v[20:21], v[2:3], v[2:3] op_sel:[0,1]
	s_waitcnt lgkmcnt(0)
	s_barrier
	s_branch .LBB139_103
.LBB139_102:                            ;   in Loop: Header=BB139_103 Depth=2
	s_or_b64 exec, exec, s[30:31]
	v_add_co_u32_e32 v20, vcc, 16, v20
	v_addc_co_u32_e32 v21, vcc, 0, v21, vcc
	v_add_u32_e32 v0, -16, v20
	v_cmp_lt_u32_e32 vcc, s72, v0
	v_add_u32_e32 v25, 0x800, v25
	s_or_b64 s[28:29], vcc, s[28:29]
	v_add_u32_e32 v24, 64, v24
	s_andn2_b64 exec, exec, s[28:29]
	s_cbranch_execz .LBB139_19
.LBB139_103:                            ;   Parent Loop BB139_20 Depth=1
                                        ; =>  This Inner Loop Header: Depth=2
	ds_read_b32 v0, v24
	s_waitcnt lgkmcnt(0)
	v_cmp_ne_u32_e32 vcc, 0, v0
	s_and_saveexec_b64 s[30:31], vcc
	s_cbranch_execz .LBB139_102
; %bb.104:                              ;   in Loop: Header=BB139_103 Depth=2
	v_mov_b32_e32 v27, s27
	v_add_co_u32_e32 v26, vcc, s26, v20
	v_addc_co_u32_e32 v27, vcc, v27, v21, vcc
	v_ashrrev_i32_e32 v5, 31, v0
	v_add_co_u32_e32 v28, vcc, v16, v0
	v_addc_co_u32_e32 v29, vcc, v17, v5, vcc
	v_lshlrev_b64 v[28:29], 3, v[28:29]
	v_mov_b32_e32 v30, s59
	v_add_co_u32_e32 v28, vcc, s58, v28
	v_addc_co_u32_e32 v29, vcc, v30, v29, vcc
	global_store_dwordx2 v[28:29], v[26:27], off
	s_and_b64 exec, exec, s[64:65]
	s_cbranch_execz .LBB139_102
; %bb.105:                              ;   in Loop: Header=BB139_103 Depth=2
	v_add_co_u32_e32 v0, vcc, v22, v0
	v_addc_co_u32_e32 v5, vcc, v23, v5, vcc
	v_mul_lo_u32 v5, v5, s48
	v_mul_lo_u32 v28, v0, s49
	v_mad_u64_u32 v[26:27], s[80:81], v0, s48, 0
	v_add3_u32 v27, v27, v28, v5
	ds_read_b64 v[28:29], v25
	v_lshlrev_b64 v[26:27], 3, v[26:27]
	v_add_co_u32_e32 v26, vcc, v10, v26
	v_addc_co_u32_e32 v27, vcc, v1, v27, vcc
	s_waitcnt lgkmcnt(0)
	global_store_dwordx2 v[26:27], v[28:29], off
	s_branch .LBB139_102
.LBB139_106:
	s_endpgm
	.section	.rodata,"a",@progbits
	.p2align	6, 0x0
	.amdhsa_kernel _ZN9rocsparseL38bsrgemm_block_per_row_atomic_multipassILj256ELj128ELj4Ell21rocsparse_complex_numIfEEEv20rocsparse_direction_T3_S4_PKS4_S6_NS_24const_host_device_scalarIT4_EEPKT2_S6_PKS8_SC_S6_SE_S9_SC_S6_SE_SC_PS4_PS8_PSA_21rocsparse_index_base_SI_SI_SI_bbb
		.amdhsa_group_segment_fixed_size 18952
		.amdhsa_private_segment_fixed_size 0
		.amdhsa_kernarg_size 180
		.amdhsa_user_sgpr_count 6
		.amdhsa_user_sgpr_private_segment_buffer 1
		.amdhsa_user_sgpr_dispatch_ptr 0
		.amdhsa_user_sgpr_queue_ptr 0
		.amdhsa_user_sgpr_kernarg_segment_ptr 1
		.amdhsa_user_sgpr_dispatch_id 0
		.amdhsa_user_sgpr_flat_scratch_init 0
		.amdhsa_user_sgpr_kernarg_preload_length 0
		.amdhsa_user_sgpr_kernarg_preload_offset 0
		.amdhsa_user_sgpr_private_segment_size 0
		.amdhsa_uses_dynamic_stack 0
		.amdhsa_system_sgpr_private_segment_wavefront_offset 0
		.amdhsa_system_sgpr_workgroup_id_x 1
		.amdhsa_system_sgpr_workgroup_id_y 0
		.amdhsa_system_sgpr_workgroup_id_z 0
		.amdhsa_system_sgpr_workgroup_info 0
		.amdhsa_system_vgpr_workitem_id 0
		.amdhsa_next_free_vgpr 66
		.amdhsa_next_free_sgpr 96
		.amdhsa_accum_offset 68
		.amdhsa_reserve_vcc 1
		.amdhsa_reserve_flat_scratch 0
		.amdhsa_float_round_mode_32 0
		.amdhsa_float_round_mode_16_64 0
		.amdhsa_float_denorm_mode_32 3
		.amdhsa_float_denorm_mode_16_64 3
		.amdhsa_dx10_clamp 1
		.amdhsa_ieee_mode 1
		.amdhsa_fp16_overflow 0
		.amdhsa_tg_split 0
		.amdhsa_exception_fp_ieee_invalid_op 0
		.amdhsa_exception_fp_denorm_src 0
		.amdhsa_exception_fp_ieee_div_zero 0
		.amdhsa_exception_fp_ieee_overflow 0
		.amdhsa_exception_fp_ieee_underflow 0
		.amdhsa_exception_fp_ieee_inexact 0
		.amdhsa_exception_int_div_zero 0
	.end_amdhsa_kernel
	.section	.text._ZN9rocsparseL38bsrgemm_block_per_row_atomic_multipassILj256ELj128ELj4Ell21rocsparse_complex_numIfEEEv20rocsparse_direction_T3_S4_PKS4_S6_NS_24const_host_device_scalarIT4_EEPKT2_S6_PKS8_SC_S6_SE_S9_SC_S6_SE_SC_PS4_PS8_PSA_21rocsparse_index_base_SI_SI_SI_bbb,"axG",@progbits,_ZN9rocsparseL38bsrgemm_block_per_row_atomic_multipassILj256ELj128ELj4Ell21rocsparse_complex_numIfEEEv20rocsparse_direction_T3_S4_PKS4_S6_NS_24const_host_device_scalarIT4_EEPKT2_S6_PKS8_SC_S6_SE_S9_SC_S6_SE_SC_PS4_PS8_PSA_21rocsparse_index_base_SI_SI_SI_bbb,comdat
.Lfunc_end139:
	.size	_ZN9rocsparseL38bsrgemm_block_per_row_atomic_multipassILj256ELj128ELj4Ell21rocsparse_complex_numIfEEEv20rocsparse_direction_T3_S4_PKS4_S6_NS_24const_host_device_scalarIT4_EEPKT2_S6_PKS8_SC_S6_SE_S9_SC_S6_SE_SC_PS4_PS8_PSA_21rocsparse_index_base_SI_SI_SI_bbb, .Lfunc_end139-_ZN9rocsparseL38bsrgemm_block_per_row_atomic_multipassILj256ELj128ELj4Ell21rocsparse_complex_numIfEEEv20rocsparse_direction_T3_S4_PKS4_S6_NS_24const_host_device_scalarIT4_EEPKT2_S6_PKS8_SC_S6_SE_S9_SC_S6_SE_SC_PS4_PS8_PSA_21rocsparse_index_base_SI_SI_SI_bbb
                                        ; -- End function
	.section	.AMDGPU.csdata,"",@progbits
; Kernel info:
; codeLenInByte = 4204
; NumSgprs: 100
; NumVgprs: 66
; NumAgprs: 0
; TotalNumVgprs: 66
; ScratchSize: 0
; MemoryBound: 0
; FloatMode: 240
; IeeeMode: 1
; LDSByteSize: 18952 bytes/workgroup (compile time only)
; SGPRBlocks: 12
; VGPRBlocks: 8
; NumSGPRsForWavesPerEU: 100
; NumVGPRsForWavesPerEU: 66
; AccumOffset: 68
; Occupancy: 3
; WaveLimiterHint : 1
; COMPUTE_PGM_RSRC2:SCRATCH_EN: 0
; COMPUTE_PGM_RSRC2:USER_SGPR: 6
; COMPUTE_PGM_RSRC2:TRAP_HANDLER: 0
; COMPUTE_PGM_RSRC2:TGID_X_EN: 1
; COMPUTE_PGM_RSRC2:TGID_Y_EN: 0
; COMPUTE_PGM_RSRC2:TGID_Z_EN: 0
; COMPUTE_PGM_RSRC2:TIDIG_COMP_CNT: 0
; COMPUTE_PGM_RSRC3_GFX90A:ACCUM_OFFSET: 16
; COMPUTE_PGM_RSRC3_GFX90A:TG_SPLIT: 0
	.section	.text._ZN9rocsparseL23bsrgemm_fill_wf_per_rowILj256ELj64ELj8ELj137ELj8Ell21rocsparse_complex_numIfEEEv20rocsparse_direction_T5_S4_S4_PKS4_S6_NS_24const_host_device_scalarIT6_EEPKT4_S6_PKS8_SC_S6_SE_S9_SC_S6_SE_SC_PS4_PS8_21rocsparse_index_base_SH_SH_SH_bbb,"axG",@progbits,_ZN9rocsparseL23bsrgemm_fill_wf_per_rowILj256ELj64ELj8ELj137ELj8Ell21rocsparse_complex_numIfEEEv20rocsparse_direction_T5_S4_S4_PKS4_S6_NS_24const_host_device_scalarIT6_EEPKT4_S6_PKS8_SC_S6_SE_S9_SC_S6_SE_SC_PS4_PS8_21rocsparse_index_base_SH_SH_SH_bbb,comdat
	.globl	_ZN9rocsparseL23bsrgemm_fill_wf_per_rowILj256ELj64ELj8ELj137ELj8Ell21rocsparse_complex_numIfEEEv20rocsparse_direction_T5_S4_S4_PKS4_S6_NS_24const_host_device_scalarIT6_EEPKT4_S6_PKS8_SC_S6_SE_S9_SC_S6_SE_SC_PS4_PS8_21rocsparse_index_base_SH_SH_SH_bbb ; -- Begin function _ZN9rocsparseL23bsrgemm_fill_wf_per_rowILj256ELj64ELj8ELj137ELj8Ell21rocsparse_complex_numIfEEEv20rocsparse_direction_T5_S4_S4_PKS4_S6_NS_24const_host_device_scalarIT6_EEPKT4_S6_PKS8_SC_S6_SE_S9_SC_S6_SE_SC_PS4_PS8_21rocsparse_index_base_SH_SH_SH_bbb
	.p2align	8
	.type	_ZN9rocsparseL23bsrgemm_fill_wf_per_rowILj256ELj64ELj8ELj137ELj8Ell21rocsparse_complex_numIfEEEv20rocsparse_direction_T5_S4_S4_PKS4_S6_NS_24const_host_device_scalarIT6_EEPKT4_S6_PKS8_SC_S6_SE_S9_SC_S6_SE_SC_PS4_PS8_21rocsparse_index_base_SH_SH_SH_bbb,@function
_ZN9rocsparseL23bsrgemm_fill_wf_per_rowILj256ELj64ELj8ELj137ELj8Ell21rocsparse_complex_numIfEEEv20rocsparse_direction_T5_S4_S4_PKS4_S6_NS_24const_host_device_scalarIT6_EEPKT4_S6_PKS8_SC_S6_SE_S9_SC_S6_SE_SC_PS4_PS8_21rocsparse_index_base_SH_SH_SH_bbb: ; @_ZN9rocsparseL23bsrgemm_fill_wf_per_rowILj256ELj64ELj8ELj137ELj8Ell21rocsparse_complex_numIfEEEv20rocsparse_direction_T5_S4_S4_PKS4_S6_NS_24const_host_device_scalarIT6_EEPKT4_S6_PKS8_SC_S6_SE_S9_SC_S6_SE_SC_PS4_PS8_21rocsparse_index_base_SH_SH_SH_bbb
; %bb.0:
	s_load_dwordx8 s[8:15], s[4:5], 0x78
	s_load_dwordx8 s[16:23], s[4:5], 0x58
	s_load_dword s7, s[4:5], 0xb0
	s_load_dwordx4 s[44:47], s[4:5], 0x20
	s_load_dwordx8 s[24:31], s[4:5], 0x38
	s_load_dwordx2 s[34:35], s[4:5], 0x98
	s_load_dwordx4 s[36:39], s[4:5], 0xa0
	s_waitcnt lgkmcnt(0)
	s_bitcmp1_b32 s7, 0
	s_cselect_b64 s[50:51], -1, 0
	s_bitcmp1_b32 s7, 16
	s_cselect_b64 s[0:1], -1, 0
	s_xor_b64 s[0:1], s[0:1], -1
	v_cndmask_b32_e64 v1, 0, 1, s[0:1]
	s_mov_b32 s3, 0
	s_bitcmp0_b32 s7, 0
	v_cmp_ne_u32_e64 s[0:1], 1, v1
	s_mov_b32 s68, 0
	s_cbranch_scc1 .LBB140_5
; %bb.1:
	s_load_dwordx2 s[2:3], s[4:5], 0x30
	s_and_b64 vcc, exec, s[0:1]
	s_waitcnt lgkmcnt(0)
	s_mov_b32 s68, s2
	s_cbranch_vccnz .LBB140_3
; %bb.2:
	s_load_dword s68, s[2:3], 0x0
.LBB140_3:
	s_and_b64 vcc, exec, s[0:1]
	s_cbranch_vccnz .LBB140_5
; %bb.4:
	s_load_dword s3, s[2:3], 0x4
.LBB140_5:
	s_bitcmp1_b32 s7, 8
	s_cselect_b64 s[48:49], -1, 0
	s_bfe_u32 s2, s7, 0x10008
	s_mov_b32 s64, 0
	s_cmp_eq_u32 s2, 0
	s_mov_b32 s33, 0
	s_cbranch_scc1 .LBB140_11
; %bb.6:
	s_and_b64 vcc, exec, s[0:1]
	s_mov_b32 s33, s20
	s_cbranch_vccnz .LBB140_8
; %bb.7:
	s_load_dword s33, s[20:21], 0x0
.LBB140_8:
	s_and_b64 vcc, exec, s[0:1]
	s_cbranch_vccnz .LBB140_10
; %bb.9:
	s_load_dword s21, s[20:21], 0x4
.LBB140_10:
	s_waitcnt lgkmcnt(0)
	s_mov_b32 s64, s21
.LBB140_11:
	s_load_dwordx4 s[40:43], s[4:5], 0x8
	s_load_dwordx2 s[20:21], s[4:5], 0x18
	v_and_b32_e32 v1, 63, v0
	v_and_b32_e32 v2, 0xc0, v0
	v_lshrrev_b32_e32 v37, 6, v0
	v_or_b32_e32 v36, 0x4000, v2
	v_cmp_gt_u32_e32 vcc, 8, v1
	s_and_saveexec_b64 s[0:1], vcc
	s_cbranch_execz .LBB140_13
; %bb.12:
	v_lshl_add_u32 v4, v1, 3, v36
	s_waitcnt lgkmcnt(0)
	v_pk_mov_b32 v[2:3], s[42:43], s[42:43] op_sel:[0,1]
	ds_write_b64 v4, v[2:3]
.LBB140_13:
	s_or_b64 exec, exec, s[0:1]
	v_lshlrev_b32_e32 v38, 12, v37
	v_mov_b32_e32 v2, 0
	v_or_b32_e32 v4, 0xffffffc0, v1
	v_lshl_or_b32 v5, v1, 3, v38
	s_mov_b64 s[0:1], 0
	v_mov_b32_e32 v3, v2
	s_movk_i32 s2, 0x1bf
.LBB140_14:                             ; =>This Inner Loop Header: Depth=1
	v_add_u32_e32 v4, 64, v4
	v_cmp_lt_u32_e32 vcc, s2, v4
	ds_write_b64 v5, v[2:3]
	s_or_b64 s[0:1], vcc, s[0:1]
	v_add_u32_e32 v5, 0x200, v5
	s_andn2_b64 exec, exec, s[0:1]
	s_cbranch_execnz .LBB140_14
; %bb.15:
	s_or_b64 exec, exec, s[0:1]
	v_lshl_or_b32 v2, s6, 2, v37
	v_mov_b32_e32 v3, 0
	s_waitcnt lgkmcnt(0)
	v_cmp_gt_i64_e32 vcc, s[40:41], v[2:3]
	s_barrier
	s_and_saveexec_b64 s[0:1], vcc
	s_cbranch_execz .LBB140_69
; %bb.16:
	s_cmp_eq_u64 s[46:47], 0
	s_cbranch_scc1 .LBB140_18
; %bb.17:
	s_load_dwordx2 s[0:1], s[44:45], 0x0
	v_lshlrev_b64 v[2:3], 3, v[2:3]
	s_waitcnt lgkmcnt(0)
	s_lshl_b64 s[0:1], s[0:1], 3
	s_add_u32 s0, s46, s0
	s_addc_u32 s1, s47, s1
	v_mov_b32_e32 v4, s1
	v_add_co_u32_e32 v2, vcc, s0, v2
	v_addc_co_u32_e32 v3, vcc, v4, v3, vcc
	global_load_dwordx2 v[2:3], v[2:3], off
.LBB140_18:
	s_load_dword s67, s[4:5], 0x0
	v_lshrrev_b32_e32 v8, 3, v1
	v_lshlrev_b32_e32 v1, 6, v0
	v_and_b32_e32 v6, 7, v0
	v_and_b32_e32 v1, 0x3000, v1
	s_andn2_b64 vcc, exec, s[50:51]
	s_waitcnt vmcnt(0)
	v_lshlrev_b64 v[10:11], 3, v[2:3]
	s_mul_i32 s65, s20, s21
	s_mul_hi_u32 s66, s20, s20
	s_mul_i32 s4, s20, s20
	s_cbranch_vccnz .LBB140_46
; %bb.19:
	v_mov_b32_e32 v3, s25
	v_add_co_u32_e32 v2, vcc, s24, v10
	v_addc_co_u32_e32 v3, vcc, v3, v11, vcc
	global_load_dwordx4 v[2:5], v[2:3], off
	s_waitcnt vmcnt(0)
	v_cmp_lt_i64_e32 vcc, v[2:3], v[4:5]
	s_and_saveexec_b64 s[6:7], vcc
	s_cbranch_execz .LBB140_45
; %bb.20:
	v_subrev_co_u32_e32 v12, vcc, s36, v4
	v_subbrev_co_u32_e32 v13, vcc, 0, v5, vcc
	v_subrev_co_u32_e32 v14, vcc, s36, v2
	v_mov_b32_e32 v7, 0
	v_subbrev_co_u32_e32 v15, vcc, 0, v3, vcc
	v_mov_b32_e32 v9, v7
	v_cmp_gt_i64_e32 vcc, s[20:21], v[6:7]
	v_cmp_gt_u64_e64 s[0:1], s[20:21], v[8:9]
	s_waitcnt lgkmcnt(0)
	s_cmp_lg_u32 s67, 0
	s_cselect_b64 s[44:45], -1, 0
	s_and_b64 s[24:25], vcc, s[0:1]
	s_add_u32 s18, s18, 4
	v_and_b32_e32 v2, 56, v0
	s_addc_u32 s19, s19, 0
	s_add_i32 s0, s66, s65
	v_lshlrev_b32_e32 v16, 3, v6
	v_lshlrev_b32_e32 v2, 3, v2
	s_add_i32 s5, s0, s65
	v_add3_u32 v9, v1, v16, v2
	v_mul_lo_u32 v4, s5, v14
	v_mul_lo_u32 v5, s4, v15
	v_mad_u64_u32 v[2:3], s[0:1], s4, v14, 0
	v_add3_u32 v3, v3, v5, v4
	v_lshlrev_b64 v[2:3], 3, v[2:3]
	v_lshlrev_b32_e32 v4, 3, v8
	v_add_co_u32_e32 v2, vcc, v2, v4
	v_addc_co_u32_e32 v3, vcc, 0, v3, vcc
	v_mov_b32_e32 v5, s29
	v_add_co_u32_e32 v18, vcc, s28, v2
	v_mov_b32_e32 v17, v7
	v_addc_co_u32_e32 v19, vcc, v5, v3, vcc
	v_mul_lo_u32 v5, s21, v14
	v_mul_lo_u32 v7, s20, v15
	v_mad_u64_u32 v[2:3], s[0:1], s20, v14, 0
	v_add3_u32 v3, v3, v7, v5
	v_lshlrev_b64 v[2:3], 3, v[2:3]
	v_add_co_u32_e32 v4, vcc, v2, v4
	v_addc_co_u32_e32 v2, vcc, 0, v3, vcc
	v_mul_lo_u32 v5, s20, v2
	v_pk_mov_b32 v[2:3], s[28:29], s[28:29] op_sel:[0,1]
	v_mad_u64_u32 v[20:21], s[0:1], s20, v4, v[2:3]
	v_mov_b32_e32 v2, s19
	v_add_co_u32_e32 v22, vcc, s18, v16
	s_mov_b32 s46, 0
	s_mov_b32 s2, s36
	;; [unrolled: 1-line block ×3, first 2 shown]
	s_lshl_b64 s[36:37], s[20:21], 3
	v_mul_lo_u32 v7, s21, v4
	v_addc_co_u32_e32 v23, vcc, 0, v2, vcc
	v_cndmask_b32_e64 v2, 0, 1, s[44:45]
	s_mov_b32 s70, s46
	s_lshl_b64 s[40:41], s[4:5], 3
	v_add3_u32 v21, v7, v21, v5
	s_mov_b64 s[28:29], 0
	v_mov_b32_e32 v7, s27
	v_mov_b32_e32 v39, s46
	;; [unrolled: 1-line block ×3, first 2 shown]
	v_cmp_ne_u32_e64 s[0:1], 1, v2
	v_mov_b32_e32 v41, s37
	s_branch .LBB140_22
.LBB140_21:                             ;   in Loop: Header=BB140_22 Depth=1
	s_or_b64 exec, exec, s[44:45]
	v_add_co_u32_e32 v14, vcc, 1, v14
	v_addc_co_u32_e32 v15, vcc, 0, v15, vcc
	v_mov_b32_e32 v2, s41
	v_add_co_u32_e32 v18, vcc, s40, v18
	v_addc_co_u32_e32 v19, vcc, v19, v2, vcc
	v_cmp_ge_i64_e32 vcc, v[14:15], v[12:13]
	s_or_b64 s[28:29], vcc, s[28:29]
	v_add_co_u32_e32 v20, vcc, s40, v20
	v_addc_co_u32_e32 v21, vcc, v21, v2, vcc
	s_andn2_b64 exec, exec, s[28:29]
	s_cbranch_execz .LBB140_45
.LBB140_22:                             ; =>This Loop Header: Depth=1
                                        ;     Child Loop BB140_25 Depth 2
                                        ;       Child Loop BB140_32 Depth 3
                                        ;       Child Loop BB140_28 Depth 3
	;; [unrolled: 1-line block ×3, first 2 shown]
	v_lshlrev_b64 v[2:3], 3, v[14:15]
	v_add_co_u32_e32 v2, vcc, s26, v2
	v_addc_co_u32_e32 v3, vcc, v7, v3, vcc
	global_load_dwordx2 v[2:3], v[2:3], off
	s_waitcnt vmcnt(0)
	v_subrev_co_u32_e32 v2, vcc, s2, v2
	v_subb_co_u32_e32 v3, vcc, v3, v39, vcc
	v_lshlrev_b64 v[2:3], 3, v[2:3]
	v_add_co_u32_e32 v2, vcc, s30, v2
	v_addc_co_u32_e32 v3, vcc, v40, v3, vcc
	global_load_dwordx4 v[2:5], v[2:3], off
	s_waitcnt vmcnt(0)
	v_cmp_lt_i64_e32 vcc, v[2:3], v[4:5]
	s_and_saveexec_b64 s[44:45], vcc
	s_cbranch_execz .LBB140_21
; %bb.23:                               ;   in Loop: Header=BB140_22 Depth=1
	v_mov_b32_e32 v24, s70
	v_subrev_co_u32_e32 v4, vcc, s69, v4
	v_subb_co_u32_e32 v5, vcc, v5, v24, vcc
	v_subrev_co_u32_e32 v2, vcc, s69, v2
	v_subb_co_u32_e32 v3, vcc, v3, v24, vcc
	v_mul_lo_u32 v26, s36, v3
	v_mul_lo_u32 v27, s37, v2
	v_mad_u64_u32 v[24:25], s[46:47], s36, v2, v[16:17]
	v_add3_u32 v25, v27, v25, v26
	v_pk_mov_b32 v[26:27], s[18:19], s[18:19] op_sel:[0,1]
	v_mul_lo_u32 v28, s20, v25
	v_mul_lo_u32 v29, s21, v24
	v_mad_u64_u32 v[24:25], s[46:47], s20, v24, v[26:27]
	v_add3_u32 v25, v29, v25, v28
	v_mul_lo_u32 v28, s40, v3
	v_mul_lo_u32 v29, s41, v2
	v_mad_u64_u32 v[26:27], s[46:47], s40, v2, v[22:23]
	v_add3_u32 v27, v29, v27, v28
	s_mov_b64 s[46:47], 0
	s_branch .LBB140_25
.LBB140_24:                             ;   in Loop: Header=BB140_25 Depth=2
	s_or_b64 exec, exec, s[50:51]
	v_add_co_u32_e32 v2, vcc, 1, v2
	v_addc_co_u32_e32 v3, vcc, 0, v3, vcc
	v_mov_b32_e32 v28, s41
	v_add_co_u32_e32 v24, vcc, s40, v24
	v_addc_co_u32_e32 v25, vcc, v25, v28, vcc
	v_cmp_ge_i64_e32 vcc, v[2:3], v[4:5]
	s_or_b64 s[46:47], vcc, s[46:47]
	v_add_co_u32_e32 v26, vcc, s40, v26
	v_addc_co_u32_e32 v27, vcc, v27, v28, vcc
	s_andn2_b64 exec, exec, s[46:47]
	s_cbranch_execz .LBB140_21
.LBB140_25:                             ;   Parent Loop BB140_22 Depth=1
                                        ; =>  This Loop Header: Depth=2
                                        ;       Child Loop BB140_32 Depth 3
                                        ;       Child Loop BB140_28 Depth 3
	;; [unrolled: 1-line block ×3, first 2 shown]
	s_and_saveexec_b64 s[50:51], s[24:25]
	s_cbranch_execz .LBB140_24
; %bb.26:                               ;   in Loop: Header=BB140_25 Depth=2
	v_lshlrev_b64 v[28:29], 3, v[2:3]
	v_mov_b32_e32 v30, s17
	v_add_co_u32_e32 v28, vcc, s16, v28
	v_addc_co_u32_e32 v29, vcc, v30, v29, vcc
	global_load_dwordx2 v[28:29], v[28:29], off
	s_and_b64 vcc, exec, s[0:1]
	s_cbranch_vccnz .LBB140_30
; %bb.27:                               ;   in Loop: Header=BB140_25 Depth=2
	v_mov_b32_e32 v30, 0
	v_pk_mov_b32 v[32:33], v[18:19], v[18:19] op_sel:[0,1]
	s_mov_b64 s[52:53], s[20:21]
	v_pk_mov_b32 v[34:35], v[24:25], v[24:25] op_sel:[0,1]
	v_mov_b32_e32 v31, v30
.LBB140_28:                             ;   Parent Loop BB140_22 Depth=1
                                        ;     Parent Loop BB140_25 Depth=2
                                        ; =>    This Inner Loop Header: Depth=3
	global_load_dwordx2 v[42:43], v[34:35], off offset:-4
	global_load_dwordx2 v[44:45], v[32:33], off
	v_add_co_u32_e32 v34, vcc, 8, v34
	v_addc_co_u32_e32 v35, vcc, 0, v35, vcc
	s_add_u32 s52, s52, -1
	v_add_co_u32_e32 v32, vcc, s36, v32
	s_addc_u32 s53, s53, -1
	v_addc_co_u32_e32 v33, vcc, v33, v41, vcc
	s_cmp_lg_u64 s[52:53], 0
	s_waitcnt vmcnt(0)
	v_pk_fma_f32 v[30:31], v[44:45], v[42:43], v[30:31] op_sel_hi:[1,0,1]
	v_pk_fma_f32 v[30:31], v[44:45], v[42:43], v[30:31] op_sel:[1,1,0] op_sel_hi:[0,1,1] neg_lo:[1,0,0]
	s_cbranch_scc1 .LBB140_28
; %bb.29:                               ;   in Loop: Header=BB140_25 Depth=2
	s_branch .LBB140_33
.LBB140_30:                             ;   in Loop: Header=BB140_25 Depth=2
                                        ; implicit-def: $vgpr31
	s_cbranch_execz .LBB140_33
; %bb.31:                               ;   in Loop: Header=BB140_25 Depth=2
	v_mov_b32_e32 v30, 0
	v_pk_mov_b32 v[32:33], v[26:27], v[26:27] op_sel:[0,1]
	s_mov_b64 s[52:53], s[20:21]
	v_pk_mov_b32 v[34:35], v[20:21], v[20:21] op_sel:[0,1]
	v_mov_b32_e32 v31, v30
.LBB140_32:                             ;   Parent Loop BB140_22 Depth=1
                                        ;     Parent Loop BB140_25 Depth=2
                                        ; =>    This Inner Loop Header: Depth=3
	global_load_dwordx2 v[42:43], v[32:33], off offset:-4
	global_load_dwordx2 v[44:45], v[34:35], off
	v_add_co_u32_e32 v34, vcc, 8, v34
	v_addc_co_u32_e32 v35, vcc, 0, v35, vcc
	s_add_u32 s52, s52, -1
	v_add_co_u32_e32 v32, vcc, s36, v32
	s_addc_u32 s53, s53, -1
	v_addc_co_u32_e32 v33, vcc, v33, v41, vcc
	s_cmp_eq_u64 s[52:53], 0
	s_waitcnt vmcnt(0)
	v_pk_fma_f32 v[30:31], v[44:45], v[42:43], v[30:31] op_sel_hi:[1,0,1]
	v_pk_fma_f32 v[30:31], v[44:45], v[42:43], v[30:31] op_sel:[1,1,0] op_sel_hi:[0,1,1] neg_lo:[1,0,0]
	s_cbranch_scc0 .LBB140_32
.LBB140_33:                             ;   in Loop: Header=BB140_25 Depth=2
	v_mov_b32_e32 v32, s70
	s_waitcnt vmcnt(0)
	v_subrev_co_u32_e32 v28, vcc, s69, v28
	v_mul_f32_e64 v34, v31, -s3
	v_mul_f32_e32 v31, s68, v31
	v_subb_co_u32_e32 v29, vcc, v29, v32, vcc
	v_fmac_f32_e32 v34, s68, v30
	v_fmac_f32_e32 v31, s3, v30
	v_and_b32_e32 v30, 7, v28
	s_mov_b64 s[52:53], 0
	s_branch .LBB140_35
.LBB140_34:                             ;   in Loop: Header=BB140_35 Depth=3
	s_or_b64 exec, exec, s[54:55]
	s_xor_b64 s[54:55], s[56:57], -1
	s_and_b64 s[54:55], exec, s[54:55]
	s_or_b64 s[52:53], s[54:55], s[52:53]
	s_andn2_b64 exec, exec, s[52:53]
	s_cbranch_execz .LBB140_24
.LBB140_35:                             ;   Parent Loop BB140_22 Depth=1
                                        ;     Parent Loop BB140_25 Depth=2
                                        ; =>    This Inner Loop Header: Depth=3
	v_lshl_add_u32 v35, v30, 3, v36
	ds_read_b64 v[32:33], v35
                                        ; implicit-def: $sgpr56_sgpr57
	s_waitcnt lgkmcnt(0)
	v_cmp_ne_u64_e32 vcc, v[32:33], v[28:29]
	s_and_saveexec_b64 s[54:55], vcc
	s_xor_b64 s[54:55], exec, s[54:55]
	s_cbranch_execz .LBB140_43
; %bb.36:                               ;   in Loop: Header=BB140_35 Depth=3
	v_cmp_ne_u64_e32 vcc, s[42:43], v[32:33]
                                        ; implicit-def: $sgpr56_sgpr57
	s_and_saveexec_b64 s[58:59], vcc
	s_xor_b64 s[58:59], exec, s[58:59]
; %bb.37:                               ;   in Loop: Header=BB140_35 Depth=3
	v_add_u32_e32 v30, 1, v30
	v_and_b32_e32 v30, 7, v30
	s_mov_b64 s[56:57], -1
                                        ; implicit-def: $vgpr35
; %bb.38:                               ;   in Loop: Header=BB140_35 Depth=3
	s_andn2_saveexec_b64 s[58:59], s[58:59]
	s_cbranch_execz .LBB140_42
; %bb.39:                               ;   in Loop: Header=BB140_35 Depth=3
	v_pk_mov_b32 v[32:33], s[42:43], s[42:43] op_sel:[0,1]
	ds_cmpst_rtn_b64 v[32:33], v35, v[32:33], v[28:29]
	s_mov_b64 s[60:61], -1
	s_waitcnt lgkmcnt(0)
	v_cmp_eq_u64_e32 vcc, s[42:43], v[32:33]
	s_and_saveexec_b64 s[62:63], vcc
	s_cbranch_execz .LBB140_41
; %bb.40:                               ;   in Loop: Header=BB140_35 Depth=3
	v_lshl_add_u32 v32, v30, 9, v9
	ds_add_f32 v32, v34
	ds_add_f32 v32, v31 offset:4
	s_xor_b64 s[60:61], exec, -1
.LBB140_41:                             ;   in Loop: Header=BB140_35 Depth=3
	s_or_b64 exec, exec, s[62:63]
	s_andn2_b64 s[56:57], s[56:57], exec
	s_and_b64 s[60:61], s[60:61], exec
	s_or_b64 s[56:57], s[56:57], s[60:61]
.LBB140_42:                             ;   in Loop: Header=BB140_35 Depth=3
	s_or_b64 exec, exec, s[58:59]
	s_and_b64 s[56:57], s[56:57], exec
.LBB140_43:                             ;   in Loop: Header=BB140_35 Depth=3
	s_andn2_saveexec_b64 s[54:55], s[54:55]
	s_cbranch_execz .LBB140_34
; %bb.44:                               ;   in Loop: Header=BB140_35 Depth=3
	v_lshl_add_u32 v32, v30, 9, v9
	ds_add_f32 v32, v34
	ds_add_f32 v32, v31 offset:4
	s_andn2_b64 s[56:57], s[56:57], exec
	s_branch .LBB140_34
.LBB140_45:
	s_or_b64 exec, exec, s[6:7]
.LBB140_46:
	s_andn2_b64 vcc, exec, s[48:49]
	s_waitcnt lgkmcnt(0)
	s_barrier
	s_cbranch_vccnz .LBB140_64
; %bb.47:
	v_mov_b32_e32 v3, s23
	v_add_co_u32_e32 v2, vcc, s22, v10
	v_addc_co_u32_e32 v3, vcc, v3, v11, vcc
	global_load_dwordx4 v[2:5], v[2:3], off
	s_waitcnt vmcnt(0)
	v_cmp_lt_i64_e32 vcc, v[2:3], v[4:5]
	s_and_saveexec_b64 s[6:7], vcc
	s_cbranch_execz .LBB140_63
; %bb.48:
	v_mad_u64_u32 v[12:13], s[2:3], v6, s20, 0
	v_subrev_co_u32_e32 v4, vcc, s39, v4
	v_mov_b32_e32 v14, v13
	v_subbrev_co_u32_e32 v5, vcc, 0, v5, vcc
	v_mad_u64_u32 v[14:15], s[2:3], v6, s21, v[14:15]
	v_subrev_co_u32_e32 v2, vcc, s39, v2
	v_mov_b32_e32 v13, v14
	v_subbrev_co_u32_e32 v3, vcc, 0, v3, vcc
	v_mov_b32_e32 v7, 0
	v_lshlrev_b64 v[12:13], 3, v[12:13]
	v_cmp_gt_i64_e32 vcc, s[20:21], v[6:7]
	v_mov_b32_e32 v9, v7
	v_mov_b32_e32 v7, s11
	v_add_co_u32_e64 v14, s[2:3], s10, v12
	v_addc_co_u32_e64 v15, s[2:3], v7, v13, s[2:3]
	v_lshlrev_b64 v[12:13], 3, v[8:9]
	v_cmp_gt_u64_e64 s[0:1], s[20:21], v[8:9]
	v_add_co_u32_e64 v9, s[2:3], v14, v12
	v_addc_co_u32_e64 v17, s[2:3], v15, v13, s[2:3]
	v_mad_u64_u32 v[12:13], s[2:3], v8, s20, 0
	v_mov_b32_e32 v14, v13
	v_mad_u64_u32 v[14:15], s[2:3], v8, s21, v[14:15]
	v_mov_b32_e32 v13, v14
	v_lshlrev_b64 v[12:13], 3, v[12:13]
	v_add_co_u32_e64 v12, s[2:3], s10, v12
	v_lshlrev_b32_e32 v16, 3, v6
	v_addc_co_u32_e64 v7, s[2:3], v7, v13, s[2:3]
	v_add_co_u32_e64 v12, s[2:3], v12, v16
	s_cmp_eq_u32 s67, 0
	v_addc_co_u32_e64 v13, s[2:3], 0, v7, s[2:3]
	v_and_b32_e32 v7, 56, v0
	s_cselect_b64 s[2:3], -1, 0
	s_add_i32 s10, s66, s65
	v_lshlrev_b32_e32 v7, 3, v7
	s_mov_b32 s5, 0
	s_mov_b32 s30, s39
	s_add_i32 s31, s10, s65
	v_add3_u32 v7, v1, v16, v7
	s_and_b64 s[0:1], vcc, s[0:1]
	v_cndmask_b32_e64 v1, v17, v13, s[2:3]
	v_cndmask_b32_e64 v12, v9, v12, s[2:3]
	s_mov_b64 s[2:3], 0
	s_branch .LBB140_50
.LBB140_49:                             ;   in Loop: Header=BB140_50 Depth=1
	s_or_b64 exec, exec, s[10:11]
	v_add_co_u32_e32 v2, vcc, 1, v2
	v_addc_co_u32_e32 v3, vcc, 0, v3, vcc
	v_cmp_ge_i64_e32 vcc, v[2:3], v[4:5]
	s_or_b64 s[2:3], vcc, s[2:3]
	s_andn2_b64 exec, exec, s[2:3]
	s_cbranch_execz .LBB140_63
.LBB140_50:                             ; =>This Loop Header: Depth=1
                                        ;     Child Loop BB140_53 Depth 2
	s_and_saveexec_b64 s[10:11], s[0:1]
	s_cbranch_execz .LBB140_49
; %bb.51:                               ;   in Loop: Header=BB140_50 Depth=1
	v_lshlrev_b64 v[14:15], 3, v[2:3]
	v_mov_b32_e32 v9, s9
	v_add_co_u32_e32 v14, vcc, s8, v14
	v_addc_co_u32_e32 v15, vcc, v9, v15, vcc
	v_mul_lo_u32 v9, s31, v2
	v_mul_lo_u32 v13, s4, v3
	v_mad_u64_u32 v[16:17], s[16:17], s4, v2, 0
	v_add3_u32 v17, v17, v13, v9
	v_lshlrev_b64 v[16:17], 3, v[16:17]
	v_add_co_u32_e32 v16, vcc, v12, v16
	global_load_dwordx2 v[14:15], v[14:15], off
	v_addc_co_u32_e32 v17, vcc, v1, v17, vcc
	global_load_dwordx2 v[18:19], v[16:17], off
	v_mov_b32_e32 v9, s5
	s_mov_b64 s[16:17], 0
	s_waitcnt vmcnt(1)
	v_subrev_co_u32_e32 v14, vcc, s30, v14
	v_subb_co_u32_e32 v15, vcc, v15, v9, vcc
	s_waitcnt vmcnt(0)
	v_mul_f32_e64 v9, v19, -s64
	v_mul_f32_e32 v13, s33, v19
	v_and_b32_e32 v16, 7, v14
	v_fmac_f32_e32 v9, s33, v18
	v_fmac_f32_e32 v13, s64, v18
	s_branch .LBB140_53
.LBB140_52:                             ;   in Loop: Header=BB140_53 Depth=2
	s_or_b64 exec, exec, s[18:19]
	s_xor_b64 s[18:19], s[22:23], -1
	s_and_b64 s[18:19], exec, s[18:19]
	s_or_b64 s[16:17], s[18:19], s[16:17]
	s_andn2_b64 exec, exec, s[16:17]
	s_cbranch_execz .LBB140_49
.LBB140_53:                             ;   Parent Loop BB140_50 Depth=1
                                        ; =>  This Inner Loop Header: Depth=2
	v_lshl_add_u32 v17, v16, 3, v36
	ds_read_b64 v[18:19], v17
                                        ; implicit-def: $sgpr22_sgpr23
	s_waitcnt lgkmcnt(0)
	v_cmp_ne_u64_e32 vcc, v[18:19], v[14:15]
	s_and_saveexec_b64 s[18:19], vcc
	s_xor_b64 s[18:19], exec, s[18:19]
	s_cbranch_execz .LBB140_61
; %bb.54:                               ;   in Loop: Header=BB140_53 Depth=2
	v_cmp_ne_u64_e32 vcc, s[42:43], v[18:19]
                                        ; implicit-def: $sgpr22_sgpr23
	s_and_saveexec_b64 s[24:25], vcc
	s_xor_b64 s[24:25], exec, s[24:25]
; %bb.55:                               ;   in Loop: Header=BB140_53 Depth=2
	v_add_u32_e32 v16, 1, v16
	v_and_b32_e32 v16, 7, v16
	s_mov_b64 s[22:23], -1
                                        ; implicit-def: $vgpr17
; %bb.56:                               ;   in Loop: Header=BB140_53 Depth=2
	s_andn2_saveexec_b64 s[24:25], s[24:25]
	s_cbranch_execz .LBB140_60
; %bb.57:                               ;   in Loop: Header=BB140_53 Depth=2
	v_pk_mov_b32 v[18:19], s[42:43], s[42:43] op_sel:[0,1]
	ds_cmpst_rtn_b64 v[18:19], v17, v[18:19], v[14:15]
	s_mov_b64 s[26:27], -1
	s_waitcnt lgkmcnt(0)
	v_cmp_eq_u64_e32 vcc, s[42:43], v[18:19]
	s_and_saveexec_b64 s[28:29], vcc
	s_cbranch_execz .LBB140_59
; %bb.58:                               ;   in Loop: Header=BB140_53 Depth=2
	v_lshl_add_u32 v17, v16, 9, v7
	ds_add_f32 v17, v9
	ds_add_f32 v17, v13 offset:4
	s_xor_b64 s[26:27], exec, -1
.LBB140_59:                             ;   in Loop: Header=BB140_53 Depth=2
	s_or_b64 exec, exec, s[28:29]
	s_andn2_b64 s[22:23], s[22:23], exec
	s_and_b64 s[26:27], s[26:27], exec
	s_or_b64 s[22:23], s[22:23], s[26:27]
.LBB140_60:                             ;   in Loop: Header=BB140_53 Depth=2
	s_or_b64 exec, exec, s[24:25]
	s_and_b64 s[22:23], s[22:23], exec
.LBB140_61:                             ;   in Loop: Header=BB140_53 Depth=2
	s_andn2_saveexec_b64 s[18:19], s[18:19]
	s_cbranch_execz .LBB140_52
; %bb.62:                               ;   in Loop: Header=BB140_53 Depth=2
	v_lshl_add_u32 v17, v16, 9, v7
	ds_add_f32 v17, v9
	ds_add_f32 v17, v13 offset:4
	s_andn2_b64 s[22:23], s[22:23], exec
	s_branch .LBB140_52
.LBB140_63:
	s_or_b64 exec, exec, s[6:7]
.LBB140_64:
	v_mov_b32_e32 v1, s13
	v_add_co_u32_e32 v2, vcc, s12, v10
	v_addc_co_u32_e32 v3, vcc, v1, v11, vcc
	s_waitcnt lgkmcnt(0)
	s_barrier
	global_load_dwordx2 v[2:3], v[2:3], off
	s_cmp_eq_u32 s67, 0
	v_mad_u64_u32 v[10:11], s[0:1], v8, s20, 0
	v_lshlrev_b32_e32 v12, 3, v6
	v_and_b32_e32 v1, 56, v0
	s_cselect_b64 s[0:1], -1, 0
	v_mov_b32_e32 v0, v11
	v_mov_b32_e32 v7, 0
	v_cndmask_b32_e64 v5, v12, v1, s[0:1]
	v_mad_u64_u32 v[0:1], s[8:9], v8, s21, v[0:1]
	v_mov_b32_e32 v9, v7
	v_cndmask_b32_e64 v1, v8, v6, s[0:1]
	v_mov_b32_e32 v11, v0
	v_cmp_gt_i64_e32 vcc, s[20:21], v[6:7]
	v_cmp_gt_u64_e64 s[2:3], s[20:21], v[8:9]
	v_or_b32_e32 v5, v1, v5
	v_lshlrev_b64 v[0:1], 3, v[10:11]
	v_mov_b32_e32 v13, s35
	s_and_b64 s[0:1], vcc, s[2:3]
	v_add_co_u32_e32 v0, vcc, s34, v0
	v_addc_co_u32_e32 v1, vcc, v13, v1, vcc
	v_add_co_u32_e32 v6, vcc, v0, v12
	v_addc_co_u32_e32 v7, vcc, 0, v1, vcc
	s_mov_b32 s5, 0
	v_mov_b32_e32 v4, 0x4000
	s_add_i32 s6, s66, s65
	v_lshl_or_b32 v4, v37, 6, v4
	s_add_i32 s6, s6, s65
	v_lshl_add_u32 v5, v5, 3, v38
	s_mov_b32 s7, s5
	s_waitcnt vmcnt(0)
	v_subrev_co_u32_e32 v8, vcc, s38, v2
	v_subbrev_co_u32_e32 v9, vcc, 0, v3, vcc
	s_branch .LBB140_66
.LBB140_65:                             ;   in Loop: Header=BB140_66 Depth=1
	s_or_b64 exec, exec, s[2:3]
	s_add_i32 s7, s7, 8
	s_cmp_lg_u32 s7, 64
	v_add_u32_e32 v5, 0x200, v5
	s_cbranch_scc0 .LBB140_69
.LBB140_66:                             ; =>This Inner Loop Header: Depth=1
	v_add_u32_e32 v0, s7, v4
	ds_read_b64 v[0:1], v0
	s_waitcnt lgkmcnt(0)
	v_cmp_gt_i64_e32 vcc, s[42:43], v[0:1]
	s_and_saveexec_b64 s[2:3], vcc
	s_cbranch_execz .LBB140_65
; %bb.67:                               ;   in Loop: Header=BB140_66 Depth=1
	ds_read_b128 v[10:13], v36
	ds_read_b128 v[14:17], v36 offset:16
	ds_read_b128 v[18:21], v36 offset:32
	;; [unrolled: 1-line block ×3, first 2 shown]
	s_waitcnt lgkmcnt(3)
	v_cmp_gt_i64_e32 vcc, v[0:1], v[10:11]
	v_cndmask_b32_e64 v2, 0, 1, vcc
	v_add_co_u32_e32 v2, vcc, v8, v2
	v_addc_co_u32_e32 v3, vcc, 0, v9, vcc
	v_cmp_gt_i64_e32 vcc, v[0:1], v[12:13]
	v_cndmask_b32_e64 v10, 0, 1, vcc
	v_add_co_u32_e32 v2, vcc, v2, v10
	v_addc_co_u32_e32 v3, vcc, 0, v3, vcc
	s_waitcnt lgkmcnt(2)
	v_cmp_gt_i64_e32 vcc, v[0:1], v[14:15]
	v_cndmask_b32_e64 v10, 0, 1, vcc
	v_add_co_u32_e32 v2, vcc, v2, v10
	v_addc_co_u32_e32 v3, vcc, 0, v3, vcc
	v_cmp_gt_i64_e32 vcc, v[0:1], v[16:17]
	v_cndmask_b32_e64 v10, 0, 1, vcc
	v_add_co_u32_e32 v2, vcc, v2, v10
	v_addc_co_u32_e32 v3, vcc, 0, v3, vcc
	;; [unrolled: 9-line block ×4, first 2 shown]
	v_mov_b32_e32 v10, s5
	v_add_co_u32_e32 v0, vcc, s38, v0
	v_addc_co_u32_e32 v1, vcc, v1, v10, vcc
	v_lshlrev_b64 v[10:11], 3, v[2:3]
	v_mov_b32_e32 v12, s15
	v_add_co_u32_e32 v10, vcc, s14, v10
	v_addc_co_u32_e32 v11, vcc, v12, v11, vcc
	global_store_dwordx2 v[10:11], v[0:1], off
	s_and_b64 exec, exec, s[0:1]
	s_cbranch_execz .LBB140_65
; %bb.68:                               ;   in Loop: Header=BB140_66 Depth=1
	v_mul_lo_u32 v10, s6, v2
	v_mul_lo_u32 v3, s4, v3
	v_mad_u64_u32 v[0:1], s[8:9], s4, v2, 0
	v_add3_u32 v1, v1, v3, v10
	ds_read_b64 v[2:3], v5
	v_lshlrev_b64 v[0:1], 3, v[0:1]
	v_add_co_u32_e32 v0, vcc, v6, v0
	v_addc_co_u32_e32 v1, vcc, v7, v1, vcc
	s_waitcnt lgkmcnt(0)
	global_store_dwordx2 v[0:1], v[2:3], off
	s_branch .LBB140_65
.LBB140_69:
	s_endpgm
	.section	.rodata,"a",@progbits
	.p2align	6, 0x0
	.amdhsa_kernel _ZN9rocsparseL23bsrgemm_fill_wf_per_rowILj256ELj64ELj8ELj137ELj8Ell21rocsparse_complex_numIfEEEv20rocsparse_direction_T5_S4_S4_PKS4_S6_NS_24const_host_device_scalarIT6_EEPKT4_S6_PKS8_SC_S6_SE_S9_SC_S6_SE_SC_PS4_PS8_21rocsparse_index_base_SH_SH_SH_bbb
		.amdhsa_group_segment_fixed_size 16640
		.amdhsa_private_segment_fixed_size 0
		.amdhsa_kernarg_size 180
		.amdhsa_user_sgpr_count 6
		.amdhsa_user_sgpr_private_segment_buffer 1
		.amdhsa_user_sgpr_dispatch_ptr 0
		.amdhsa_user_sgpr_queue_ptr 0
		.amdhsa_user_sgpr_kernarg_segment_ptr 1
		.amdhsa_user_sgpr_dispatch_id 0
		.amdhsa_user_sgpr_flat_scratch_init 0
		.amdhsa_user_sgpr_kernarg_preload_length 0
		.amdhsa_user_sgpr_kernarg_preload_offset 0
		.amdhsa_user_sgpr_private_segment_size 0
		.amdhsa_uses_dynamic_stack 0
		.amdhsa_system_sgpr_private_segment_wavefront_offset 0
		.amdhsa_system_sgpr_workgroup_id_x 1
		.amdhsa_system_sgpr_workgroup_id_y 0
		.amdhsa_system_sgpr_workgroup_id_z 0
		.amdhsa_system_sgpr_workgroup_info 0
		.amdhsa_system_vgpr_workitem_id 0
		.amdhsa_next_free_vgpr 46
		.amdhsa_next_free_sgpr 71
		.amdhsa_accum_offset 48
		.amdhsa_reserve_vcc 1
		.amdhsa_reserve_flat_scratch 0
		.amdhsa_float_round_mode_32 0
		.amdhsa_float_round_mode_16_64 0
		.amdhsa_float_denorm_mode_32 3
		.amdhsa_float_denorm_mode_16_64 3
		.amdhsa_dx10_clamp 1
		.amdhsa_ieee_mode 1
		.amdhsa_fp16_overflow 0
		.amdhsa_tg_split 0
		.amdhsa_exception_fp_ieee_invalid_op 0
		.amdhsa_exception_fp_denorm_src 0
		.amdhsa_exception_fp_ieee_div_zero 0
		.amdhsa_exception_fp_ieee_overflow 0
		.amdhsa_exception_fp_ieee_underflow 0
		.amdhsa_exception_fp_ieee_inexact 0
		.amdhsa_exception_int_div_zero 0
	.end_amdhsa_kernel
	.section	.text._ZN9rocsparseL23bsrgemm_fill_wf_per_rowILj256ELj64ELj8ELj137ELj8Ell21rocsparse_complex_numIfEEEv20rocsparse_direction_T5_S4_S4_PKS4_S6_NS_24const_host_device_scalarIT6_EEPKT4_S6_PKS8_SC_S6_SE_S9_SC_S6_SE_SC_PS4_PS8_21rocsparse_index_base_SH_SH_SH_bbb,"axG",@progbits,_ZN9rocsparseL23bsrgemm_fill_wf_per_rowILj256ELj64ELj8ELj137ELj8Ell21rocsparse_complex_numIfEEEv20rocsparse_direction_T5_S4_S4_PKS4_S6_NS_24const_host_device_scalarIT6_EEPKT4_S6_PKS8_SC_S6_SE_S9_SC_S6_SE_SC_PS4_PS8_21rocsparse_index_base_SH_SH_SH_bbb,comdat
.Lfunc_end140:
	.size	_ZN9rocsparseL23bsrgemm_fill_wf_per_rowILj256ELj64ELj8ELj137ELj8Ell21rocsparse_complex_numIfEEEv20rocsparse_direction_T5_S4_S4_PKS4_S6_NS_24const_host_device_scalarIT6_EEPKT4_S6_PKS8_SC_S6_SE_S9_SC_S6_SE_SC_PS4_PS8_21rocsparse_index_base_SH_SH_SH_bbb, .Lfunc_end140-_ZN9rocsparseL23bsrgemm_fill_wf_per_rowILj256ELj64ELj8ELj137ELj8Ell21rocsparse_complex_numIfEEEv20rocsparse_direction_T5_S4_S4_PKS4_S6_NS_24const_host_device_scalarIT6_EEPKT4_S6_PKS8_SC_S6_SE_S9_SC_S6_SE_SC_PS4_PS8_21rocsparse_index_base_SH_SH_SH_bbb
                                        ; -- End function
	.section	.AMDGPU.csdata,"",@progbits
; Kernel info:
; codeLenInByte = 3000
; NumSgprs: 75
; NumVgprs: 46
; NumAgprs: 0
; TotalNumVgprs: 46
; ScratchSize: 0
; MemoryBound: 0
; FloatMode: 240
; IeeeMode: 1
; LDSByteSize: 16640 bytes/workgroup (compile time only)
; SGPRBlocks: 9
; VGPRBlocks: 5
; NumSGPRsForWavesPerEU: 75
; NumVGPRsForWavesPerEU: 46
; AccumOffset: 48
; Occupancy: 3
; WaveLimiterHint : 1
; COMPUTE_PGM_RSRC2:SCRATCH_EN: 0
; COMPUTE_PGM_RSRC2:USER_SGPR: 6
; COMPUTE_PGM_RSRC2:TRAP_HANDLER: 0
; COMPUTE_PGM_RSRC2:TGID_X_EN: 1
; COMPUTE_PGM_RSRC2:TGID_Y_EN: 0
; COMPUTE_PGM_RSRC2:TGID_Z_EN: 0
; COMPUTE_PGM_RSRC2:TIDIG_COMP_CNT: 0
; COMPUTE_PGM_RSRC3_GFX90A:ACCUM_OFFSET: 11
; COMPUTE_PGM_RSRC3_GFX90A:TG_SPLIT: 0
	.section	.text._ZN9rocsparseL38bsrgemm_block_per_row_atomic_multipassILj256ELj16ELj8Ell21rocsparse_complex_numIfEEEv20rocsparse_direction_T3_S4_PKS4_S6_NS_24const_host_device_scalarIT4_EEPKT2_S6_PKS8_SC_S6_SE_S9_SC_S6_SE_SC_PS4_PS8_PSA_21rocsparse_index_base_SI_SI_SI_bbb,"axG",@progbits,_ZN9rocsparseL38bsrgemm_block_per_row_atomic_multipassILj256ELj16ELj8Ell21rocsparse_complex_numIfEEEv20rocsparse_direction_T3_S4_PKS4_S6_NS_24const_host_device_scalarIT4_EEPKT2_S6_PKS8_SC_S6_SE_S9_SC_S6_SE_SC_PS4_PS8_PSA_21rocsparse_index_base_SI_SI_SI_bbb,comdat
	.globl	_ZN9rocsparseL38bsrgemm_block_per_row_atomic_multipassILj256ELj16ELj8Ell21rocsparse_complex_numIfEEEv20rocsparse_direction_T3_S4_PKS4_S6_NS_24const_host_device_scalarIT4_EEPKT2_S6_PKS8_SC_S6_SE_S9_SC_S6_SE_SC_PS4_PS8_PSA_21rocsparse_index_base_SI_SI_SI_bbb ; -- Begin function _ZN9rocsparseL38bsrgemm_block_per_row_atomic_multipassILj256ELj16ELj8Ell21rocsparse_complex_numIfEEEv20rocsparse_direction_T3_S4_PKS4_S6_NS_24const_host_device_scalarIT4_EEPKT2_S6_PKS8_SC_S6_SE_S9_SC_S6_SE_SC_PS4_PS8_PSA_21rocsparse_index_base_SI_SI_SI_bbb
	.p2align	8
	.type	_ZN9rocsparseL38bsrgemm_block_per_row_atomic_multipassILj256ELj16ELj8Ell21rocsparse_complex_numIfEEEv20rocsparse_direction_T3_S4_PKS4_S6_NS_24const_host_device_scalarIT4_EEPKT2_S6_PKS8_SC_S6_SE_S9_SC_S6_SE_SC_PS4_PS8_PSA_21rocsparse_index_base_SI_SI_SI_bbb,@function
_ZN9rocsparseL38bsrgemm_block_per_row_atomic_multipassILj256ELj16ELj8Ell21rocsparse_complex_numIfEEEv20rocsparse_direction_T3_S4_PKS4_S6_NS_24const_host_device_scalarIT4_EEPKT2_S6_PKS8_SC_S6_SE_S9_SC_S6_SE_SC_PS4_PS8_PSA_21rocsparse_index_base_SI_SI_SI_bbb: ; @_ZN9rocsparseL38bsrgemm_block_per_row_atomic_multipassILj256ELj16ELj8Ell21rocsparse_complex_numIfEEEv20rocsparse_direction_T3_S4_PKS4_S6_NS_24const_host_device_scalarIT4_EEPKT2_S6_PKS8_SC_S6_SE_S9_SC_S6_SE_SC_PS4_PS8_PSA_21rocsparse_index_base_SI_SI_SI_bbb
; %bb.0:
	s_load_dwordx8 s[20:27], s[4:5], 0x90
	s_load_dword s7, s[4:5], 0xb0
	s_load_dwordx8 s[36:43], s[4:5], 0x70
	s_load_dwordx8 s[44:51], s[4:5], 0x50
	s_load_dwordx4 s[8:11], s[4:5], 0x18
	s_load_dwordx8 s[52:59], s[4:5], 0x30
	s_waitcnt lgkmcnt(0)
	s_bitcmp1_b32 s7, 0
	s_cselect_b64 s[12:13], -1, 0
	s_bitcmp1_b32 s7, 16
	s_cselect_b64 s[0:1], -1, 0
	s_xor_b64 s[2:3], s[0:1], -1
	s_mov_b32 s35, 0
	s_bitcmp0_b32 s7, 0
	s_mov_b32 s33, 0
	s_cbranch_scc1 .LBB141_5
; %bb.1:
	s_load_dwordx2 s[34:35], s[4:5], 0x28
	v_cndmask_b32_e64 v1, 0, 1, s[2:3]
	v_cmp_ne_u32_e64 s[0:1], 1, v1
	s_andn2_b64 vcc, exec, s[2:3]
	s_waitcnt lgkmcnt(0)
	s_mov_b32 s33, s34
	s_cbranch_vccnz .LBB141_3
; %bb.2:
	s_load_dword s33, s[34:35], 0x0
.LBB141_3:
	s_and_b64 vcc, exec, s[0:1]
	s_cbranch_vccnz .LBB141_5
; %bb.4:
	s_load_dword s35, s[34:35], 0x4
.LBB141_5:
	s_bitcmp1_b32 s7, 8
	s_cselect_b64 s[60:61], -1, 0
	s_bfe_u32 s0, s7, 0x10008
	s_mov_b32 s86, 0
	s_cmp_eq_u32 s0, 0
	s_mov_b32 s34, 0
	s_cbranch_scc1 .LBB141_11
; %bb.6:
	v_cndmask_b32_e64 v1, 0, 1, s[2:3]
	v_cmp_ne_u32_e64 s[0:1], 1, v1
	s_andn2_b64 vcc, exec, s[2:3]
	s_mov_b32 s34, s48
	s_cbranch_vccnz .LBB141_8
; %bb.7:
	s_load_dword s34, s[48:49], 0x0
.LBB141_8:
	s_and_b64 vcc, exec, s[0:1]
	s_cbranch_vccnz .LBB141_10
; %bb.9:
	s_load_dword s49, s[48:49], 0x4
.LBB141_10:
	s_waitcnt lgkmcnt(0)
	s_mov_b32 s86, s49
.LBB141_11:
	s_mov_b64 s[48:49], 0
	s_cmp_eq_u64 s[10:11], 0
	s_mov_b32 s7, 0
	s_cbranch_scc1 .LBB141_13
; %bb.12:
	s_load_dwordx2 s[0:1], s[8:9], 0x0
	s_waitcnt lgkmcnt(0)
	s_lshl_b64 s[0:1], s[0:1], 3
	s_add_u32 s2, s10, s0
	s_addc_u32 s3, s11, s1
	s_lshl_b64 s[0:1], s[6:7], 3
	s_add_u32 s0, s2, s0
	s_addc_u32 s1, s3, s1
	s_load_dwordx2 s[6:7], s[0:1], 0x0
.LBB141_13:
	v_cndmask_b32_e64 v1, 0, 1, s[12:13]
	v_cmp_ne_u32_e64 s[0:1], 1, v1
	s_andn2_b64 vcc, exec, s[12:13]
	s_cbranch_vccz .LBB141_16
; %bb.14:
	s_and_b64 vcc, exec, s[0:1]
	s_mov_b64 s[62:63], 0
	s_cbranch_vccz .LBB141_17
.LBB141_15:
	s_load_dwordx4 s[28:31], s[4:5], 0x8
	s_waitcnt lgkmcnt(0)
	v_cmp_lt_i64_e64 s[0:1], s[28:29], 1
	s_and_b64 vcc, exec, s[0:1]
	s_cbranch_vccz .LBB141_18
	s_branch .LBB141_96
.LBB141_16:
	s_waitcnt lgkmcnt(0)
	s_lshl_b64 s[2:3], s[6:7], 3
	s_add_u32 s2, s52, s2
	s_addc_u32 s3, s53, s3
	s_load_dwordx2 s[2:3], s[2:3], 0x0
	s_waitcnt lgkmcnt(0)
	s_sub_u32 s48, s2, s24
	s_subb_u32 s49, s3, 0
	s_and_b64 vcc, exec, s[0:1]
	s_mov_b64 s[62:63], 0
	s_cbranch_vccnz .LBB141_15
.LBB141_17:
	s_waitcnt lgkmcnt(0)
	s_lshl_b64 s[0:1], s[6:7], 3
	s_add_u32 s0, s52, s0
	s_addc_u32 s1, s53, s1
	s_load_dwordx2 s[0:1], s[0:1], 0x8
	s_waitcnt lgkmcnt(0)
	s_sub_u32 s62, s0, s24
	s_subb_u32 s63, s1, 0
	s_load_dwordx4 s[28:31], s[4:5], 0x8
	s_waitcnt lgkmcnt(0)
	v_cmp_lt_i64_e64 s[0:1], s[28:29], 1
	s_and_b64 vcc, exec, s[0:1]
	s_cbranch_vccnz .LBB141_96
.LBB141_18:
	s_lshl_b64 s[6:7], s[6:7], 3
	s_add_u32 s0, s40, s6
	s_addc_u32 s1, s41, s7
	s_load_dwordx2 s[0:1], s[0:1], 0x0
	v_bfe_u32 v12, v0, 3, 3
	s_load_dword s14, s[4:5], 0x0
	s_mul_i32 s4, s30, s31
	s_mul_hi_u32 s5, s30, s30
	s_waitcnt lgkmcnt(0)
	s_sub_u32 s18, s0, s26
	s_subb_u32 s19, s1, 0
	s_add_i32 s5, s5, s4
	s_add_i32 s41, s5, s4
	v_mad_u64_u32 v[8:9], s[4:5], v12, s30, 0
	v_lshlrev_b32_e32 v11, 3, v0
	v_mov_b32_e32 v10, v9
	v_mad_u64_u32 v[14:15], s[4:5], v12, s31, v[10:11]
	v_mov_b32_e32 v9, v14
	v_pk_mov_b32 v[6:7], s[62:63], s[62:63] op_sel:[0,1]
	v_lshlrev_b64 v[14:15], 3, v[8:9]
	v_and_b32_e32 v4, 7, v0
	v_cmp_lt_i64_e32 vcc, s[48:49], v[6:7]
	v_mov_b32_e32 v7, s57
	v_add_co_u32_e64 v10, s[4:5], s56, v14
	v_addc_co_u32_e64 v7, s[4:5], v7, v15, s[4:5]
	v_lshlrev_b32_e32 v8, 3, v4
	v_mov_b32_e32 v6, 0
	v_add_co_u32_e64 v41, s[4:5], v10, v8
	v_mov_b32_e32 v5, v6
	v_mov_b32_e32 v13, v6
	v_addc_co_u32_e64 v42, s[4:5], 0, v7, s[4:5]
	v_cmp_gt_i64_e64 s[10:11], s[30:31], v[4:5]
	v_cmp_gt_i64_e64 s[4:5], s[30:31], v[12:13]
	v_cmp_gt_u64_e64 s[8:9], s[30:31], v[12:13]
	s_and_b64 s[52:53], s[10:11], s[4:5]
	v_mad_u64_u32 v[12:13], s[4:5], v4, s30, 0
	v_mov_b32_e32 v10, v13
	v_mad_u64_u32 v[16:17], s[4:5], v4, s31, v[10:11]
	v_mov_b32_e32 v13, v16
	v_lshlrev_b64 v[12:13], 3, v[12:13]
	v_mov_b32_e32 v5, s21
	v_add_co_u32_e64 v7, s[4:5], s20, v12
	v_and_b32_e32 v43, 56, v0
	v_addc_co_u32_e64 v10, s[4:5], v5, v13, s[4:5]
	v_add_co_u32_e64 v7, s[4:5], v7, v43
	v_addc_co_u32_e64 v10, s[4:5], 0, v10, s[4:5]
	v_add_co_u32_e64 v16, s[4:5], s20, v14
	;; [unrolled: 2-line block ×3, first 2 shown]
	v_lshrrev_b32_e32 v2, 6, v0
	v_addc_co_u32_e64 v5, s[4:5], 0, v5, s[4:5]
	v_subrev_co_u32_e64 v44, s[4:5], s27, v2
	v_subb_co_u32_e64 v45, s[4:5], 0, 0, s[4:5]
	v_mov_b32_e32 v17, s39
	v_add_co_u32_e64 v12, s[4:5], s38, v12
	s_cmp_eq_u32 s14, 0
	v_addc_co_u32_e64 v13, s[4:5], v17, v13, s[4:5]
	s_cselect_b64 s[16:17], -1, 0
	s_cmp_lg_u32 s14, 0
	v_add_co_u32_e64 v12, s[4:5], v12, v43
	s_cselect_b64 s[20:21], -1, 0
	s_add_u32 s50, s50, s6
	v_addc_co_u32_e64 v13, s[4:5], 0, v13, s[4:5]
	s_addc_u32 s51, s51, s7
	v_add_co_u32_e64 v14, s[4:5], s38, v14
	s_and_b64 s[38:39], s[12:13], vcc
	s_and_b64 s[56:57], s[10:11], s[8:9]
	s_mov_b32 s89, s27
	s_add_u32 s27, s58, 8
	s_addc_u32 s91, s59, 0
	v_addc_co_u32_e64 v15, s[4:5], v17, v15, s[4:5]
	s_add_u32 s92, s42, -8
	v_add_co_u32_e64 v14, s[4:5], v14, v8
	s_addc_u32 s93, s43, -1
	v_and_b32_e32 v1, 63, v0
	v_addc_co_u32_e64 v15, s[4:5], 0, v15, s[4:5]
	v_mov_b32_e32 v19, 0x2800
	s_add_u32 s42, s46, 4
	v_cmp_gt_u32_e64 s[0:1], 16, v0
	v_cmp_eq_u32_e64 s[2:3], 0, v0
	s_movk_i32 s66, 0x2000
	v_cmp_eq_u32_e64 s[4:5], 63, v1
	v_and_b32_e32 v1, 15, v0
	v_lshl_or_b32 v48, v0, 2, v19
	v_or_b32_e32 v52, 0xffffff00, v0
	s_addc_u32 s43, s47, 0
	v_lshlrev_b32_e32 v0, 9, v2
	v_lshlrev_b32_e32 v17, 2, v1
	v_add_co_u32_e64 v18, s[6:7], -1, v1
	v_cmp_ne_u32_e64 s[8:9], 0, v1
	v_cmp_lt_u32_e64 s[10:11], 1, v1
	v_cmp_lt_u32_e64 s[12:13], 3, v1
	;; [unrolled: 1-line block ×3, first 2 shown]
	v_cndmask_b32_e64 v1, v10, v5, s[16:17]
	v_cndmask_b32_e64 v10, v7, v16, s[16:17]
	;; [unrolled: 1-line block ×3, first 2 shown]
	v_or3_b32 v53, v0, v43, s66
	v_mov_b32_e32 v0, s43
	v_add_co_u32_e32 v12, vcc, s42, v8
	v_cndmask_b32_e64 v5, v13, v15, s[16:17]
	v_addc_co_u32_e32 v13, vcc, 0, v0, vcc
	v_add_co_u32_e32 v14, vcc, 4, v7
	v_addc_co_u32_e32 v15, vcc, 0, v5, vcc
	s_mov_b32 s87, 0
	s_mul_i32 s40, s30, s30
	v_and_b32_e32 v0, 0x7c0, v11
	v_add_co_u32_e32 v55, vcc, 4, v44
	v_mov_b32_e32 v20, 16
	v_mov_b32_e32 v3, v6
	v_or_b32_e32 v40, 0x2000, v11
	v_mov_b32_e32 v9, v6
	s_mov_b32 s88, s87
	s_mov_b32 s90, s87
	v_or_b32_e32 v46, 0x2800, v17
	v_lshl_add_u32 v47, v18, 2, v19
	v_add_u32_e32 v49, 0x27f8, v17
	v_add_u32_e32 v50, 0x27f0, v17
	;; [unrolled: 1-line block ×3, first 2 shown]
	s_lshl_b64 s[46:47], s[30:31], 3
	s_lshl_b64 s[64:65], s[40:41], 3
	v_or_b32_e32 v54, 0x2000, v0
	s_lshl_b64 s[66:67], s[40:41], 5
	v_addc_co_u32_e32 v56, vcc, 0, v45, vcc
	v_lshl_or_b32 v57, v2, 2, v19
	s_mov_b64 s[68:69], 0
	v_mov_b32_e32 v21, 0
	v_pk_mov_b32 v[16:17], s[18:19], s[18:19] op_sel:[0,1]
	s_movk_i32 s94, 0x2ff
	v_mov_b32_e32 v58, 1
	v_mov_b32_e32 v18, 0
	;; [unrolled: 1-line block ×3, first 2 shown]
	s_branch .LBB141_20
.LBB141_19:                             ;   in Loop: Header=BB141_20 Depth=1
	s_or_b64 exec, exec, s[16:17]
	s_barrier
	ds_read_b64 v[22:23], v6 offset:10304
	v_ashrrev_i32_e32 v0, 31, v7
	v_add_co_u32_e32 v16, vcc, v16, v7
	v_addc_co_u32_e32 v17, vcc, v17, v0, vcc
	s_waitcnt lgkmcnt(0)
	v_add_co_u32_e32 v20, vcc, 16, v22
	v_addc_co_u32_e32 v21, vcc, 0, v23, vcc
	v_cmp_le_i64_e32 vcc, s[28:29], v[22:23]
	v_readfirstlane_b32 s68, v22
	v_readfirstlane_b32 s69, v23
	s_barrier
	s_cbranch_vccnz .LBB141_96
.LBB141_20:                             ; =>This Loop Header: Depth=1
                                        ;     Child Loop BB141_23 Depth 2
                                        ;     Child Loop BB141_29 Depth 2
                                        ;       Child Loop BB141_45 Depth 3
                                        ;         Child Loop BB141_57 Depth 4
                                        ;         Child Loop BB141_53 Depth 4
                                        ;     Child Loop BB141_67 Depth 2
                                        ;     Child Loop BB141_76 Depth 2
	;; [unrolled: 1-line block ×3, first 2 shown]
	s_and_saveexec_b64 s[16:17], s[0:1]
	s_cbranch_execz .LBB141_22
; %bb.21:                               ;   in Loop: Header=BB141_20 Depth=1
	ds_write_b32 v48, v6
.LBB141_22:                             ;   in Loop: Header=BB141_20 Depth=1
	s_or_b64 exec, exec, s[16:17]
	s_mov_b64 s[16:17], 0
	v_mov_b32_e32 v0, v11
	v_mov_b32_e32 v5, v52
.LBB141_23:                             ;   Parent Loop BB141_20 Depth=1
                                        ; =>  This Inner Loop Header: Depth=2
	v_add_u32_e32 v5, 0x100, v5
	v_cmp_lt_u32_e32 vcc, s94, v5
	ds_write_b64 v0, v[18:19]
	s_or_b64 s[16:17], vcc, s[16:17]
	v_add_u32_e32 v0, 0x800, v0
	s_andn2_b64 exec, exec, s[16:17]
	s_cbranch_execnz .LBB141_23
; %bb.24:                               ;   in Loop: Header=BB141_20 Depth=1
	s_or_b64 exec, exec, s[16:17]
	s_and_saveexec_b64 s[16:17], s[2:3]
	s_cbranch_execz .LBB141_26
; %bb.25:                               ;   in Loop: Header=BB141_20 Depth=1
	v_pk_mov_b32 v[22:23], s[28:29], s[28:29] op_sel:[0,1]
	ds_write_b64 v6, v[22:23] offset:10304
.LBB141_26:                             ;   in Loop: Header=BB141_20 Depth=1
	s_or_b64 exec, exec, s[16:17]
	s_andn2_b64 vcc, exec, s[38:39]
	v_pk_mov_b32 v[22:23], s[28:29], s[28:29] op_sel:[0,1]
	s_waitcnt lgkmcnt(0)
	s_barrier
	s_cbranch_vccnz .LBB141_62
; %bb.27:                               ;   in Loop: Header=BB141_20 Depth=1
	s_cmp_lg_u64 s[68:69], 0
	s_cselect_b64 s[70:71], -1, 0
	v_pk_mov_b32 v[22:23], s[28:29], s[28:29] op_sel:[0,1]
	s_mov_b64 s[72:73], s[48:49]
	s_branch .LBB141_29
.LBB141_28:                             ;   in Loop: Header=BB141_29 Depth=2
	s_or_b64 exec, exec, s[18:19]
	s_add_u32 s72, s72, 4
	s_addc_u32 s73, s73, 0
	v_pk_mov_b32 v[24:25], s[62:63], s[62:63] op_sel:[0,1]
	v_cmp_lt_i64_e32 vcc, s[72:73], v[24:25]
	s_cbranch_vccz .LBB141_62
.LBB141_29:                             ;   Parent Loop BB141_20 Depth=1
                                        ; =>  This Loop Header: Depth=2
                                        ;       Child Loop BB141_45 Depth 3
                                        ;         Child Loop BB141_57 Depth 4
                                        ;         Child Loop BB141_53 Depth 4
	v_mov_b32_e32 v0, s73
	v_add_co_u32_e32 v24, vcc, s72, v2
	v_addc_co_u32_e32 v25, vcc, 0, v0, vcc
	v_cmp_gt_i64_e64 s[16:17], s[62:63], v[24:25]
	s_barrier
	s_and_saveexec_b64 s[18:19], s[16:17]
	s_cbranch_execz .LBB141_34
; %bb.30:                               ;   in Loop: Header=BB141_29 Depth=2
	s_and_saveexec_b64 s[74:75], s[56:57]
	s_xor_b64 s[74:75], exec, s[74:75]
	s_cbranch_execz .LBB141_32
; %bb.31:                               ;   in Loop: Header=BB141_29 Depth=2
	v_mul_lo_u32 v0, v25, s40
	v_mul_lo_u32 v5, v24, s41
	v_mad_u64_u32 v[26:27], s[76:77], v24, s40, 0
	v_add3_u32 v27, v27, v5, v0
	v_lshlrev_b64 v[26:27], 3, v[26:27]
	v_add_co_u32_e32 v26, vcc, v41, v26
	v_addc_co_u32_e32 v27, vcc, v42, v27, vcc
	global_load_dwordx2 v[26:27], v[26:27], off
	s_waitcnt vmcnt(0)
	ds_write_b64 v40, v[26:27]
.LBB141_32:                             ;   in Loop: Header=BB141_29 Depth=2
	s_andn2_saveexec_b64 s[74:75], s[74:75]
	s_cbranch_execz .LBB141_34
; %bb.33:                               ;   in Loop: Header=BB141_29 Depth=2
	v_mov_b32_e32 v7, v6
	ds_write_b64 v40, v[6:7]
.LBB141_34:                             ;   in Loop: Header=BB141_29 Depth=2
	s_or_b64 exec, exec, s[18:19]
	v_pk_mov_b32 v[26:27], 0, 0
	v_lshlrev_b64 v[24:25], 3, v[24:25]
	s_waitcnt lgkmcnt(0)
	s_barrier
	s_and_saveexec_b64 s[74:75], s[16:17]
	s_cbranch_execz .LBB141_60
; %bb.35:                               ;   in Loop: Header=BB141_29 Depth=2
	v_mov_b32_e32 v0, s55
	v_add_co_u32_e32 v26, vcc, s54, v24
	v_addc_co_u32_e32 v27, vcc, v0, v25, vcc
	global_load_dwordx2 v[28:29], v[26:27], off
	s_and_b64 vcc, exec, s[70:71]
	s_cbranch_vccz .LBB141_37
; %bb.36:                               ;   in Loop: Header=BB141_29 Depth=2
	v_mov_b32_e32 v0, s23
	v_add_co_u32_e32 v26, vcc, s22, v24
	v_addc_co_u32_e32 v27, vcc, v0, v25, vcc
	global_load_dwordx2 v[26:27], v[26:27], off
	s_mov_b64 s[18:19], 0
	s_branch .LBB141_38
.LBB141_37:                             ;   in Loop: Header=BB141_29 Depth=2
	s_mov_b64 s[18:19], -1
                                        ; implicit-def: $vgpr26_vgpr27
.LBB141_38:                             ;   in Loop: Header=BB141_29 Depth=2
	v_mov_b32_e32 v0, s88
	s_waitcnt vmcnt(0)
	v_subrev_co_u32_e32 v28, vcc, s24, v28
	v_subb_co_u32_e32 v29, vcc, v29, v0, vcc
	s_andn2_b64 vcc, exec, s[18:19]
	v_lshlrev_b64 v[28:29], 3, v[28:29]
	s_cbranch_vccnz .LBB141_40
; %bb.39:                               ;   in Loop: Header=BB141_29 Depth=2
	v_mov_b32_e32 v0, s59
	v_add_co_u32_e32 v26, vcc, s58, v28
	v_addc_co_u32_e32 v27, vcc, v0, v29, vcc
	global_load_dwordx2 v[26:27], v[26:27], off
	v_mov_b32_e32 v0, s87
	s_waitcnt vmcnt(0)
	v_subrev_co_u32_e32 v26, vcc, s25, v26
	v_subb_co_u32_e32 v27, vcc, v27, v0, vcc
.LBB141_40:                             ;   in Loop: Header=BB141_29 Depth=2
	v_mov_b32_e32 v0, s91
	v_add_co_u32_e32 v28, vcc, s27, v28
	v_addc_co_u32_e32 v29, vcc, v0, v29, vcc
	global_load_dwordx2 v[28:29], v[28:29], off
	v_mov_b32_e32 v0, s87
	s_waitcnt vmcnt(0)
	v_subrev_co_u32_e32 v28, vcc, s25, v28
	v_subb_co_u32_e32 v29, vcc, v29, v0, vcc
	v_cmp_lt_i64_e32 vcc, v[26:27], v[28:29]
	s_and_saveexec_b64 s[76:77], vcc
	s_cbranch_execz .LBB141_59
; %bb.41:                               ;   in Loop: Header=BB141_29 Depth=2
	v_mad_u64_u32 v[30:31], s[18:19], s46, v26, v[8:9]
	v_mul_lo_u32 v0, s46, v27
	v_mul_lo_u32 v5, s47, v26
	v_add3_u32 v0, v5, v31, v0
	v_pk_mov_b32 v[32:33], s[42:43], s[42:43] op_sel:[0,1]
	v_mul_lo_u32 v5, s31, v30
	v_mul_lo_u32 v0, s30, v0
	v_mad_u64_u32 v[30:31], s[18:19], s30, v30, v[32:33]
	v_add3_u32 v31, v5, v31, v0
	v_mad_u64_u32 v[32:33], s[18:19], s64, v26, v[12:13]
	v_mul_lo_u32 v0, s64, v27
	v_mul_lo_u32 v5, s65, v26
	v_add3_u32 v33, v5, v33, v0
	s_mov_b64 s[78:79], 0
	v_pk_mov_b32 v[34:35], v[26:27], v[26:27] op_sel:[0,1]
	s_branch .LBB141_45
.LBB141_42:                             ;   in Loop: Header=BB141_45 Depth=3
	v_lshlrev_b32_e32 v0, 6, v0
	v_or3_b32 v0, v0, v43, v4
	v_mul_f32_e64 v5, v37, -s35
	v_lshlrev_b32_e32 v0, 3, v0
	v_fmac_f32_e32 v5, s33, v36
	v_mul_f32_e32 v7, s33, v37
	v_fmac_f32_e32 v7, s35, v36
	ds_add_f32 v0, v5
	ds_add_f32 v0, v7 offset:4
.LBB141_43:                             ;   in Loop: Header=BB141_45 Depth=3
	s_or_b64 exec, exec, s[82:83]
	s_or_b64 s[18:19], s[18:19], exec
.LBB141_44:                             ;   in Loop: Header=BB141_45 Depth=3
	s_or_b64 exec, exec, s[80:81]
	v_add_co_u32_e32 v34, vcc, 1, v34
	v_addc_co_u32_e32 v35, vcc, 0, v35, vcc
	v_cmp_ge_i64_e32 vcc, v[34:35], v[28:29]
	s_xor_b64 s[18:19], s[18:19], -1
	s_or_b64 s[18:19], s[18:19], vcc
	v_mov_b32_e32 v0, s65
	v_add_co_u32_e32 v30, vcc, s64, v30
	v_addc_co_u32_e32 v31, vcc, v31, v0, vcc
	s_and_b64 s[18:19], exec, s[18:19]
	v_add_co_u32_e32 v32, vcc, s64, v32
	s_or_b64 s[78:79], s[18:19], s[78:79]
	v_addc_co_u32_e32 v33, vcc, v33, v0, vcc
	s_andn2_b64 exec, exec, s[78:79]
	s_cbranch_execz .LBB141_58
.LBB141_45:                             ;   Parent Loop BB141_20 Depth=1
                                        ;     Parent Loop BB141_29 Depth=2
                                        ; =>    This Loop Header: Depth=3
                                        ;         Child Loop BB141_57 Depth 4
                                        ;         Child Loop BB141_53 Depth 4
	v_lshlrev_b64 v[36:37], 3, v[34:35]
	v_mov_b32_e32 v0, s45
	v_add_co_u32_e32 v36, vcc, s44, v36
	v_addc_co_u32_e32 v37, vcc, v0, v37, vcc
	global_load_dwordx2 v[36:37], v[36:37], off
	v_mov_b32_e32 v0, s87
	s_waitcnt vmcnt(0)
	v_subrev_co_u32_e32 v36, vcc, s25, v36
	v_subb_co_u32_e32 v37, vcc, v37, v0, vcc
	v_cmp_gt_i64_e64 s[18:19], s[68:69], v[36:37]
	v_cmp_ge_i64_e32 vcc, v[36:37], v[20:21]
	s_or_b64 s[80:81], s[18:19], vcc
                                        ; implicit-def: $sgpr18_sgpr19
	s_and_saveexec_b64 s[82:83], s[80:81]
	s_xor_b64 s[80:81], exec, s[82:83]
	s_cbranch_execz .LBB141_49
; %bb.46:                               ;   in Loop: Header=BB141_45 Depth=3
	s_mov_b64 s[18:19], -1
	s_and_saveexec_b64 s[82:83], vcc
; %bb.47:                               ;   in Loop: Header=BB141_45 Depth=3
	v_cmp_lt_i64_e32 vcc, v[36:37], v[22:23]
	v_cndmask_b32_e32 v23, v23, v37, vcc
	v_cndmask_b32_e32 v22, v22, v36, vcc
	s_xor_b64 s[18:19], exec, -1
	v_pk_mov_b32 v[26:27], v[34:35], v[34:35] op_sel:[0,1]
; %bb.48:                               ;   in Loop: Header=BB141_45 Depth=3
	s_or_b64 exec, exec, s[82:83]
	s_and_b64 s[18:19], s[18:19], exec
                                        ; implicit-def: $vgpr36_vgpr37
.LBB141_49:                             ;   in Loop: Header=BB141_45 Depth=3
	s_andn2_saveexec_b64 s[80:81], s[80:81]
	s_cbranch_execz .LBB141_44
; %bb.50:                               ;   in Loop: Header=BB141_45 Depth=3
	v_subrev_u32_e32 v0, s68, v36
	v_lshlrev_b32_e32 v5, 2, v0
	ds_write_b32 v5, v58 offset:10240
	s_and_saveexec_b64 s[82:83], s[52:53]
	s_cbranch_execz .LBB141_43
; %bb.51:                               ;   in Loop: Header=BB141_45 Depth=3
	s_andn2_b64 vcc, exec, s[20:21]
	s_cbranch_vccnz .LBB141_55
; %bb.52:                               ;   in Loop: Header=BB141_45 Depth=3
	v_mov_b32_e32 v36, 0
	v_mov_b32_e32 v5, v53
	s_mov_b64 s[84:85], s[30:31]
	v_pk_mov_b32 v[38:39], v[30:31], v[30:31] op_sel:[0,1]
	v_mov_b32_e32 v37, v36
.LBB141_53:                             ;   Parent Loop BB141_20 Depth=1
                                        ;     Parent Loop BB141_29 Depth=2
                                        ;       Parent Loop BB141_45 Depth=3
                                        ; =>      This Inner Loop Header: Depth=4
	global_load_dwordx2 v[60:61], v[38:39], off offset:-4
	ds_read_b64 v[62:63], v5
	s_add_u32 s84, s84, -1
	v_add_co_u32_e32 v38, vcc, 8, v38
	s_addc_u32 s85, s85, -1
	v_addc_co_u32_e32 v39, vcc, 0, v39, vcc
	v_add_u32_e32 v5, 64, v5
	s_cmp_lg_u64 s[84:85], 0
	s_waitcnt vmcnt(0) lgkmcnt(0)
	v_pk_fma_f32 v[36:37], v[62:63], v[60:61], v[36:37] op_sel_hi:[1,0,1]
	v_pk_fma_f32 v[36:37], v[62:63], v[60:61], v[36:37] op_sel:[1,1,0] op_sel_hi:[0,1,1] neg_lo:[1,0,0]
	s_cbranch_scc1 .LBB141_53
; %bb.54:                               ;   in Loop: Header=BB141_45 Depth=3
	s_branch .LBB141_42
.LBB141_55:                             ;   in Loop: Header=BB141_45 Depth=3
                                        ; implicit-def: $vgpr37
	s_cbranch_execz .LBB141_42
; %bb.56:                               ;   in Loop: Header=BB141_45 Depth=3
	v_mov_b32_e32 v36, 0
	v_mov_b32_e32 v5, v54
	v_pk_mov_b32 v[38:39], v[32:33], v[32:33] op_sel:[0,1]
	s_mov_b64 s[84:85], s[30:31]
	v_mov_b32_e32 v37, v36
.LBB141_57:                             ;   Parent Loop BB141_20 Depth=1
                                        ;     Parent Loop BB141_29 Depth=2
                                        ;       Parent Loop BB141_45 Depth=3
                                        ; =>      This Inner Loop Header: Depth=4
	global_load_dwordx2 v[60:61], v[38:39], off offset:-4
	ds_read_b64 v[62:63], v5
	s_add_u32 s84, s84, -1
	v_mov_b32_e32 v7, s47
	v_add_co_u32_e32 v38, vcc, s46, v38
	s_addc_u32 s85, s85, -1
	v_add_u32_e32 v5, 8, v5
	v_addc_co_u32_e32 v39, vcc, v39, v7, vcc
	s_cmp_eq_u64 s[84:85], 0
	s_waitcnt vmcnt(0) lgkmcnt(0)
	v_pk_fma_f32 v[36:37], v[62:63], v[60:61], v[36:37] op_sel_hi:[1,0,1]
	v_pk_fma_f32 v[36:37], v[62:63], v[60:61], v[36:37] op_sel:[1,1,0] op_sel_hi:[0,1,1] neg_lo:[1,0,0]
	s_cbranch_scc0 .LBB141_57
	s_branch .LBB141_42
.LBB141_58:                             ;   in Loop: Header=BB141_29 Depth=2
	s_or_b64 exec, exec, s[78:79]
.LBB141_59:                             ;   in Loop: Header=BB141_29 Depth=2
	s_or_b64 exec, exec, s[76:77]
.LBB141_60:                             ;   in Loop: Header=BB141_29 Depth=2
	s_or_b64 exec, exec, s[74:75]
	s_waitcnt lgkmcnt(0)
	s_barrier
	s_and_saveexec_b64 s[18:19], s[16:17]
	s_cbranch_execz .LBB141_28
; %bb.61:                               ;   in Loop: Header=BB141_29 Depth=2
	v_mov_b32_e32 v0, s23
	v_add_co_u32_e32 v24, vcc, s22, v24
	v_addc_co_u32_e32 v25, vcc, v0, v25, vcc
	global_store_dwordx2 v[24:25], v[26:27], off
	s_branch .LBB141_28
.LBB141_62:                             ;   in Loop: Header=BB141_20 Depth=1
	s_andn2_b64 vcc, exec, s[60:61]
	s_cbranch_vccnz .LBB141_74
; %bb.63:                               ;   in Loop: Header=BB141_20 Depth=1
	s_load_dwordx4 s[16:19], s[50:51], 0x0
	s_waitcnt lgkmcnt(0)
	s_sub_u32 s18, s18, s89
	v_mov_b32_e32 v0, s17
	v_add_co_u32_e32 v28, vcc, s16, v44
	s_subb_u32 s19, s19, 0
	v_addc_co_u32_e32 v29, vcc, v0, v45, vcc
	v_cmp_gt_i64_e32 vcc, s[18:19], v[28:29]
	s_and_saveexec_b64 s[70:71], vcc
	s_cbranch_execz .LBB141_73
; %bb.64:                               ;   in Loop: Header=BB141_20 Depth=1
	v_lshlrev_b64 v[24:25], 3, v[28:29]
	v_mov_b32_e32 v0, s37
	v_add_co_u32_e32 v24, vcc, s36, v24
	v_addc_co_u32_e32 v25, vcc, v0, v25, vcc
	v_mad_u64_u32 v[26:27], s[72:73], s64, v28, v[14:15]
	v_mul_lo_u32 v0, s64, v29
	v_mul_lo_u32 v5, s65, v28
	v_add3_u32 v27, v5, v27, v0
	v_mov_b32_e32 v0, s17
	v_add_co_u32_e32 v28, vcc, s16, v55
	v_addc_co_u32_e32 v29, vcc, v56, v0, vcc
	s_mov_b64 s[72:73], 0
	s_branch .LBB141_67
.LBB141_65:                             ;   in Loop: Header=BB141_67 Depth=2
	s_or_b64 exec, exec, s[76:77]
	s_or_b64 s[16:17], s[16:17], exec
.LBB141_66:                             ;   in Loop: Header=BB141_67 Depth=2
	s_or_b64 exec, exec, s[74:75]
	v_cmp_le_i64_e32 vcc, s[18:19], v[28:29]
	s_xor_b64 s[16:17], s[16:17], -1
	s_or_b64 s[16:17], s[16:17], vcc
	v_add_co_u32_e32 v24, vcc, 32, v24
	v_addc_co_u32_e32 v25, vcc, 0, v25, vcc
	v_mov_b32_e32 v0, s67
	v_add_co_u32_e32 v26, vcc, s66, v26
	v_addc_co_u32_e32 v27, vcc, v27, v0, vcc
	s_and_b64 s[16:17], exec, s[16:17]
	v_add_co_u32_e32 v28, vcc, 4, v28
	s_or_b64 s[72:73], s[16:17], s[72:73]
	v_addc_co_u32_e32 v29, vcc, 0, v29, vcc
	s_andn2_b64 exec, exec, s[72:73]
	s_cbranch_execz .LBB141_72
.LBB141_67:                             ;   Parent Loop BB141_20 Depth=1
                                        ; =>  This Inner Loop Header: Depth=2
	global_load_dwordx2 v[30:31], v[24:25], off
	v_mov_b32_e32 v0, s90
	s_waitcnt vmcnt(0)
	v_subrev_co_u32_e32 v30, vcc, s89, v30
	v_subb_co_u32_e32 v31, vcc, v31, v0, vcc
	v_cmp_lt_i64_e32 vcc, v[30:31], v[20:21]
	v_cmp_gt_i64_e64 s[16:17], s[68:69], v[30:31]
	s_xor_b64 s[74:75], vcc, -1
	s_or_b64 s[74:75], s[16:17], s[74:75]
                                        ; implicit-def: $sgpr16_sgpr17
	s_and_saveexec_b64 s[76:77], s[74:75]
	s_xor_b64 s[74:75], exec, s[76:77]
; %bb.68:                               ;   in Loop: Header=BB141_67 Depth=2
	v_cmp_lt_i64_e64 s[16:17], v[30:31], v[22:23]
	v_cndmask_b32_e64 v0, v22, v30, s[16:17]
	v_cndmask_b32_e64 v5, v23, v31, s[16:17]
	v_cndmask_b32_e32 v23, v5, v23, vcc
	v_cndmask_b32_e32 v22, v0, v22, vcc
	s_and_b64 s[16:17], vcc, exec
                                        ; implicit-def: $vgpr30
; %bb.69:                               ;   in Loop: Header=BB141_67 Depth=2
	s_andn2_saveexec_b64 s[74:75], s[74:75]
	s_cbranch_execz .LBB141_66
; %bb.70:                               ;   in Loop: Header=BB141_67 Depth=2
	v_subrev_u32_e32 v0, s68, v30
	v_lshlrev_b32_e32 v5, 2, v0
	ds_write_b32 v5, v58 offset:10240
	s_and_saveexec_b64 s[76:77], s[56:57]
	s_cbranch_execz .LBB141_65
; %bb.71:                               ;   in Loop: Header=BB141_67 Depth=2
	global_load_dwordx2 v[30:31], v[26:27], off offset:-4
	v_lshlrev_b32_e32 v0, 6, v0
	v_or3_b32 v0, v0, v43, v4
	v_lshlrev_b32_e32 v0, 3, v0
	s_waitcnt vmcnt(0)
	v_mul_f32_e64 v5, v31, -s86
	v_mul_f32_e32 v7, s34, v31
	v_fmac_f32_e32 v5, s34, v30
	v_fmac_f32_e32 v7, s86, v30
	ds_add_f32 v0, v5
	ds_add_f32 v0, v7 offset:4
	s_branch .LBB141_65
.LBB141_72:                             ;   in Loop: Header=BB141_20 Depth=1
	s_or_b64 exec, exec, s[72:73]
.LBB141_73:                             ;   in Loop: Header=BB141_20 Depth=1
	s_or_b64 exec, exec, s[70:71]
.LBB141_74:                             ;   in Loop: Header=BB141_20 Depth=1
	s_and_saveexec_b64 s[16:17], s[4:5]
	s_cbranch_execz .LBB141_79
; %bb.75:                               ;   in Loop: Header=BB141_20 Depth=1
	s_mov_b64 s[70:71], exec
	s_mov_b64 s[18:19], -1
.LBB141_76:                             ;   Parent Loop BB141_20 Depth=1
                                        ; =>  This Inner Loop Header: Depth=2
	s_ff1_i32_b64 s74, s[70:71]
	v_readlane_b32 s75, v23, s74
	v_readlane_b32 s76, v22, s74
	v_mov_b32_e32 v20, s76
	v_mov_b32_e32 v21, s75
	v_cmp_lt_u64_e32 vcc, s[18:19], v[20:21]
	s_and_b64 s[72:73], vcc, exec
	s_cselect_b32 s19, s19, s75
	s_cselect_b32 s18, s18, s76
	s_lshl_b64 s[72:73], 1, s74
	s_andn2_b64 s[70:71], s[70:71], s[72:73]
	s_cmp_lg_u64 s[70:71], 0
	s_cbranch_scc1 .LBB141_76
; %bb.77:                               ;   in Loop: Header=BB141_20 Depth=1
	v_mbcnt_lo_u32_b32 v0, exec_lo, 0
	v_mbcnt_hi_u32_b32 v0, exec_hi, v0
	v_cmp_eq_u32_e32 vcc, 0, v0
	s_and_saveexec_b64 s[70:71], vcc
	s_xor_b64 s[70:71], exec, s[70:71]
	s_cbranch_execz .LBB141_79
; %bb.78:                               ;   in Loop: Header=BB141_20 Depth=1
	v_pk_mov_b32 v[20:21], s[18:19], s[18:19] op_sel:[0,1]
	ds_min_u64 v6, v[20:21] offset:10304
.LBB141_79:                             ;   in Loop: Header=BB141_20 Depth=1
	s_or_b64 exec, exec, s[16:17]
	s_waitcnt lgkmcnt(0)
	s_barrier
	ds_read_b32 v0, v46
	s_waitcnt lgkmcnt(0)
	s_barrier
	s_and_saveexec_b64 s[16:17], s[8:9]
	s_cbranch_execz .LBB141_81
; %bb.80:                               ;   in Loop: Header=BB141_20 Depth=1
	ds_read_b32 v5, v47
	s_waitcnt lgkmcnt(0)
	v_add_u32_e32 v0, v5, v0
.LBB141_81:                             ;   in Loop: Header=BB141_20 Depth=1
	s_or_b64 exec, exec, s[16:17]
	s_barrier
	ds_write_b32 v46, v0
	s_waitcnt lgkmcnt(0)
	s_barrier
	s_and_saveexec_b64 s[16:17], s[10:11]
	s_cbranch_execz .LBB141_83
; %bb.82:                               ;   in Loop: Header=BB141_20 Depth=1
	ds_read_b32 v5, v49
	s_waitcnt lgkmcnt(0)
	v_add_u32_e32 v0, v5, v0
.LBB141_83:                             ;   in Loop: Header=BB141_20 Depth=1
	s_or_b64 exec, exec, s[16:17]
	s_barrier
	ds_write_b32 v46, v0
	;; [unrolled: 12-line block ×4, first 2 shown]
	s_waitcnt lgkmcnt(0)
	s_barrier
	ds_read_b32 v7, v6 offset:10300
	v_mov_b32_e32 v5, 0
	s_and_saveexec_b64 s[16:17], s[6:7]
	s_cbranch_execz .LBB141_89
; %bb.88:                               ;   in Loop: Header=BB141_20 Depth=1
	ds_read_b32 v5, v47
.LBB141_89:                             ;   in Loop: Header=BB141_20 Depth=1
	s_or_b64 exec, exec, s[16:17]
	s_waitcnt lgkmcnt(0)
	v_cmp_eq_u32_e32 vcc, v0, v5
	s_and_b64 s[18:19], s[6:7], vcc
	s_barrier
	s_and_saveexec_b64 s[16:17], s[18:19]
	s_cbranch_execz .LBB141_91
; %bb.90:                               ;   in Loop: Header=BB141_20 Depth=1
	ds_write_b32 v46, v6
.LBB141_91:                             ;   in Loop: Header=BB141_20 Depth=1
	s_or_b64 exec, exec, s[16:17]
	v_add_co_u32_e32 v22, vcc, -1, v16
	s_add_u32 s68, s26, s68
	v_addc_co_u32_e32 v23, vcc, -1, v17, vcc
	s_addc_u32 s69, 0, s69
	s_mov_b64 s[16:17], 0
	v_mov_b32_e32 v24, v57
	v_mov_b32_e32 v25, v11
	v_pk_mov_b32 v[20:21], v[2:3], v[2:3] op_sel:[0,1]
	s_waitcnt lgkmcnt(0)
	s_barrier
	s_branch .LBB141_93
.LBB141_92:                             ;   in Loop: Header=BB141_93 Depth=2
	s_or_b64 exec, exec, s[18:19]
	v_add_co_u32_e32 v20, vcc, 4, v20
	v_addc_co_u32_e32 v21, vcc, 0, v21, vcc
	v_add_u32_e32 v0, -4, v20
	v_cmp_lt_u32_e32 vcc, 11, v0
	v_add_u32_e32 v25, 0x800, v25
	s_or_b64 s[16:17], vcc, s[16:17]
	v_add_u32_e32 v24, 16, v24
	s_andn2_b64 exec, exec, s[16:17]
	s_cbranch_execz .LBB141_19
.LBB141_93:                             ;   Parent Loop BB141_20 Depth=1
                                        ; =>  This Inner Loop Header: Depth=2
	ds_read_b32 v0, v24
	s_waitcnt lgkmcnt(0)
	v_cmp_ne_u32_e32 vcc, 0, v0
	s_and_saveexec_b64 s[18:19], vcc
	s_cbranch_execz .LBB141_92
; %bb.94:                               ;   in Loop: Header=BB141_93 Depth=2
	v_mov_b32_e32 v27, s69
	v_add_co_u32_e32 v26, vcc, s68, v20
	v_addc_co_u32_e32 v27, vcc, v27, v21, vcc
	v_ashrrev_i32_e32 v5, 31, v0
	v_add_co_u32_e32 v28, vcc, v16, v0
	v_addc_co_u32_e32 v29, vcc, v17, v5, vcc
	v_lshlrev_b64 v[28:29], 3, v[28:29]
	v_mov_b32_e32 v30, s93
	v_add_co_u32_e32 v28, vcc, s92, v28
	v_addc_co_u32_e32 v29, vcc, v30, v29, vcc
	global_store_dwordx2 v[28:29], v[26:27], off
	s_and_b64 exec, exec, s[56:57]
	s_cbranch_execz .LBB141_92
; %bb.95:                               ;   in Loop: Header=BB141_93 Depth=2
	v_add_co_u32_e32 v0, vcc, v22, v0
	v_addc_co_u32_e32 v5, vcc, v23, v5, vcc
	v_mul_lo_u32 v5, v5, s40
	v_mul_lo_u32 v28, v0, s41
	v_mad_u64_u32 v[26:27], s[70:71], v0, s40, 0
	v_add3_u32 v27, v27, v28, v5
	ds_read_b64 v[28:29], v25
	v_lshlrev_b64 v[26:27], 3, v[26:27]
	v_add_co_u32_e32 v26, vcc, v10, v26
	v_addc_co_u32_e32 v27, vcc, v1, v27, vcc
	s_waitcnt lgkmcnt(0)
	global_store_dwordx2 v[26:27], v[28:29], off
	s_branch .LBB141_92
.LBB141_96:
	s_endpgm
	.section	.rodata,"a",@progbits
	.p2align	6, 0x0
	.amdhsa_kernel _ZN9rocsparseL38bsrgemm_block_per_row_atomic_multipassILj256ELj16ELj8Ell21rocsparse_complex_numIfEEEv20rocsparse_direction_T3_S4_PKS4_S6_NS_24const_host_device_scalarIT4_EEPKT2_S6_PKS8_SC_S6_SE_S9_SC_S6_SE_SC_PS4_PS8_PSA_21rocsparse_index_base_SI_SI_SI_bbb
		.amdhsa_group_segment_fixed_size 10312
		.amdhsa_private_segment_fixed_size 0
		.amdhsa_kernarg_size 180
		.amdhsa_user_sgpr_count 6
		.amdhsa_user_sgpr_private_segment_buffer 1
		.amdhsa_user_sgpr_dispatch_ptr 0
		.amdhsa_user_sgpr_queue_ptr 0
		.amdhsa_user_sgpr_kernarg_segment_ptr 1
		.amdhsa_user_sgpr_dispatch_id 0
		.amdhsa_user_sgpr_flat_scratch_init 0
		.amdhsa_user_sgpr_kernarg_preload_length 0
		.amdhsa_user_sgpr_kernarg_preload_offset 0
		.amdhsa_user_sgpr_private_segment_size 0
		.amdhsa_uses_dynamic_stack 0
		.amdhsa_system_sgpr_private_segment_wavefront_offset 0
		.amdhsa_system_sgpr_workgroup_id_x 1
		.amdhsa_system_sgpr_workgroup_id_y 0
		.amdhsa_system_sgpr_workgroup_id_z 0
		.amdhsa_system_sgpr_workgroup_info 0
		.amdhsa_system_vgpr_workitem_id 0
		.amdhsa_next_free_vgpr 64
		.amdhsa_next_free_sgpr 95
		.amdhsa_accum_offset 64
		.amdhsa_reserve_vcc 1
		.amdhsa_reserve_flat_scratch 0
		.amdhsa_float_round_mode_32 0
		.amdhsa_float_round_mode_16_64 0
		.amdhsa_float_denorm_mode_32 3
		.amdhsa_float_denorm_mode_16_64 3
		.amdhsa_dx10_clamp 1
		.amdhsa_ieee_mode 1
		.amdhsa_fp16_overflow 0
		.amdhsa_tg_split 0
		.amdhsa_exception_fp_ieee_invalid_op 0
		.amdhsa_exception_fp_denorm_src 0
		.amdhsa_exception_fp_ieee_div_zero 0
		.amdhsa_exception_fp_ieee_overflow 0
		.amdhsa_exception_fp_ieee_underflow 0
		.amdhsa_exception_fp_ieee_inexact 0
		.amdhsa_exception_int_div_zero 0
	.end_amdhsa_kernel
	.section	.text._ZN9rocsparseL38bsrgemm_block_per_row_atomic_multipassILj256ELj16ELj8Ell21rocsparse_complex_numIfEEEv20rocsparse_direction_T3_S4_PKS4_S6_NS_24const_host_device_scalarIT4_EEPKT2_S6_PKS8_SC_S6_SE_S9_SC_S6_SE_SC_PS4_PS8_PSA_21rocsparse_index_base_SI_SI_SI_bbb,"axG",@progbits,_ZN9rocsparseL38bsrgemm_block_per_row_atomic_multipassILj256ELj16ELj8Ell21rocsparse_complex_numIfEEEv20rocsparse_direction_T3_S4_PKS4_S6_NS_24const_host_device_scalarIT4_EEPKT2_S6_PKS8_SC_S6_SE_S9_SC_S6_SE_SC_PS4_PS8_PSA_21rocsparse_index_base_SI_SI_SI_bbb,comdat
.Lfunc_end141:
	.size	_ZN9rocsparseL38bsrgemm_block_per_row_atomic_multipassILj256ELj16ELj8Ell21rocsparse_complex_numIfEEEv20rocsparse_direction_T3_S4_PKS4_S6_NS_24const_host_device_scalarIT4_EEPKT2_S6_PKS8_SC_S6_SE_S9_SC_S6_SE_SC_PS4_PS8_PSA_21rocsparse_index_base_SI_SI_SI_bbb, .Lfunc_end141-_ZN9rocsparseL38bsrgemm_block_per_row_atomic_multipassILj256ELj16ELj8Ell21rocsparse_complex_numIfEEEv20rocsparse_direction_T3_S4_PKS4_S6_NS_24const_host_device_scalarIT4_EEPKT2_S6_PKS8_SC_S6_SE_S9_SC_S6_SE_SC_PS4_PS8_PSA_21rocsparse_index_base_SI_SI_SI_bbb
                                        ; -- End function
	.section	.AMDGPU.csdata,"",@progbits
; Kernel info:
; codeLenInByte = 3536
; NumSgprs: 99
; NumVgprs: 64
; NumAgprs: 0
; TotalNumVgprs: 64
; ScratchSize: 0
; MemoryBound: 0
; FloatMode: 240
; IeeeMode: 1
; LDSByteSize: 10312 bytes/workgroup (compile time only)
; SGPRBlocks: 12
; VGPRBlocks: 7
; NumSGPRsForWavesPerEU: 99
; NumVGPRsForWavesPerEU: 64
; AccumOffset: 64
; Occupancy: 6
; WaveLimiterHint : 1
; COMPUTE_PGM_RSRC2:SCRATCH_EN: 0
; COMPUTE_PGM_RSRC2:USER_SGPR: 6
; COMPUTE_PGM_RSRC2:TRAP_HANDLER: 0
; COMPUTE_PGM_RSRC2:TGID_X_EN: 1
; COMPUTE_PGM_RSRC2:TGID_Y_EN: 0
; COMPUTE_PGM_RSRC2:TGID_Z_EN: 0
; COMPUTE_PGM_RSRC2:TIDIG_COMP_CNT: 0
; COMPUTE_PGM_RSRC3_GFX90A:ACCUM_OFFSET: 15
; COMPUTE_PGM_RSRC3_GFX90A:TG_SPLIT: 0
	.section	.text._ZN9rocsparseL38bsrgemm_block_per_row_atomic_multipassILj256ELj32ELj8Ell21rocsparse_complex_numIfEEEv20rocsparse_direction_T3_S4_PKS4_S6_NS_24const_host_device_scalarIT4_EEPKT2_S6_PKS8_SC_S6_SE_S9_SC_S6_SE_SC_PS4_PS8_PSA_21rocsparse_index_base_SI_SI_SI_bbb,"axG",@progbits,_ZN9rocsparseL38bsrgemm_block_per_row_atomic_multipassILj256ELj32ELj8Ell21rocsparse_complex_numIfEEEv20rocsparse_direction_T3_S4_PKS4_S6_NS_24const_host_device_scalarIT4_EEPKT2_S6_PKS8_SC_S6_SE_S9_SC_S6_SE_SC_PS4_PS8_PSA_21rocsparse_index_base_SI_SI_SI_bbb,comdat
	.globl	_ZN9rocsparseL38bsrgemm_block_per_row_atomic_multipassILj256ELj32ELj8Ell21rocsparse_complex_numIfEEEv20rocsparse_direction_T3_S4_PKS4_S6_NS_24const_host_device_scalarIT4_EEPKT2_S6_PKS8_SC_S6_SE_S9_SC_S6_SE_SC_PS4_PS8_PSA_21rocsparse_index_base_SI_SI_SI_bbb ; -- Begin function _ZN9rocsparseL38bsrgemm_block_per_row_atomic_multipassILj256ELj32ELj8Ell21rocsparse_complex_numIfEEEv20rocsparse_direction_T3_S4_PKS4_S6_NS_24const_host_device_scalarIT4_EEPKT2_S6_PKS8_SC_S6_SE_S9_SC_S6_SE_SC_PS4_PS8_PSA_21rocsparse_index_base_SI_SI_SI_bbb
	.p2align	8
	.type	_ZN9rocsparseL38bsrgemm_block_per_row_atomic_multipassILj256ELj32ELj8Ell21rocsparse_complex_numIfEEEv20rocsparse_direction_T3_S4_PKS4_S6_NS_24const_host_device_scalarIT4_EEPKT2_S6_PKS8_SC_S6_SE_S9_SC_S6_SE_SC_PS4_PS8_PSA_21rocsparse_index_base_SI_SI_SI_bbb,@function
_ZN9rocsparseL38bsrgemm_block_per_row_atomic_multipassILj256ELj32ELj8Ell21rocsparse_complex_numIfEEEv20rocsparse_direction_T3_S4_PKS4_S6_NS_24const_host_device_scalarIT4_EEPKT2_S6_PKS8_SC_S6_SE_S9_SC_S6_SE_SC_PS4_PS8_PSA_21rocsparse_index_base_SI_SI_SI_bbb: ; @_ZN9rocsparseL38bsrgemm_block_per_row_atomic_multipassILj256ELj32ELj8Ell21rocsparse_complex_numIfEEEv20rocsparse_direction_T3_S4_PKS4_S6_NS_24const_host_device_scalarIT4_EEPKT2_S6_PKS8_SC_S6_SE_S9_SC_S6_SE_SC_PS4_PS8_PSA_21rocsparse_index_base_SI_SI_SI_bbb
; %bb.0:
	s_load_dwordx8 s[36:43], s[4:5], 0x90
	s_load_dword s7, s[4:5], 0xb0
	s_load_dwordx8 s[8:15], s[4:5], 0x70
                                        ; implicit-def: $vgpr59 : SGPR spill to VGPR lane
	s_mov_b32 s35, 0
	s_mov_b32 s33, 0
	s_waitcnt lgkmcnt(0)
	s_bitcmp1_b32 s7, 0
	v_writelane_b32 v59, s8, 0
	v_writelane_b32 v59, s9, 1
	;; [unrolled: 1-line block ×8, first 2 shown]
	s_load_dwordx8 s[52:59], s[4:5], 0x50
	s_load_dwordx4 s[8:11], s[4:5], 0x18
	s_load_dwordx8 s[60:67], s[4:5], 0x30
	s_cselect_b64 s[12:13], -1, 0
	s_bitcmp1_b32 s7, 16
	s_cselect_b64 s[0:1], -1, 0
	s_xor_b64 s[2:3], s[0:1], -1
	s_bitcmp0_b32 s7, 0
	s_cbranch_scc1 .LBB142_5
; %bb.1:
	s_load_dwordx2 s[34:35], s[4:5], 0x28
	v_cndmask_b32_e64 v1, 0, 1, s[2:3]
	v_cmp_ne_u32_e64 s[0:1], 1, v1
	s_andn2_b64 vcc, exec, s[2:3]
	s_waitcnt lgkmcnt(0)
	s_mov_b32 s33, s34
	s_cbranch_vccnz .LBB142_3
; %bb.2:
	s_load_dword s33, s[34:35], 0x0
.LBB142_3:
	s_and_b64 vcc, exec, s[0:1]
	s_cbranch_vccnz .LBB142_5
; %bb.4:
	s_load_dword s35, s[34:35], 0x4
.LBB142_5:
	s_bitcmp1_b32 s7, 8
	s_cselect_b64 s[68:69], -1, 0
	s_bfe_u32 s0, s7, 0x10008
	s_mov_b32 s94, 0
	s_cmp_eq_u32 s0, 0
	s_mov_b32 s34, 0
	s_cbranch_scc1 .LBB142_11
; %bb.6:
	v_cndmask_b32_e64 v1, 0, 1, s[2:3]
	v_cmp_ne_u32_e64 s[0:1], 1, v1
	s_andn2_b64 vcc, exec, s[2:3]
	s_waitcnt lgkmcnt(0)
	s_mov_b32 s34, s56
	s_cbranch_vccnz .LBB142_8
; %bb.7:
	s_load_dword s34, s[56:57], 0x0
.LBB142_8:
	s_and_b64 vcc, exec, s[0:1]
	s_cbranch_vccnz .LBB142_10
; %bb.9:
	s_load_dword s57, s[56:57], 0x4
.LBB142_10:
	s_waitcnt lgkmcnt(0)
	s_mov_b32 s94, s57
.LBB142_11:
	s_waitcnt lgkmcnt(0)
	s_mov_b64 s[56:57], 0
	s_cmp_eq_u64 s[10:11], 0
	s_mov_b32 s7, 0
	s_cbranch_scc1 .LBB142_13
; %bb.12:
	s_load_dwordx2 s[0:1], s[8:9], 0x0
	s_waitcnt lgkmcnt(0)
	s_lshl_b64 s[0:1], s[0:1], 3
	s_add_u32 s2, s10, s0
	s_addc_u32 s3, s11, s1
	s_lshl_b64 s[0:1], s[6:7], 3
	s_add_u32 s0, s2, s0
	s_addc_u32 s1, s3, s1
	s_load_dwordx2 s[6:7], s[0:1], 0x0
.LBB142_13:
	v_cndmask_b32_e64 v1, 0, 1, s[12:13]
	v_cmp_ne_u32_e64 s[0:1], 1, v1
	s_andn2_b64 vcc, exec, s[12:13]
	s_cbranch_vccz .LBB142_16
; %bb.14:
	s_and_b64 vcc, exec, s[0:1]
	s_mov_b64 s[70:71], 0
	s_cbranch_vccz .LBB142_17
.LBB142_15:
	s_load_dwordx4 s[28:31], s[4:5], 0x8
	s_waitcnt lgkmcnt(0)
	v_cmp_lt_i64_e64 s[0:1], s[28:29], 1
	s_and_b64 vcc, exec, s[0:1]
	s_cbranch_vccz .LBB142_18
	s_branch .LBB142_102
.LBB142_16:
	s_waitcnt lgkmcnt(0)
	s_lshl_b64 s[2:3], s[6:7], 3
	s_add_u32 s2, s60, s2
	s_addc_u32 s3, s61, s3
	s_load_dwordx2 s[2:3], s[2:3], 0x0
	s_waitcnt lgkmcnt(0)
	s_sub_u32 s56, s2, s40
	s_subb_u32 s57, s3, 0
	s_and_b64 vcc, exec, s[0:1]
	s_mov_b64 s[70:71], 0
	s_cbranch_vccnz .LBB142_15
.LBB142_17:
	s_waitcnt lgkmcnt(0)
	s_lshl_b64 s[0:1], s[6:7], 3
	s_add_u32 s0, s60, s0
	s_addc_u32 s1, s61, s1
	s_load_dwordx2 s[0:1], s[0:1], 0x8
	s_waitcnt lgkmcnt(0)
	s_sub_u32 s70, s0, s40
	s_subb_u32 s71, s1, 0
	s_load_dwordx4 s[28:31], s[4:5], 0x8
	s_waitcnt lgkmcnt(0)
	v_cmp_lt_i64_e64 s[0:1], s[28:29], 1
	s_and_b64 vcc, exec, s[0:1]
	s_cbranch_vccnz .LBB142_102
.LBB142_18:
	s_load_dwordx8 s[44:51], s[4:5], 0x70
	s_lshl_b64 s[6:7], s[6:7], 3
	s_load_dword s14, s[4:5], 0x0
	s_mul_i32 s4, s30, s31
	s_mul_hi_u32 s5, s30, s30
	s_waitcnt lgkmcnt(0)
	s_add_u32 s0, s48, s6
	s_addc_u32 s1, s49, s7
	s_load_dwordx2 s[0:1], s[0:1], 0x0
	v_bfe_u32 v12, v0, 3, 3
	v_lshlrev_b32_e32 v11, 3, v0
	v_pk_mov_b32 v[6:7], s[70:71], s[70:71] op_sel:[0,1]
	v_and_b32_e32 v4, 7, v0
	s_waitcnt lgkmcnt(0)
	s_sub_u32 s24, s0, s42
	s_subb_u32 s25, s1, 0
	s_add_i32 s5, s5, s4
	s_add_i32 s49, s5, s4
	v_mad_u64_u32 v[8:9], s[4:5], v12, s30, 0
	v_mov_b32_e32 v10, v9
	v_mad_u64_u32 v[14:15], s[4:5], v12, s31, v[10:11]
	v_mov_b32_e32 v9, v14
	v_lshlrev_b64 v[14:15], 3, v[8:9]
	v_cmp_lt_i64_e32 vcc, s[56:57], v[6:7]
	v_mov_b32_e32 v7, s65
	v_add_co_u32_e64 v10, s[4:5], s64, v14
	v_addc_co_u32_e64 v7, s[4:5], v7, v15, s[4:5]
	v_lshlrev_b32_e32 v8, 3, v4
	v_mov_b32_e32 v6, 0
	v_add_co_u32_e64 v41, s[4:5], v10, v8
	v_mov_b32_e32 v5, v6
	v_mov_b32_e32 v13, v6
	v_addc_co_u32_e64 v42, s[4:5], 0, v7, s[4:5]
	v_cmp_gt_i64_e64 s[10:11], s[30:31], v[4:5]
	v_cmp_gt_i64_e64 s[4:5], s[30:31], v[12:13]
	v_cmp_gt_u64_e64 s[8:9], s[30:31], v[12:13]
	s_and_b64 s[60:61], s[10:11], s[4:5]
	v_mad_u64_u32 v[12:13], s[4:5], v4, s30, 0
	v_mov_b32_e32 v10, v13
	v_mad_u64_u32 v[16:17], s[4:5], v4, s31, v[10:11]
	v_mov_b32_e32 v13, v16
	v_lshlrev_b64 v[12:13], 3, v[12:13]
	v_mov_b32_e32 v5, s37
	v_add_co_u32_e64 v7, s[4:5], s36, v12
	v_and_b32_e32 v43, 56, v0
	v_addc_co_u32_e64 v10, s[4:5], v5, v13, s[4:5]
	v_add_co_u32_e64 v7, s[4:5], v7, v43
	v_addc_co_u32_e64 v10, s[4:5], 0, v10, s[4:5]
	v_add_co_u32_e64 v16, s[4:5], s36, v14
	;; [unrolled: 2-line block ×3, first 2 shown]
	v_lshrrev_b32_e32 v2, 6, v0
	v_addc_co_u32_e64 v5, s[4:5], 0, v5, s[4:5]
	v_subrev_co_u32_e64 v44, s[4:5], s43, v2
	v_subb_co_u32_e64 v45, s[4:5], 0, 0, s[4:5]
	v_mov_b32_e32 v17, s47
	v_add_co_u32_e64 v12, s[4:5], s46, v12
	s_cmp_eq_u32 s14, 0
	v_addc_co_u32_e64 v13, s[4:5], v17, v13, s[4:5]
	s_movk_i32 s20, 0x200
	s_cselect_b64 s[18:19], -1, 0
	s_cmp_lg_u32 s14, 0
	v_add_co_u32_e64 v12, s[4:5], v12, v43
	v_cmp_gt_u32_e64 s[20:21], s20, v0
	s_cselect_b64 s[36:37], -1, 0
	s_add_u32 s58, s58, s6
	v_addc_co_u32_e64 v13, s[4:5], 0, v13, s[4:5]
	v_writelane_b32 v59, s20, 8
	s_addc_u32 s59, s59, s7
	v_add_co_u32_e64 v14, s[4:5], s46, v14
	s_and_b64 s[46:47], s[12:13], vcc
	s_and_b64 s[64:65], s[10:11], s[8:9]
	v_writelane_b32 v59, s21, 9
	s_movk_i32 s20, 0x100
	s_mov_b32 s23, s43
	v_cmp_gt_u32_e64 s[20:21], s20, v0
	s_add_u32 s43, s66, 8
	v_addc_co_u32_e64 v15, s[4:5], v17, v15, s[4:5]
	v_writelane_b32 v59, s20, 10
	s_addc_u32 s45, s67, 0
	v_add_co_u32_e64 v14, s[4:5], v14, v8
	v_writelane_b32 v59, s21, 11
	s_add_u32 s20, s50, -8
	v_and_b32_e32 v1, 63, v0
	v_addc_co_u32_e64 v15, s[4:5], 0, v15, s[4:5]
	s_addc_u32 s21, s51, -1
	v_cmp_eq_u32_e64 s[4:5], 63, v1
	v_and_b32_e32 v1, 31, v0
	v_mov_b32_e32 v20, 0x4800
	s_add_u32 s50, s54, 4
	v_cmp_gt_u32_e64 s[0:1], 32, v0
	v_cmp_eq_u32_e64 s[2:3], 0, v0
	s_movk_i32 s26, 0x4000
	v_lshlrev_b32_e32 v17, 2, v1
	v_add_co_u32_e64 v18, s[6:7], -1, v1
	v_lshl_or_b32 v48, v0, 2, v20
	v_cmp_ne_u32_e64 s[8:9], 0, v1
	v_cmp_lt_u32_e64 s[10:11], 1, v1
	v_cmp_lt_u32_e64 s[12:13], 3, v1
	v_cmp_lt_u32_e64 s[14:15], 7, v1
	v_cmp_lt_u32_e64 s[16:17], 15, v1
	v_cndmask_b32_e64 v1, v10, v5, s[18:19]
	v_cndmask_b32_e64 v10, v7, v16, s[18:19]
	;; [unrolled: 1-line block ×4, first 2 shown]
	v_or_b32_e32 v12, 0x400, v0
	s_movk_i32 s18, 0x700
	s_addc_u32 s51, s55, 0
	v_lshlrev_b32_e32 v0, 9, v2
	v_cmp_gt_u32_e64 s[18:19], s18, v12
	v_or3_b32 v53, v0, v43, s26
	v_mov_b32_e32 v0, s51
	v_add_co_u32_e32 v12, vcc, s50, v8
	v_addc_co_u32_e32 v13, vcc, 0, v0, vcc
	v_add_co_u32_e32 v14, vcc, 4, v7
	s_mov_b32 s95, 0
	v_addc_co_u32_e32 v15, vcc, 0, v5, vcc
	s_mul_i32 s48, s30, s30
	v_or_b32_e32 v46, 0x4800, v17
	v_lshl_add_u32 v47, v18, 2, v20
	v_add_u32_e32 v49, 0x47f8, v17
	v_add_u32_e32 v50, 0x47f0, v17
	;; [unrolled: 1-line block ×4, first 2 shown]
	v_add_co_u32_e32 v54, vcc, 4, v44
	v_pk_mov_b32 v[16:17], s[24:25], s[24:25] op_sel:[0,1]
	s_mov_b32 s24, s95
	s_mov_b32 s25, s95
	v_and_b32_e32 v0, 0x7c0, v11
	v_lshl_or_b32 v57, v2, 2, v20
	v_mov_b32_e32 v20, 32
	v_mov_b32_e32 v3, v6
	v_or_b32_e32 v40, 0x4000, v11
	v_mov_b32_e32 v9, v6
	s_mov_b32 s22, s95
	s_mov_b32 s44, s95
	v_addc_co_u32_e32 v55, vcc, 0, v45, vcc
	s_lshl_b64 s[54:55], s[30:31], 3
	v_pk_mov_b32 v[18:19], s[24:25], s[24:25] op_sel:[0,1]
	s_lshl_b64 s[72:73], s[48:49], 3
	v_or_b32_e32 v56, 0x4000, v0
	s_lshl_b64 s[74:75], s[48:49], 5
	s_mov_b64 s[76:77], 0
	v_mov_b32_e32 v21, 0
	v_mov_b32_e32 v58, 1
	s_branch .LBB142_20
.LBB142_19:                             ;   in Loop: Header=BB142_20 Depth=1
	s_or_b64 exec, exec, s[24:25]
	s_barrier
	ds_read_b64 v[22:23], v6 offset:18560
	v_ashrrev_i32_e32 v0, 31, v7
	v_add_co_u32_e32 v16, vcc, v16, v7
	v_addc_co_u32_e32 v17, vcc, v17, v0, vcc
	s_waitcnt lgkmcnt(0)
	v_add_co_u32_e32 v20, vcc, 32, v22
	v_addc_co_u32_e32 v21, vcc, 0, v23, vcc
	v_cmp_le_i64_e32 vcc, s[28:29], v[22:23]
	v_readfirstlane_b32 s76, v22
	v_readfirstlane_b32 s77, v23
	s_barrier
	s_cbranch_vccnz .LBB142_102
.LBB142_20:                             ; =>This Loop Header: Depth=1
                                        ;     Child Loop BB142_33 Depth 2
                                        ;       Child Loop BB142_49 Depth 3
                                        ;         Child Loop BB142_61 Depth 4
                                        ;         Child Loop BB142_57 Depth 4
                                        ;     Child Loop BB142_71 Depth 2
                                        ;     Child Loop BB142_80 Depth 2
	;; [unrolled: 1-line block ×3, first 2 shown]
	s_and_saveexec_b64 s[24:25], s[0:1]
	s_cbranch_execz .LBB142_22
; %bb.21:                               ;   in Loop: Header=BB142_20 Depth=1
	ds_write_b32 v48, v6
.LBB142_22:                             ;   in Loop: Header=BB142_20 Depth=1
	s_or_b64 exec, exec, s[24:25]
	ds_write2st64_b64 v11, v[18:19], v[18:19] offset1:4
	ds_write2st64_b64 v11, v[18:19], v[18:19] offset0:8 offset1:12
	ds_write_b64 v11, v[18:19] offset:8192
	s_and_saveexec_b64 s[24:25], s[18:19]
	s_xor_b64 s[24:25], exec, s[24:25]
	s_cbranch_execz .LBB142_28
; %bb.23:                               ;   in Loop: Header=BB142_20 Depth=1
	v_mov_b32_e32 v7, v6
	ds_write_b64 v11, v[6:7] offset:10240
	s_mov_b64 s[26:27], exec
	v_readlane_b32 s78, v59, 8
	v_readlane_b32 s79, v59, 9
	s_and_b64 s[78:79], s[26:27], s[78:79]
	s_xor_b64 s[26:27], s[78:79], s[26:27]
	s_mov_b64 exec, s[78:79]
	s_cbranch_execz .LBB142_27
; %bb.24:                               ;   in Loop: Header=BB142_20 Depth=1
	ds_write_b64 v11, v[6:7] offset:12288
	s_mov_b64 s[78:79], exec
	v_readlane_b32 s80, v59, 10
	v_readlane_b32 s81, v59, 11
	s_and_b64 s[80:81], s[78:79], s[80:81]
	s_xor_b64 s[78:79], s[80:81], s[78:79]
	s_mov_b64 exec, s[80:81]
	s_cbranch_execz .LBB142_26
; %bb.25:                               ;   in Loop: Header=BB142_20 Depth=1
	v_mov_b32_e32 v7, v6
	ds_write_b64 v11, v[6:7] offset:14336
.LBB142_26:                             ;   in Loop: Header=BB142_20 Depth=1
	s_or_b64 exec, exec, s[78:79]
.LBB142_27:                             ;   in Loop: Header=BB142_20 Depth=1
	s_or_b64 exec, exec, s[26:27]
.LBB142_28:                             ;   in Loop: Header=BB142_20 Depth=1
	s_or_b64 exec, exec, s[24:25]
	s_and_saveexec_b64 s[24:25], s[2:3]
	s_cbranch_execz .LBB142_30
; %bb.29:                               ;   in Loop: Header=BB142_20 Depth=1
	v_pk_mov_b32 v[22:23], s[28:29], s[28:29] op_sel:[0,1]
	ds_write_b64 v6, v[22:23] offset:18560
.LBB142_30:                             ;   in Loop: Header=BB142_20 Depth=1
	s_or_b64 exec, exec, s[24:25]
	s_andn2_b64 vcc, exec, s[46:47]
	v_pk_mov_b32 v[22:23], s[28:29], s[28:29] op_sel:[0,1]
	s_waitcnt lgkmcnt(0)
	s_barrier
	s_cbranch_vccnz .LBB142_66
; %bb.31:                               ;   in Loop: Header=BB142_20 Depth=1
	s_cmp_lg_u64 s[76:77], 0
	s_cselect_b64 s[78:79], -1, 0
	v_pk_mov_b32 v[22:23], s[28:29], s[28:29] op_sel:[0,1]
	s_mov_b64 s[80:81], s[56:57]
	s_branch .LBB142_33
.LBB142_32:                             ;   in Loop: Header=BB142_33 Depth=2
	s_or_b64 exec, exec, s[26:27]
	s_add_u32 s80, s80, 4
	s_addc_u32 s81, s81, 0
	v_pk_mov_b32 v[24:25], s[70:71], s[70:71] op_sel:[0,1]
	v_cmp_lt_i64_e32 vcc, s[80:81], v[24:25]
	s_cbranch_vccz .LBB142_66
.LBB142_33:                             ;   Parent Loop BB142_20 Depth=1
                                        ; =>  This Loop Header: Depth=2
                                        ;       Child Loop BB142_49 Depth 3
                                        ;         Child Loop BB142_61 Depth 4
                                        ;         Child Loop BB142_57 Depth 4
	v_mov_b32_e32 v0, s81
	v_add_co_u32_e32 v24, vcc, s80, v2
	v_addc_co_u32_e32 v25, vcc, 0, v0, vcc
	v_cmp_gt_i64_e64 s[24:25], s[70:71], v[24:25]
	s_barrier
	s_and_saveexec_b64 s[26:27], s[24:25]
	s_cbranch_execz .LBB142_38
; %bb.34:                               ;   in Loop: Header=BB142_33 Depth=2
	s_and_saveexec_b64 s[82:83], s[64:65]
	s_xor_b64 s[82:83], exec, s[82:83]
	s_cbranch_execz .LBB142_36
; %bb.35:                               ;   in Loop: Header=BB142_33 Depth=2
	v_mul_lo_u32 v0, v25, s48
	v_mul_lo_u32 v5, v24, s49
	v_mad_u64_u32 v[26:27], s[84:85], v24, s48, 0
	v_add3_u32 v27, v27, v5, v0
	v_lshlrev_b64 v[26:27], 3, v[26:27]
	v_add_co_u32_e32 v26, vcc, v41, v26
	v_addc_co_u32_e32 v27, vcc, v42, v27, vcc
	global_load_dwordx2 v[26:27], v[26:27], off
	s_waitcnt vmcnt(0)
	ds_write_b64 v40, v[26:27]
.LBB142_36:                             ;   in Loop: Header=BB142_33 Depth=2
	s_andn2_saveexec_b64 s[82:83], s[82:83]
	s_cbranch_execz .LBB142_38
; %bb.37:                               ;   in Loop: Header=BB142_33 Depth=2
	v_mov_b32_e32 v7, v6
	ds_write_b64 v40, v[6:7]
.LBB142_38:                             ;   in Loop: Header=BB142_33 Depth=2
	s_or_b64 exec, exec, s[26:27]
	v_pk_mov_b32 v[26:27], 0, 0
	v_lshlrev_b64 v[24:25], 3, v[24:25]
	s_waitcnt lgkmcnt(0)
	s_barrier
	s_and_saveexec_b64 s[82:83], s[24:25]
	s_cbranch_execz .LBB142_64
; %bb.39:                               ;   in Loop: Header=BB142_33 Depth=2
	v_mov_b32_e32 v0, s63
	v_add_co_u32_e32 v26, vcc, s62, v24
	v_addc_co_u32_e32 v27, vcc, v0, v25, vcc
	global_load_dwordx2 v[28:29], v[26:27], off
	s_and_b64 vcc, exec, s[78:79]
	s_cbranch_vccz .LBB142_41
; %bb.40:                               ;   in Loop: Header=BB142_33 Depth=2
	v_mov_b32_e32 v0, s39
	v_add_co_u32_e32 v26, vcc, s38, v24
	v_addc_co_u32_e32 v27, vcc, v0, v25, vcc
	global_load_dwordx2 v[26:27], v[26:27], off
	s_mov_b64 s[26:27], 0
	s_branch .LBB142_42
.LBB142_41:                             ;   in Loop: Header=BB142_33 Depth=2
	s_mov_b64 s[26:27], -1
                                        ; implicit-def: $vgpr26_vgpr27
.LBB142_42:                             ;   in Loop: Header=BB142_33 Depth=2
	v_mov_b32_e32 v0, s22
	s_waitcnt vmcnt(0)
	v_subrev_co_u32_e32 v28, vcc, s40, v28
	v_subb_co_u32_e32 v29, vcc, v29, v0, vcc
	s_andn2_b64 vcc, exec, s[26:27]
	v_lshlrev_b64 v[28:29], 3, v[28:29]
	s_cbranch_vccnz .LBB142_44
; %bb.43:                               ;   in Loop: Header=BB142_33 Depth=2
	v_mov_b32_e32 v0, s67
	v_add_co_u32_e32 v26, vcc, s66, v28
	v_addc_co_u32_e32 v27, vcc, v0, v29, vcc
	global_load_dwordx2 v[26:27], v[26:27], off
	v_mov_b32_e32 v0, s95
	s_waitcnt vmcnt(0)
	v_subrev_co_u32_e32 v26, vcc, s41, v26
	v_subb_co_u32_e32 v27, vcc, v27, v0, vcc
.LBB142_44:                             ;   in Loop: Header=BB142_33 Depth=2
	v_mov_b32_e32 v0, s45
	v_add_co_u32_e32 v28, vcc, s43, v28
	v_addc_co_u32_e32 v29, vcc, v0, v29, vcc
	global_load_dwordx2 v[28:29], v[28:29], off
	v_mov_b32_e32 v0, s95
	s_waitcnt vmcnt(0)
	v_subrev_co_u32_e32 v28, vcc, s41, v28
	v_subb_co_u32_e32 v29, vcc, v29, v0, vcc
	v_cmp_lt_i64_e32 vcc, v[26:27], v[28:29]
	s_and_saveexec_b64 s[84:85], vcc
	s_cbranch_execz .LBB142_63
; %bb.45:                               ;   in Loop: Header=BB142_33 Depth=2
	v_mad_u64_u32 v[30:31], s[26:27], s54, v26, v[8:9]
	v_mul_lo_u32 v0, s54, v27
	v_mul_lo_u32 v5, s55, v26
	v_add3_u32 v0, v5, v31, v0
	v_pk_mov_b32 v[32:33], s[50:51], s[50:51] op_sel:[0,1]
	v_mul_lo_u32 v5, s31, v30
	v_mul_lo_u32 v0, s30, v0
	v_mad_u64_u32 v[30:31], s[26:27], s30, v30, v[32:33]
	v_add3_u32 v31, v5, v31, v0
	v_mad_u64_u32 v[32:33], s[26:27], s72, v26, v[12:13]
	v_mul_lo_u32 v0, s72, v27
	v_mul_lo_u32 v5, s73, v26
	v_add3_u32 v33, v5, v33, v0
	s_mov_b64 s[86:87], 0
	v_pk_mov_b32 v[34:35], v[26:27], v[26:27] op_sel:[0,1]
	s_branch .LBB142_49
.LBB142_46:                             ;   in Loop: Header=BB142_49 Depth=3
	v_lshlrev_b32_e32 v0, 6, v0
	v_or3_b32 v0, v0, v43, v4
	v_mul_f32_e64 v5, v37, -s35
	v_lshlrev_b32_e32 v0, 3, v0
	v_fmac_f32_e32 v5, s33, v36
	v_mul_f32_e32 v7, s33, v37
	v_fmac_f32_e32 v7, s35, v36
	ds_add_f32 v0, v5
	ds_add_f32 v0, v7 offset:4
.LBB142_47:                             ;   in Loop: Header=BB142_49 Depth=3
	s_or_b64 exec, exec, s[90:91]
	s_or_b64 s[26:27], s[26:27], exec
.LBB142_48:                             ;   in Loop: Header=BB142_49 Depth=3
	s_or_b64 exec, exec, s[88:89]
	v_add_co_u32_e32 v34, vcc, 1, v34
	v_addc_co_u32_e32 v35, vcc, 0, v35, vcc
	v_cmp_ge_i64_e32 vcc, v[34:35], v[28:29]
	s_xor_b64 s[26:27], s[26:27], -1
	s_or_b64 s[26:27], s[26:27], vcc
	v_mov_b32_e32 v0, s73
	v_add_co_u32_e32 v30, vcc, s72, v30
	v_addc_co_u32_e32 v31, vcc, v31, v0, vcc
	s_and_b64 s[26:27], exec, s[26:27]
	v_add_co_u32_e32 v32, vcc, s72, v32
	s_or_b64 s[86:87], s[26:27], s[86:87]
	v_addc_co_u32_e32 v33, vcc, v33, v0, vcc
	s_andn2_b64 exec, exec, s[86:87]
	s_cbranch_execz .LBB142_62
.LBB142_49:                             ;   Parent Loop BB142_20 Depth=1
                                        ;     Parent Loop BB142_33 Depth=2
                                        ; =>    This Loop Header: Depth=3
                                        ;         Child Loop BB142_61 Depth 4
                                        ;         Child Loop BB142_57 Depth 4
	v_lshlrev_b64 v[36:37], 3, v[34:35]
	v_mov_b32_e32 v0, s53
	v_add_co_u32_e32 v36, vcc, s52, v36
	v_addc_co_u32_e32 v37, vcc, v0, v37, vcc
	global_load_dwordx2 v[36:37], v[36:37], off
	v_mov_b32_e32 v0, s95
	s_waitcnt vmcnt(0)
	v_subrev_co_u32_e32 v36, vcc, s41, v36
	v_subb_co_u32_e32 v37, vcc, v37, v0, vcc
	v_cmp_gt_i64_e64 s[26:27], s[76:77], v[36:37]
	v_cmp_ge_i64_e32 vcc, v[36:37], v[20:21]
	s_or_b64 s[88:89], s[26:27], vcc
                                        ; implicit-def: $sgpr26_sgpr27
	s_and_saveexec_b64 s[90:91], s[88:89]
	s_xor_b64 s[88:89], exec, s[90:91]
	s_cbranch_execz .LBB142_53
; %bb.50:                               ;   in Loop: Header=BB142_49 Depth=3
	s_mov_b64 s[26:27], -1
	s_and_saveexec_b64 s[90:91], vcc
; %bb.51:                               ;   in Loop: Header=BB142_49 Depth=3
	v_cmp_lt_i64_e32 vcc, v[36:37], v[22:23]
	v_cndmask_b32_e32 v23, v23, v37, vcc
	v_cndmask_b32_e32 v22, v22, v36, vcc
	s_xor_b64 s[26:27], exec, -1
	v_pk_mov_b32 v[26:27], v[34:35], v[34:35] op_sel:[0,1]
; %bb.52:                               ;   in Loop: Header=BB142_49 Depth=3
	s_or_b64 exec, exec, s[90:91]
	s_and_b64 s[26:27], s[26:27], exec
                                        ; implicit-def: $vgpr36_vgpr37
.LBB142_53:                             ;   in Loop: Header=BB142_49 Depth=3
	s_andn2_saveexec_b64 s[88:89], s[88:89]
	s_cbranch_execz .LBB142_48
; %bb.54:                               ;   in Loop: Header=BB142_49 Depth=3
	v_subrev_u32_e32 v0, s76, v36
	v_lshlrev_b32_e32 v5, 2, v0
	ds_write_b32 v5, v58 offset:18432
	s_and_saveexec_b64 s[90:91], s[60:61]
	s_cbranch_execz .LBB142_47
; %bb.55:                               ;   in Loop: Header=BB142_49 Depth=3
	s_andn2_b64 vcc, exec, s[36:37]
	s_cbranch_vccnz .LBB142_59
; %bb.56:                               ;   in Loop: Header=BB142_49 Depth=3
	v_mov_b32_e32 v36, 0
	v_mov_b32_e32 v5, v53
	s_mov_b64 s[92:93], s[30:31]
	v_pk_mov_b32 v[38:39], v[30:31], v[30:31] op_sel:[0,1]
	v_mov_b32_e32 v37, v36
.LBB142_57:                             ;   Parent Loop BB142_20 Depth=1
                                        ;     Parent Loop BB142_33 Depth=2
                                        ;       Parent Loop BB142_49 Depth=3
                                        ; =>      This Inner Loop Header: Depth=4
	global_load_dwordx2 v[60:61], v[38:39], off offset:-4
	ds_read_b64 v[62:63], v5
	s_add_u32 s92, s92, -1
	v_add_co_u32_e32 v38, vcc, 8, v38
	s_addc_u32 s93, s93, -1
	v_addc_co_u32_e32 v39, vcc, 0, v39, vcc
	v_add_u32_e32 v5, 64, v5
	s_cmp_lg_u64 s[92:93], 0
	s_waitcnt vmcnt(0) lgkmcnt(0)
	v_pk_fma_f32 v[36:37], v[62:63], v[60:61], v[36:37] op_sel_hi:[1,0,1]
	v_pk_fma_f32 v[36:37], v[62:63], v[60:61], v[36:37] op_sel:[1,1,0] op_sel_hi:[0,1,1] neg_lo:[1,0,0]
	s_cbranch_scc1 .LBB142_57
; %bb.58:                               ;   in Loop: Header=BB142_49 Depth=3
	s_branch .LBB142_46
.LBB142_59:                             ;   in Loop: Header=BB142_49 Depth=3
                                        ; implicit-def: $vgpr37
	s_cbranch_execz .LBB142_46
; %bb.60:                               ;   in Loop: Header=BB142_49 Depth=3
	v_mov_b32_e32 v36, 0
	v_mov_b32_e32 v5, v56
	v_pk_mov_b32 v[38:39], v[32:33], v[32:33] op_sel:[0,1]
	s_mov_b64 s[92:93], s[30:31]
	v_mov_b32_e32 v37, v36
.LBB142_61:                             ;   Parent Loop BB142_20 Depth=1
                                        ;     Parent Loop BB142_33 Depth=2
                                        ;       Parent Loop BB142_49 Depth=3
                                        ; =>      This Inner Loop Header: Depth=4
	global_load_dwordx2 v[60:61], v[38:39], off offset:-4
	ds_read_b64 v[62:63], v5
	s_add_u32 s92, s92, -1
	v_mov_b32_e32 v7, s55
	v_add_co_u32_e32 v38, vcc, s54, v38
	s_addc_u32 s93, s93, -1
	v_add_u32_e32 v5, 8, v5
	v_addc_co_u32_e32 v39, vcc, v39, v7, vcc
	s_cmp_eq_u64 s[92:93], 0
	s_waitcnt vmcnt(0) lgkmcnt(0)
	v_pk_fma_f32 v[36:37], v[62:63], v[60:61], v[36:37] op_sel_hi:[1,0,1]
	v_pk_fma_f32 v[36:37], v[62:63], v[60:61], v[36:37] op_sel:[1,1,0] op_sel_hi:[0,1,1] neg_lo:[1,0,0]
	s_cbranch_scc0 .LBB142_61
	s_branch .LBB142_46
.LBB142_62:                             ;   in Loop: Header=BB142_33 Depth=2
	s_or_b64 exec, exec, s[86:87]
.LBB142_63:                             ;   in Loop: Header=BB142_33 Depth=2
	s_or_b64 exec, exec, s[84:85]
.LBB142_64:                             ;   in Loop: Header=BB142_33 Depth=2
	s_or_b64 exec, exec, s[82:83]
	s_waitcnt lgkmcnt(0)
	s_barrier
	s_and_saveexec_b64 s[26:27], s[24:25]
	s_cbranch_execz .LBB142_32
; %bb.65:                               ;   in Loop: Header=BB142_33 Depth=2
	v_mov_b32_e32 v0, s39
	v_add_co_u32_e32 v24, vcc, s38, v24
	v_addc_co_u32_e32 v25, vcc, v0, v25, vcc
	global_store_dwordx2 v[24:25], v[26:27], off
	s_branch .LBB142_32
.LBB142_66:                             ;   in Loop: Header=BB142_20 Depth=1
	s_andn2_b64 vcc, exec, s[68:69]
	s_cbranch_vccnz .LBB142_78
; %bb.67:                               ;   in Loop: Header=BB142_20 Depth=1
	s_load_dwordx4 s[24:27], s[58:59], 0x0
	s_waitcnt lgkmcnt(0)
	s_sub_u32 s26, s26, s23
	v_mov_b32_e32 v0, s25
	v_add_co_u32_e32 v28, vcc, s24, v44
	s_subb_u32 s27, s27, 0
	v_addc_co_u32_e32 v29, vcc, v0, v45, vcc
	v_cmp_gt_i64_e32 vcc, s[26:27], v[28:29]
	s_and_saveexec_b64 s[78:79], vcc
	s_cbranch_execz .LBB142_77
; %bb.68:                               ;   in Loop: Header=BB142_20 Depth=1
	v_readlane_b32 s80, v59, 0
	v_lshlrev_b64 v[24:25], 3, v[28:29]
	v_readlane_b32 s81, v59, 1
	v_mov_b32_e32 v0, s81
	v_add_co_u32_e32 v24, vcc, s80, v24
	v_addc_co_u32_e32 v25, vcc, v0, v25, vcc
	v_mad_u64_u32 v[26:27], s[80:81], s72, v28, v[14:15]
	v_mul_lo_u32 v0, s72, v29
	v_mul_lo_u32 v5, s73, v28
	v_add3_u32 v27, v5, v27, v0
	v_mov_b32_e32 v0, s25
	v_add_co_u32_e32 v28, vcc, s24, v54
	v_addc_co_u32_e32 v29, vcc, v55, v0, vcc
	s_mov_b64 s[80:81], 0
	v_readlane_b32 s82, v59, 2
	v_readlane_b32 s83, v59, 3
	;; [unrolled: 1-line block ×6, first 2 shown]
	s_branch .LBB142_71
.LBB142_69:                             ;   in Loop: Header=BB142_71 Depth=2
	s_or_b64 exec, exec, s[84:85]
	s_or_b64 s[24:25], s[24:25], exec
.LBB142_70:                             ;   in Loop: Header=BB142_71 Depth=2
	s_or_b64 exec, exec, s[82:83]
	v_cmp_le_i64_e32 vcc, s[26:27], v[28:29]
	s_xor_b64 s[24:25], s[24:25], -1
	s_or_b64 s[24:25], s[24:25], vcc
	v_add_co_u32_e32 v24, vcc, 32, v24
	v_addc_co_u32_e32 v25, vcc, 0, v25, vcc
	v_mov_b32_e32 v0, s75
	v_add_co_u32_e32 v26, vcc, s74, v26
	v_addc_co_u32_e32 v27, vcc, v27, v0, vcc
	s_and_b64 s[24:25], exec, s[24:25]
	v_add_co_u32_e32 v28, vcc, 4, v28
	s_or_b64 s[80:81], s[24:25], s[80:81]
	v_addc_co_u32_e32 v29, vcc, 0, v29, vcc
	s_andn2_b64 exec, exec, s[80:81]
	s_cbranch_execz .LBB142_76
.LBB142_71:                             ;   Parent Loop BB142_20 Depth=1
                                        ; =>  This Inner Loop Header: Depth=2
	global_load_dwordx2 v[30:31], v[24:25], off
	v_mov_b32_e32 v0, s44
	s_waitcnt vmcnt(0)
	v_subrev_co_u32_e32 v30, vcc, s23, v30
	v_subb_co_u32_e32 v31, vcc, v31, v0, vcc
	v_cmp_lt_i64_e32 vcc, v[30:31], v[20:21]
	v_cmp_gt_i64_e64 s[24:25], s[76:77], v[30:31]
	s_xor_b64 s[82:83], vcc, -1
	s_or_b64 s[82:83], s[24:25], s[82:83]
                                        ; implicit-def: $sgpr24_sgpr25
	s_and_saveexec_b64 s[84:85], s[82:83]
	s_xor_b64 s[82:83], exec, s[84:85]
; %bb.72:                               ;   in Loop: Header=BB142_71 Depth=2
	v_cmp_lt_i64_e64 s[24:25], v[30:31], v[22:23]
	v_cndmask_b32_e64 v0, v22, v30, s[24:25]
	v_cndmask_b32_e64 v5, v23, v31, s[24:25]
	v_cndmask_b32_e32 v23, v5, v23, vcc
	v_cndmask_b32_e32 v22, v0, v22, vcc
	s_and_b64 s[24:25], vcc, exec
                                        ; implicit-def: $vgpr30
; %bb.73:                               ;   in Loop: Header=BB142_71 Depth=2
	s_andn2_saveexec_b64 s[82:83], s[82:83]
	s_cbranch_execz .LBB142_70
; %bb.74:                               ;   in Loop: Header=BB142_71 Depth=2
	v_subrev_u32_e32 v0, s76, v30
	v_lshlrev_b32_e32 v5, 2, v0
	ds_write_b32 v5, v58 offset:18432
	s_and_saveexec_b64 s[84:85], s[64:65]
	s_cbranch_execz .LBB142_69
; %bb.75:                               ;   in Loop: Header=BB142_71 Depth=2
	global_load_dwordx2 v[30:31], v[26:27], off offset:-4
	v_lshlrev_b32_e32 v0, 6, v0
	v_or3_b32 v0, v0, v43, v4
	v_lshlrev_b32_e32 v0, 3, v0
	s_waitcnt vmcnt(0)
	v_mul_f32_e64 v5, v31, -s94
	v_mul_f32_e32 v7, s34, v31
	v_fmac_f32_e32 v5, s34, v30
	v_fmac_f32_e32 v7, s94, v30
	ds_add_f32 v0, v5
	ds_add_f32 v0, v7 offset:4
	s_branch .LBB142_69
.LBB142_76:                             ;   in Loop: Header=BB142_20 Depth=1
	s_or_b64 exec, exec, s[80:81]
.LBB142_77:                             ;   in Loop: Header=BB142_20 Depth=1
	s_or_b64 exec, exec, s[78:79]
.LBB142_78:                             ;   in Loop: Header=BB142_20 Depth=1
	s_and_saveexec_b64 s[24:25], s[4:5]
	s_cbranch_execz .LBB142_83
; %bb.79:                               ;   in Loop: Header=BB142_20 Depth=1
	s_mov_b64 s[78:79], exec
	s_mov_b64 s[26:27], -1
.LBB142_80:                             ;   Parent Loop BB142_20 Depth=1
                                        ; =>  This Inner Loop Header: Depth=2
	s_ff1_i32_b64 s82, s[78:79]
	v_readlane_b32 s83, v23, s82
	v_readlane_b32 s84, v22, s82
	v_mov_b32_e32 v20, s84
	v_mov_b32_e32 v21, s83
	v_cmp_lt_u64_e32 vcc, s[26:27], v[20:21]
	s_and_b64 s[80:81], vcc, exec
	s_cselect_b32 s27, s27, s83
	s_cselect_b32 s26, s26, s84
	s_lshl_b64 s[80:81], 1, s82
	s_andn2_b64 s[78:79], s[78:79], s[80:81]
	s_cmp_lg_u64 s[78:79], 0
	s_cbranch_scc1 .LBB142_80
; %bb.81:                               ;   in Loop: Header=BB142_20 Depth=1
	v_mbcnt_lo_u32_b32 v0, exec_lo, 0
	v_mbcnt_hi_u32_b32 v0, exec_hi, v0
	v_cmp_eq_u32_e32 vcc, 0, v0
	s_and_saveexec_b64 s[78:79], vcc
	s_xor_b64 s[78:79], exec, s[78:79]
	s_cbranch_execz .LBB142_83
; %bb.82:                               ;   in Loop: Header=BB142_20 Depth=1
	v_pk_mov_b32 v[20:21], s[26:27], s[26:27] op_sel:[0,1]
	ds_min_u64 v6, v[20:21] offset:18560
.LBB142_83:                             ;   in Loop: Header=BB142_20 Depth=1
	s_or_b64 exec, exec, s[24:25]
	s_waitcnt lgkmcnt(0)
	s_barrier
	ds_read_b32 v0, v46
	s_waitcnt lgkmcnt(0)
	s_barrier
	s_and_saveexec_b64 s[24:25], s[8:9]
	s_cbranch_execz .LBB142_85
; %bb.84:                               ;   in Loop: Header=BB142_20 Depth=1
	ds_read_b32 v5, v47
	s_waitcnt lgkmcnt(0)
	v_add_u32_e32 v0, v5, v0
.LBB142_85:                             ;   in Loop: Header=BB142_20 Depth=1
	s_or_b64 exec, exec, s[24:25]
	s_barrier
	ds_write_b32 v46, v0
	s_waitcnt lgkmcnt(0)
	s_barrier
	s_and_saveexec_b64 s[24:25], s[10:11]
	s_cbranch_execz .LBB142_87
; %bb.86:                               ;   in Loop: Header=BB142_20 Depth=1
	ds_read_b32 v5, v49
	s_waitcnt lgkmcnt(0)
	v_add_u32_e32 v0, v5, v0
.LBB142_87:                             ;   in Loop: Header=BB142_20 Depth=1
	s_or_b64 exec, exec, s[24:25]
	s_barrier
	ds_write_b32 v46, v0
	;; [unrolled: 12-line block ×5, first 2 shown]
	s_waitcnt lgkmcnt(0)
	s_barrier
	ds_read_b32 v7, v6 offset:18556
	v_mov_b32_e32 v5, 0
	s_and_saveexec_b64 s[24:25], s[6:7]
	s_cbranch_execz .LBB142_95
; %bb.94:                               ;   in Loop: Header=BB142_20 Depth=1
	ds_read_b32 v5, v47
.LBB142_95:                             ;   in Loop: Header=BB142_20 Depth=1
	s_or_b64 exec, exec, s[24:25]
	s_waitcnt lgkmcnt(0)
	v_cmp_eq_u32_e32 vcc, v0, v5
	s_and_b64 s[26:27], s[6:7], vcc
	s_barrier
	s_and_saveexec_b64 s[24:25], s[26:27]
	s_cbranch_execz .LBB142_97
; %bb.96:                               ;   in Loop: Header=BB142_20 Depth=1
	ds_write_b32 v46, v6
.LBB142_97:                             ;   in Loop: Header=BB142_20 Depth=1
	s_or_b64 exec, exec, s[24:25]
	v_add_co_u32_e32 v22, vcc, -1, v16
	s_add_u32 s76, s42, s76
	v_addc_co_u32_e32 v23, vcc, -1, v17, vcc
	s_addc_u32 s77, 0, s77
	s_mov_b64 s[24:25], 0
	v_mov_b32_e32 v24, v57
	v_mov_b32_e32 v25, v11
	v_pk_mov_b32 v[20:21], v[2:3], v[2:3] op_sel:[0,1]
	s_waitcnt lgkmcnt(0)
	s_barrier
	s_branch .LBB142_99
.LBB142_98:                             ;   in Loop: Header=BB142_99 Depth=2
	s_or_b64 exec, exec, s[26:27]
	v_add_co_u32_e32 v20, vcc, 4, v20
	v_addc_co_u32_e32 v21, vcc, 0, v21, vcc
	v_add_u32_e32 v0, -4, v20
	v_cmp_lt_u32_e32 vcc, 27, v0
	v_add_u32_e32 v25, 0x800, v25
	s_or_b64 s[24:25], vcc, s[24:25]
	v_add_u32_e32 v24, 16, v24
	s_andn2_b64 exec, exec, s[24:25]
	s_cbranch_execz .LBB142_19
.LBB142_99:                             ;   Parent Loop BB142_20 Depth=1
                                        ; =>  This Inner Loop Header: Depth=2
	ds_read_b32 v0, v24
	s_waitcnt lgkmcnt(0)
	v_cmp_ne_u32_e32 vcc, 0, v0
	s_and_saveexec_b64 s[26:27], vcc
	s_cbranch_execz .LBB142_98
; %bb.100:                              ;   in Loop: Header=BB142_99 Depth=2
	v_mov_b32_e32 v27, s77
	v_add_co_u32_e32 v26, vcc, s76, v20
	v_addc_co_u32_e32 v27, vcc, v27, v21, vcc
	v_ashrrev_i32_e32 v5, 31, v0
	v_add_co_u32_e32 v28, vcc, v16, v0
	v_addc_co_u32_e32 v29, vcc, v17, v5, vcc
	v_lshlrev_b64 v[28:29], 3, v[28:29]
	v_mov_b32_e32 v30, s21
	v_add_co_u32_e32 v28, vcc, s20, v28
	v_addc_co_u32_e32 v29, vcc, v30, v29, vcc
	global_store_dwordx2 v[28:29], v[26:27], off
	s_and_b64 exec, exec, s[64:65]
	s_cbranch_execz .LBB142_98
; %bb.101:                              ;   in Loop: Header=BB142_99 Depth=2
	v_add_co_u32_e32 v0, vcc, v22, v0
	v_addc_co_u32_e32 v5, vcc, v23, v5, vcc
	v_mul_lo_u32 v5, v5, s48
	v_mul_lo_u32 v28, v0, s49
	v_mad_u64_u32 v[26:27], s[78:79], v0, s48, 0
	v_add3_u32 v27, v27, v28, v5
	ds_read_b64 v[28:29], v25
	v_lshlrev_b64 v[26:27], 3, v[26:27]
	v_add_co_u32_e32 v26, vcc, v10, v26
	v_addc_co_u32_e32 v27, vcc, v1, v27, vcc
	s_waitcnt lgkmcnt(0)
	global_store_dwordx2 v[26:27], v[28:29], off
	s_branch .LBB142_98
.LBB142_102:
	s_endpgm
	.section	.rodata,"a",@progbits
	.p2align	6, 0x0
	.amdhsa_kernel _ZN9rocsparseL38bsrgemm_block_per_row_atomic_multipassILj256ELj32ELj8Ell21rocsparse_complex_numIfEEEv20rocsparse_direction_T3_S4_PKS4_S6_NS_24const_host_device_scalarIT4_EEPKT2_S6_PKS8_SC_S6_SE_S9_SC_S6_SE_SC_PS4_PS8_PSA_21rocsparse_index_base_SI_SI_SI_bbb
		.amdhsa_group_segment_fixed_size 18568
		.amdhsa_private_segment_fixed_size 0
		.amdhsa_kernarg_size 180
		.amdhsa_user_sgpr_count 6
		.amdhsa_user_sgpr_private_segment_buffer 1
		.amdhsa_user_sgpr_dispatch_ptr 0
		.amdhsa_user_sgpr_queue_ptr 0
		.amdhsa_user_sgpr_kernarg_segment_ptr 1
		.amdhsa_user_sgpr_dispatch_id 0
		.amdhsa_user_sgpr_flat_scratch_init 0
		.amdhsa_user_sgpr_kernarg_preload_length 0
		.amdhsa_user_sgpr_kernarg_preload_offset 0
		.amdhsa_user_sgpr_private_segment_size 0
		.amdhsa_uses_dynamic_stack 0
		.amdhsa_system_sgpr_private_segment_wavefront_offset 0
		.amdhsa_system_sgpr_workgroup_id_x 1
		.amdhsa_system_sgpr_workgroup_id_y 0
		.amdhsa_system_sgpr_workgroup_id_z 0
		.amdhsa_system_sgpr_workgroup_info 0
		.amdhsa_system_vgpr_workitem_id 0
		.amdhsa_next_free_vgpr 64
		.amdhsa_next_free_sgpr 96
		.amdhsa_accum_offset 64
		.amdhsa_reserve_vcc 1
		.amdhsa_reserve_flat_scratch 0
		.amdhsa_float_round_mode_32 0
		.amdhsa_float_round_mode_16_64 0
		.amdhsa_float_denorm_mode_32 3
		.amdhsa_float_denorm_mode_16_64 3
		.amdhsa_dx10_clamp 1
		.amdhsa_ieee_mode 1
		.amdhsa_fp16_overflow 0
		.amdhsa_tg_split 0
		.amdhsa_exception_fp_ieee_invalid_op 0
		.amdhsa_exception_fp_denorm_src 0
		.amdhsa_exception_fp_ieee_div_zero 0
		.amdhsa_exception_fp_ieee_overflow 0
		.amdhsa_exception_fp_ieee_underflow 0
		.amdhsa_exception_fp_ieee_inexact 0
		.amdhsa_exception_int_div_zero 0
	.end_amdhsa_kernel
	.section	.text._ZN9rocsparseL38bsrgemm_block_per_row_atomic_multipassILj256ELj32ELj8Ell21rocsparse_complex_numIfEEEv20rocsparse_direction_T3_S4_PKS4_S6_NS_24const_host_device_scalarIT4_EEPKT2_S6_PKS8_SC_S6_SE_S9_SC_S6_SE_SC_PS4_PS8_PSA_21rocsparse_index_base_SI_SI_SI_bbb,"axG",@progbits,_ZN9rocsparseL38bsrgemm_block_per_row_atomic_multipassILj256ELj32ELj8Ell21rocsparse_complex_numIfEEEv20rocsparse_direction_T3_S4_PKS4_S6_NS_24const_host_device_scalarIT4_EEPKT2_S6_PKS8_SC_S6_SE_S9_SC_S6_SE_SC_PS4_PS8_PSA_21rocsparse_index_base_SI_SI_SI_bbb,comdat
.Lfunc_end142:
	.size	_ZN9rocsparseL38bsrgemm_block_per_row_atomic_multipassILj256ELj32ELj8Ell21rocsparse_complex_numIfEEEv20rocsparse_direction_T3_S4_PKS4_S6_NS_24const_host_device_scalarIT4_EEPKT2_S6_PKS8_SC_S6_SE_S9_SC_S6_SE_SC_PS4_PS8_PSA_21rocsparse_index_base_SI_SI_SI_bbb, .Lfunc_end142-_ZN9rocsparseL38bsrgemm_block_per_row_atomic_multipassILj256ELj32ELj8Ell21rocsparse_complex_numIfEEEv20rocsparse_direction_T3_S4_PKS4_S6_NS_24const_host_device_scalarIT4_EEPKT2_S6_PKS8_SC_S6_SE_S9_SC_S6_SE_SC_PS4_PS8_PSA_21rocsparse_index_base_SI_SI_SI_bbb
                                        ; -- End function
	.section	.AMDGPU.csdata,"",@progbits
; Kernel info:
; codeLenInByte = 3916
; NumSgprs: 100
; NumVgprs: 64
; NumAgprs: 0
; TotalNumVgprs: 64
; ScratchSize: 0
; MemoryBound: 0
; FloatMode: 240
; IeeeMode: 1
; LDSByteSize: 18568 bytes/workgroup (compile time only)
; SGPRBlocks: 12
; VGPRBlocks: 7
; NumSGPRsForWavesPerEU: 100
; NumVGPRsForWavesPerEU: 64
; AccumOffset: 64
; Occupancy: 3
; WaveLimiterHint : 1
; COMPUTE_PGM_RSRC2:SCRATCH_EN: 0
; COMPUTE_PGM_RSRC2:USER_SGPR: 6
; COMPUTE_PGM_RSRC2:TRAP_HANDLER: 0
; COMPUTE_PGM_RSRC2:TGID_X_EN: 1
; COMPUTE_PGM_RSRC2:TGID_Y_EN: 0
; COMPUTE_PGM_RSRC2:TGID_Z_EN: 0
; COMPUTE_PGM_RSRC2:TIDIG_COMP_CNT: 0
; COMPUTE_PGM_RSRC3_GFX90A:ACCUM_OFFSET: 15
; COMPUTE_PGM_RSRC3_GFX90A:TG_SPLIT: 0
	.section	.text._ZN9rocsparseL31bsrgemm_block_per_row_multipassILj256ELj8ELj16Ell21rocsparse_complex_numIfEEEv20rocsparse_direction_T3_S4_PKS4_S6_NS_24const_host_device_scalarIT4_EEPKT2_S6_PKS8_SC_S6_SE_S9_SC_S6_SE_SC_PS4_PS8_PSA_21rocsparse_index_base_SI_SI_SI_bbb,"axG",@progbits,_ZN9rocsparseL31bsrgemm_block_per_row_multipassILj256ELj8ELj16Ell21rocsparse_complex_numIfEEEv20rocsparse_direction_T3_S4_PKS4_S6_NS_24const_host_device_scalarIT4_EEPKT2_S6_PKS8_SC_S6_SE_S9_SC_S6_SE_SC_PS4_PS8_PSA_21rocsparse_index_base_SI_SI_SI_bbb,comdat
	.globl	_ZN9rocsparseL31bsrgemm_block_per_row_multipassILj256ELj8ELj16Ell21rocsparse_complex_numIfEEEv20rocsparse_direction_T3_S4_PKS4_S6_NS_24const_host_device_scalarIT4_EEPKT2_S6_PKS8_SC_S6_SE_S9_SC_S6_SE_SC_PS4_PS8_PSA_21rocsparse_index_base_SI_SI_SI_bbb ; -- Begin function _ZN9rocsparseL31bsrgemm_block_per_row_multipassILj256ELj8ELj16Ell21rocsparse_complex_numIfEEEv20rocsparse_direction_T3_S4_PKS4_S6_NS_24const_host_device_scalarIT4_EEPKT2_S6_PKS8_SC_S6_SE_S9_SC_S6_SE_SC_PS4_PS8_PSA_21rocsparse_index_base_SI_SI_SI_bbb
	.p2align	8
	.type	_ZN9rocsparseL31bsrgemm_block_per_row_multipassILj256ELj8ELj16Ell21rocsparse_complex_numIfEEEv20rocsparse_direction_T3_S4_PKS4_S6_NS_24const_host_device_scalarIT4_EEPKT2_S6_PKS8_SC_S6_SE_S9_SC_S6_SE_SC_PS4_PS8_PSA_21rocsparse_index_base_SI_SI_SI_bbb,@function
_ZN9rocsparseL31bsrgemm_block_per_row_multipassILj256ELj8ELj16Ell21rocsparse_complex_numIfEEEv20rocsparse_direction_T3_S4_PKS4_S6_NS_24const_host_device_scalarIT4_EEPKT2_S6_PKS8_SC_S6_SE_S9_SC_S6_SE_SC_PS4_PS8_PSA_21rocsparse_index_base_SI_SI_SI_bbb: ; @_ZN9rocsparseL31bsrgemm_block_per_row_multipassILj256ELj8ELj16Ell21rocsparse_complex_numIfEEEv20rocsparse_direction_T3_S4_PKS4_S6_NS_24const_host_device_scalarIT4_EEPKT2_S6_PKS8_SC_S6_SE_S9_SC_S6_SE_SC_PS4_PS8_PSA_21rocsparse_index_base_SI_SI_SI_bbb
; %bb.0:
	s_load_dwordx8 s[12:19], s[4:5], 0x90
	s_load_dword s7, s[4:5], 0xb0
	s_load_dwordx8 s[20:27], s[4:5], 0x70
	s_load_dwordx8 s[36:43], s[4:5], 0x50
	s_load_dwordx4 s[8:11], s[4:5], 0x18
	s_load_dwordx8 s[44:51], s[4:5], 0x30
	s_waitcnt lgkmcnt(0)
	s_bitcmp1_b32 s7, 0
	s_cselect_b64 s[62:63], -1, 0
	s_bitcmp1_b32 s7, 16
	s_cselect_b64 s[0:1], -1, 0
	s_xor_b64 s[0:1], s[0:1], -1
	s_mov_b32 s35, 0
	v_cndmask_b32_e64 v1, 0, 1, s[0:1]
	s_bitcmp0_b32 s7, 0
	v_cmp_ne_u32_e64 s[0:1], 1, v1
	s_mov_b32 s34, s35
	s_cbranch_scc1 .LBB143_6
; %bb.1:
	s_load_dwordx2 s[2:3], s[4:5], 0x28
	s_and_b64 vcc, exec, s[0:1]
	s_waitcnt lgkmcnt(0)
	s_mov_b32 s34, s2
	s_cbranch_vccnz .LBB143_3
; %bb.2:
	s_load_dword s34, s[2:3], 0x0
.LBB143_3:
	s_and_b64 vcc, exec, s[0:1]
	s_cbranch_vccnz .LBB143_5
; %bb.4:
	s_load_dword s3, s[2:3], 0x4
.LBB143_5:
	s_waitcnt lgkmcnt(0)
	s_mov_b32 s35, s3
.LBB143_6:
	s_bitcmp1_b32 s7, 8
	s_mov_b32 s55, 0
	s_cselect_b64 s[52:53], -1, 0
	s_bfe_u32 s2, s7, 0x10008
	s_cmp_eq_u32 s2, 0
	s_mov_b32 s54, s55
	s_cbranch_scc1 .LBB143_12
; %bb.7:
	s_and_b64 vcc, exec, s[0:1]
	s_mov_b32 s54, s40
	s_cbranch_vccnz .LBB143_9
; %bb.8:
	s_load_dword s54, s[40:41], 0x0
.LBB143_9:
	s_and_b64 vcc, exec, s[0:1]
	s_cbranch_vccnz .LBB143_11
; %bb.10:
	s_load_dword s41, s[40:41], 0x4
.LBB143_11:
	s_waitcnt lgkmcnt(0)
	s_mov_b32 s55, s41
.LBB143_12:
	s_mov_b64 s[40:41], 0
	s_cmp_eq_u64 s[10:11], 0
	s_mov_b32 s7, 0
	s_cbranch_scc1 .LBB143_14
; %bb.13:
	s_load_dwordx2 s[0:1], s[8:9], 0x0
	s_waitcnt lgkmcnt(0)
	s_lshl_b64 s[0:1], s[0:1], 3
	s_add_u32 s2, s10, s0
	s_addc_u32 s3, s11, s1
	s_lshl_b64 s[0:1], s[6:7], 3
	s_add_u32 s0, s2, s0
	s_addc_u32 s1, s3, s1
	s_load_dwordx2 s[6:7], s[0:1], 0x0
.LBB143_14:
	v_cndmask_b32_e64 v1, 0, 1, s[62:63]
	v_cmp_ne_u32_e64 s[0:1], 1, v1
	s_andn2_b64 vcc, exec, s[62:63]
	s_cbranch_vccz .LBB143_17
; %bb.15:
	s_and_b64 vcc, exec, s[0:1]
	s_mov_b64 s[2:3], 0
	s_cbranch_vccz .LBB143_18
.LBB143_16:
	s_load_dwordx4 s[28:31], s[4:5], 0x8
	s_waitcnt lgkmcnt(0)
	v_cmp_lt_i64_e64 s[0:1], s[28:29], 1
	s_and_b64 vcc, exec, s[0:1]
	s_cbranch_vccz .LBB143_19
	s_branch .LBB143_106
.LBB143_17:
	s_waitcnt lgkmcnt(0)
	s_lshl_b64 s[2:3], s[6:7], 3
	s_add_u32 s2, s44, s2
	s_addc_u32 s3, s45, s3
	s_load_dwordx2 s[2:3], s[2:3], 0x0
	s_waitcnt lgkmcnt(0)
	s_sub_u32 s40, s2, s16
	s_subb_u32 s41, s3, 0
	s_and_b64 vcc, exec, s[0:1]
	s_mov_b64 s[2:3], 0
	s_cbranch_vccnz .LBB143_16
.LBB143_18:
	s_waitcnt lgkmcnt(0)
	s_lshl_b64 s[0:1], s[6:7], 3
	s_add_u32 s0, s44, s0
	s_addc_u32 s1, s45, s1
	s_load_dwordx2 s[0:1], s[0:1], 0x8
	s_waitcnt lgkmcnt(0)
	s_sub_u32 s2, s0, s16
	s_subb_u32 s3, s1, 0
	s_load_dwordx4 s[28:31], s[4:5], 0x8
	s_waitcnt lgkmcnt(0)
	v_cmp_lt_i64_e64 s[0:1], s[28:29], 1
	s_and_b64 vcc, exec, s[0:1]
	s_cbranch_vccnz .LBB143_106
.LBB143_19:
	v_and_b32_e32 v2, 15, v0
	s_lshl_b64 s[8:9], s[6:7], 3
	v_mad_u64_u32 v[10:11], s[6:7], v2, s30, 0
	v_mov_b32_e32 v12, v11
	v_lshrrev_b32_e32 v8, 4, v0
	v_mad_u64_u32 v[12:13], s[6:7], v2, s31, v[12:13]
	v_mov_b32_e32 v11, v12
	v_mad_u64_u32 v[12:13], s[6:7], v8, s30, 0
	s_add_u32 s0, s24, s8
	v_mov_b32_e32 v6, 0
	v_mov_b32_e32 v14, v13
	s_addc_u32 s1, s25, s9
	v_mov_b32_e32 v3, v6
	v_mad_u64_u32 v[14:15], s[6:7], v8, s31, v[14:15]
	v_lshlrev_b64 v[10:11], 3, v[10:11]
	s_load_dwordx2 s[0:1], s[0:1], 0x0
	v_pk_mov_b32 v[4:5], s[2:3], s[2:3] op_sel:[0,1]
	v_cmp_gt_i64_e64 s[2:3], s[30:31], v[2:3]
	v_mov_b32_e32 v1, s23
	v_add_co_u32_e64 v3, s[6:7], s22, v10
	v_mov_b32_e32 v13, v14
	v_addc_co_u32_e64 v7, s[6:7], v1, v11, s[6:7]
	v_lshlrev_b32_e32 v14, 3, v8
	s_load_dword s24, s[4:5], 0x0
	v_add_co_u32_e64 v15, s[6:7], v3, v14
	v_addc_co_u32_e64 v7, s[6:7], 0, v7, s[6:7]
	v_lshlrev_b64 v[12:13], 3, v[12:13]
	v_mov_b32_e32 v9, v6
	v_add_co_u32_e64 v3, s[6:7], s22, v12
	s_waitcnt lgkmcnt(0)
	s_sub_u32 s10, s0, s18
	v_cmp_gt_u64_e64 s[4:5], s[30:31], v[8:9]
	v_addc_co_u32_e64 v1, s[6:7], v1, v13, s[6:7]
	v_lshlrev_b32_e32 v8, 3, v2
	s_subb_u32 s11, s1, 0
	v_add_co_u32_e64 v16, s[6:7], v3, v8
	s_cmp_eq_u32 s24, 0
	v_addc_co_u32_e64 v1, s[6:7], 0, v1, s[6:7]
	s_cselect_b64 s[6:7], -1, 0
	s_cmp_lg_u32 s24, 0
	s_mul_i32 s24, s30, s31
	s_mul_hi_u32 s33, s30, s30
	s_cselect_b64 s[22:23], -1, 0
	s_add_i32 s33, s33, s24
	s_add_i32 s45, s33, s24
	s_xor_b32 s56, s35, 0x80000000
	s_add_u32 s42, s42, s8
	s_addc_u32 s43, s43, s9
	v_mov_b32_e32 v17, s13
	v_add_co_u32_e64 v10, s[8:9], s12, v10
	v_addc_co_u32_e64 v18, s[8:9], v17, v11, s[8:9]
	v_add_co_u32_e64 v11, s[8:9], v10, v14
	v_cmp_lt_i64_e32 vcc, s[40:41], v[4:5]
	v_addc_co_u32_e64 v40, s[8:9], 0, v18, s[8:9]
	s_xor_b32 s60, s55, 0x80000000
	v_add_co_u32_e64 v10, s[8:9], s12, v12
	s_and_b64 s[12:13], s[62:63], vcc
	s_and_b64 s[62:63], s[2:3], s[4:5]
	s_add_u32 s33, s50, 8
	v_addc_co_u32_e64 v12, s[8:9], v17, v13, s[8:9]
	s_addc_u32 s88, s51, 0
	v_add_co_u32_e64 v41, s[8:9], v10, v8
	s_add_u32 s89, s26, -8
	s_mul_i32 s44, s30, s30
	v_addc_co_u32_e64 v42, s[8:9], 0, v12, s[8:9]
	s_addc_u32 s90, s27, -1
	s_add_u32 s38, s38, 4
	s_mul_i32 s8, s40, s45
	s_mul_hi_u32 s9, s40, s44
	s_addc_u32 s39, s39, 0
	s_add_i32 s8, s9, s8
	s_mul_i32 s9, s41, s44
	s_add_i32 s9, s8, s9
	s_mul_i32 s8, s40, s44
	s_lshl_b64 s[64:65], s[30:31], 3
	s_lshl_b64 s[66:67], s[44:45], 3
	;; [unrolled: 1-line block ×3, first 2 shown]
	s_add_u32 s8, s48, s8
	v_or_b32_e32 v12, 0x400, v0
	s_movk_i32 s2, 0x700
	s_addc_u32 s9, s49, s9
	v_cmp_gt_u32_e64 s[2:3], s2, v12
	v_mov_b32_e32 v13, s9
	v_add_co_u32_e32 v12, vcc, s8, v14
	s_mul_i32 s8, s40, s31
	s_mul_hi_u32 s9, s40, s30
	s_add_i32 s8, s9, s8
	s_mul_i32 s9, s41, s30
	s_add_i32 s9, s8, s9
	s_mul_i32 s8, s40, s30
	v_addc_co_u32_e32 v13, vcc, 0, v13, vcc
	s_lshl_b64 s[8:9], s[8:9], 3
	v_cndmask_b32_e64 v18, v15, v16, s[6:7]
	v_mov_b32_e32 v15, s9
	v_add_co_u32_e32 v16, vcc, s8, v14
	v_addc_co_u32_e32 v14, vcc, 0, v15, vcc
	s_mov_b32 s25, 0
	v_mul_lo_u32 v17, s30, v14
	v_pk_mov_b32 v[14:15], s[48:49], s[48:49] op_sel:[0,1]
	s_mov_b32 s58, s19
	s_mov_b32 s59, s25
	v_mad_u64_u32 v[14:15], s[8:9], s30, v16, v[14:15]
	v_mul_lo_u32 v19, s31, v16
	s_lshl_b64 s[8:9], s[58:59], 3
	v_and_b32_e32 v3, 0xf0, v0
	v_add3_u32 v15, v19, v15, v17
	v_mov_b32_e32 v17, s39
	v_add_co_u32_e32 v16, vcc, s38, v8
	s_sub_u32 s59, s20, s8
	v_or_b32_e32 v10, v3, v2
	v_addc_co_u32_e32 v17, vcc, 0, v17, vcc
	s_subb_u32 s91, s21, s9
	v_lshlrev_b32_e32 v44, 3, v10
	v_cndmask_b32_e64 v7, v7, v1, s[6:7]
	v_cndmask_b32_e64 v1, v40, v42, s[6:7]
	;; [unrolled: 1-line block ×3, first 2 shown]
	s_movk_i32 s4, 0x200
	s_movk_i32 s6, 0x100
	v_add_co_u32_e32 v18, vcc, 4, v18
	s_sub_u32 s19, 1, s19
	s_mov_b32 s24, s25
	v_cmp_gt_u32_e64 s[0:1], 8, v0
	v_lshlrev_b32_e32 v43, 3, v0
	v_cmp_gt_u32_e64 s[4:5], s4, v0
	v_cmp_gt_u32_e64 s[6:7], s6, v0
	s_mov_b32 s57, s34
	s_mov_b32 s61, s54
	s_mov_b64 s[68:69], 8
	v_addc_co_u32_e32 v19, vcc, 0, v7, vcc
	s_subb_u32 s92, 0, 0
	s_mov_b64 s[48:49], 0
	v_pk_mov_b32 v[22:23], s[10:11], s[10:11] op_sel:[0,1]
	v_pk_mov_b32 v[20:21], s[24:25], s[24:25] op_sel:[0,1]
	v_mov_b32_e32 v45, s65
	v_mov_b32_e32 v46, 1
	;; [unrolled: 1-line block ×3, first 2 shown]
	s_branch .LBB143_22
.LBB143_20:                             ;   in Loop: Header=BB143_22 Depth=1
	s_or_b64 exec, exec, s[8:9]
.LBB143_21:                             ;   in Loop: Header=BB143_22 Depth=1
	s_waitcnt lgkmcnt(0)
	v_pk_mov_b32 v[22:23], s[28:29], s[28:29] op_sel:[0,1]
	v_cmp_lt_i64_e32 vcc, s[20:21], v[22:23]
	s_and_b64 vcc, vcc, exec
	s_cselect_b32 s48, s20, s28
	s_cselect_b32 s49, s21, s29
	s_add_u32 s68, s48, 8
	s_addc_u32 s69, s49, 0
	v_pk_mov_b32 v[22:23], v[24:25], v[24:25] op_sel:[0,1]
	s_barrier
	s_barrier
	s_cbranch_vccz .LBB143_106
.LBB143_22:                             ; =>This Loop Header: Depth=1
                                        ;     Child Loop BB143_32 Depth 2
                                        ;       Child Loop BB143_37 Depth 3
                                        ;         Child Loop BB143_49 Depth 4
                                        ;         Child Loop BB143_45 Depth 4
                                        ;     Child Loop BB143_61 Depth 2
	s_and_saveexec_b64 s[8:9], s[0:1]
	s_cbranch_execz .LBB143_24
; %bb.23:                               ;   in Loop: Header=BB143_22 Depth=1
	ds_write_b8 v0, v6 offset:16384
.LBB143_24:                             ;   in Loop: Header=BB143_22 Depth=1
	s_or_b64 exec, exec, s[8:9]
	ds_write2st64_b64 v43, v[20:21], v[20:21] offset1:4
	ds_write2st64_b64 v43, v[20:21], v[20:21] offset0:8 offset1:12
	ds_write_b64 v43, v[20:21] offset:8192
	s_and_saveexec_b64 s[8:9], s[2:3]
	s_xor_b64 s[8:9], exec, s[8:9]
	s_cbranch_execz .LBB143_30
; %bb.25:                               ;   in Loop: Header=BB143_22 Depth=1
	v_mov_b32_e32 v7, v6
	ds_write_b64 v43, v[6:7] offset:10240
	s_and_saveexec_b64 s[10:11], s[4:5]
	s_xor_b64 s[10:11], exec, s[10:11]
	s_cbranch_execz .LBB143_29
; %bb.26:                               ;   in Loop: Header=BB143_22 Depth=1
	ds_write_b64 v43, v[6:7] offset:12288
	s_and_saveexec_b64 s[20:21], s[6:7]
	s_xor_b64 s[20:21], exec, s[20:21]
	s_cbranch_execz .LBB143_28
; %bb.27:                               ;   in Loop: Header=BB143_22 Depth=1
	v_mov_b32_e32 v7, v6
	ds_write_b64 v43, v[6:7] offset:14336
.LBB143_28:                             ;   in Loop: Header=BB143_22 Depth=1
	s_or_b64 exec, exec, s[20:21]
.LBB143_29:                             ;   in Loop: Header=BB143_22 Depth=1
	s_or_b64 exec, exec, s[10:11]
.LBB143_30:                             ;   in Loop: Header=BB143_22 Depth=1
	s_or_b64 exec, exec, s[8:9]
	s_andn2_b64 vcc, exec, s[12:13]
	s_mov_b64 s[20:21], s[28:29]
	s_waitcnt lgkmcnt(0)
	s_barrier
	s_cbranch_vccnz .LBB143_58
; %bb.31:                               ;   in Loop: Header=BB143_22 Depth=1
	s_cmp_lg_u64 s[48:49], 0
	s_cselect_b64 s[70:71], -1, 0
	v_pk_mov_b32 v[24:25], v[14:15], v[14:15] op_sel:[0,1]
	v_pk_mov_b32 v[26:27], v[12:13], v[12:13] op_sel:[0,1]
	s_mov_b64 s[76:77], s[28:29]
	s_mov_b64 s[72:73], s[40:41]
.LBB143_32:                             ;   Parent Loop BB143_22 Depth=1
                                        ; =>  This Loop Header: Depth=2
                                        ;       Child Loop BB143_37 Depth 3
                                        ;         Child Loop BB143_49 Depth 4
                                        ;         Child Loop BB143_45 Depth 4
	s_lshl_b64 s[74:75], s[72:73], 3
	s_add_u32 s8, s46, s74
	s_addc_u32 s9, s47, s75
	s_load_dwordx2 s[8:9], s[8:9], 0x0
	s_waitcnt lgkmcnt(0)
	s_sub_u32 s8, s8, s16
	s_subb_u32 s9, s9, 0
	s_and_b64 vcc, exec, s[70:71]
	s_cbranch_vccz .LBB143_57
; %bb.33:                               ;   in Loop: Header=BB143_32 Depth=2
	s_add_u32 s10, s14, s74
	s_addc_u32 s11, s15, s75
	global_load_dwordx2 v[28:29], v6, s[10:11]
	s_waitcnt vmcnt(0)
	v_readfirstlane_b32 s78, v28
	v_readfirstlane_b32 s79, v29
	s_cbranch_execnz .LBB143_35
.LBB143_34:                             ;   in Loop: Header=BB143_32 Depth=2
	s_lshl_b64 s[10:11], s[8:9], 3
	s_add_u32 s10, s50, s10
	s_addc_u32 s11, s51, s11
	s_load_dwordx2 s[10:11], s[10:11], 0x0
	s_waitcnt lgkmcnt(0)
	s_sub_u32 s78, s10, s17
	s_subb_u32 s79, s11, 0
.LBB143_35:                             ;   in Loop: Header=BB143_32 Depth=2
	s_lshl_b64 s[8:9], s[8:9], 3
	s_add_u32 s8, s33, s8
	s_addc_u32 s9, s88, s9
	s_load_dwordx2 s[8:9], s[8:9], 0x0
	s_waitcnt lgkmcnt(0)
	s_sub_u32 s8, s8, s17
	s_subb_u32 s9, s9, 0
	v_pk_mov_b32 v[28:29], s[8:9], s[8:9] op_sel:[0,1]
	v_cmp_ge_i64_e32 vcc, s[78:79], v[28:29]
	s_cbranch_vccnz .LBB143_54
; %bb.36:                               ;   in Loop: Header=BB143_32 Depth=2
	s_mul_i32 s10, s65, s78
	s_mul_i32 s11, s64, s79
	v_mov_b32_e32 v7, s78
	s_add_i32 s20, s11, s10
	v_mad_u64_u32 v[28:29], s[10:11], s64, v7, v[8:9]
	v_add_u32_e32 v29, s20, v29
	v_pk_mov_b32 v[30:31], s[38:39], s[38:39] op_sel:[0,1]
	v_mul_lo_u32 v32, s30, v29
	v_mul_lo_u32 v33, s31, v28
	v_mad_u64_u32 v[28:29], s[10:11], s30, v28, v[30:31]
	s_mul_i32 s10, s67, s78
	s_mul_i32 s11, s66, s79
	s_add_i32 s20, s11, s10
	v_mad_u64_u32 v[30:31], s[10:11], s66, v7, v[16:17]
	v_add3_u32 v29, v33, v29, v32
	v_add_u32_e32 v31, s20, v31
	v_pk_mov_b32 v[32:33], s[8:9], s[8:9] op_sel:[0,1]
	s_mov_b64 s[80:81], s[78:79]
.LBB143_37:                             ;   Parent Loop BB143_22 Depth=1
                                        ;     Parent Loop BB143_32 Depth=2
                                        ; =>    This Loop Header: Depth=3
                                        ;         Child Loop BB143_49 Depth 4
                                        ;         Child Loop BB143_45 Depth 4
	s_lshl_b64 s[8:9], s[80:81], 3
	s_add_u32 s8, s36, s8
	s_addc_u32 s9, s37, s9
	s_load_dwordx2 s[8:9], s[8:9], 0x0
	v_pk_mov_b32 v[34:35], s[48:49], s[48:49] op_sel:[0,1]
	v_pk_mov_b32 v[36:37], s[68:69], s[68:69] op_sel:[0,1]
	s_mov_b64 s[86:87], -1
                                        ; implicit-def: $sgpr20_sgpr21
                                        ; implicit-def: $sgpr84_sgpr85
	s_waitcnt lgkmcnt(0)
	s_sub_u32 s82, s8, s17
	s_subb_u32 s83, s9, 0
	v_cmp_ge_i64_e32 vcc, s[82:83], v[34:35]
	v_cmp_lt_i64_e64 s[10:11], s[82:83], v[36:37]
	s_and_b64 s[10:11], vcc, s[10:11]
	v_cmp_ge_i64_e64 s[8:9], s[82:83], v[36:37]
	s_andn2_b64 vcc, exec, s[10:11]
                                        ; implicit-def: $sgpr10_sgpr11
	s_cbranch_vccz .LBB143_41
; %bb.38:                               ;   in Loop: Header=BB143_37 Depth=3
	s_mov_b64 s[84:85], -1
	s_andn2_b64 vcc, exec, s[8:9]
	s_mov_b64 s[20:21], s[76:77]
	s_mov_b64 s[10:11], s[78:79]
	s_cbranch_vccnz .LBB143_40
; %bb.39:                               ;   in Loop: Header=BB143_37 Depth=3
	v_pk_mov_b32 v[34:35], s[76:77], s[76:77] op_sel:[0,1]
	v_cmp_lt_i64_e32 vcc, s[82:83], v[34:35]
	s_and_b64 s[8:9], vcc, exec
	s_cselect_b32 s21, s83, s77
	s_cselect_b32 s20, s82, s76
	s_mov_b64 s[84:85], 0
	s_mov_b64 s[10:11], s[80:81]
.LBB143_40:                             ;   in Loop: Header=BB143_37 Depth=3
	s_mov_b64 s[86:87], 0
.LBB143_41:                             ;   in Loop: Header=BB143_37 Depth=3
	s_andn2_b64 vcc, exec, s[86:87]
	s_cbranch_vccnz .LBB143_52
; %bb.42:                               ;   in Loop: Header=BB143_37 Depth=3
	s_sub_i32 s20, s82, s48
	v_mov_b32_e32 v7, s20
	ds_write_b8 v7, v46 offset:16384
	s_and_saveexec_b64 s[8:9], s[62:63]
	s_cbranch_execz .LBB143_51
; %bb.43:                               ;   in Loop: Header=BB143_37 Depth=3
	s_andn2_b64 vcc, exec, s[22:23]
	s_cbranch_vccnz .LBB143_47
; %bb.44:                               ;   in Loop: Header=BB143_37 Depth=3
	v_mov_b32_e32 v34, 0
	v_pk_mov_b32 v[36:37], v[26:27], v[26:27] op_sel:[0,1]
	s_mov_b64 s[10:11], s[30:31]
	v_pk_mov_b32 v[38:39], v[28:29], v[28:29] op_sel:[0,1]
	v_mov_b32_e32 v35, v34
.LBB143_45:                             ;   Parent Loop BB143_22 Depth=1
                                        ;     Parent Loop BB143_32 Depth=2
                                        ;       Parent Loop BB143_37 Depth=3
                                        ; =>      This Inner Loop Header: Depth=4
	global_load_dwordx2 v[48:49], v[38:39], off offset:-4
	global_load_dwordx2 v[50:51], v[36:37], off
	v_add_co_u32_e32 v38, vcc, 8, v38
	v_addc_co_u32_e32 v39, vcc, 0, v39, vcc
	s_add_u32 s10, s10, -1
	v_add_co_u32_e32 v36, vcc, s64, v36
	s_addc_u32 s11, s11, -1
	v_addc_co_u32_e32 v37, vcc, v37, v45, vcc
	s_cmp_lg_u64 s[10:11], 0
	s_waitcnt vmcnt(0)
	v_pk_fma_f32 v[34:35], v[50:51], v[48:49], v[34:35] op_sel_hi:[1,0,1]
	v_pk_fma_f32 v[34:35], v[50:51], v[48:49], v[34:35] op_sel:[1,1,0] op_sel_hi:[0,1,1] neg_lo:[1,0,0]
	s_cbranch_scc1 .LBB143_45
; %bb.46:                               ;   in Loop: Header=BB143_37 Depth=3
	s_branch .LBB143_50
.LBB143_47:                             ;   in Loop: Header=BB143_37 Depth=3
                                        ; implicit-def: $vgpr34_vgpr35
	s_cbranch_execz .LBB143_50
; %bb.48:                               ;   in Loop: Header=BB143_37 Depth=3
	v_mov_b32_e32 v34, 0
	v_pk_mov_b32 v[36:37], v[30:31], v[30:31] op_sel:[0,1]
	s_mov_b64 s[10:11], s[30:31]
	v_pk_mov_b32 v[38:39], v[24:25], v[24:25] op_sel:[0,1]
	v_mov_b32_e32 v35, v34
.LBB143_49:                             ;   Parent Loop BB143_22 Depth=1
                                        ;     Parent Loop BB143_32 Depth=2
                                        ;       Parent Loop BB143_37 Depth=3
                                        ; =>      This Inner Loop Header: Depth=4
	global_load_dwordx2 v[48:49], v[36:37], off offset:-4
	global_load_dwordx2 v[50:51], v[38:39], off
	v_add_co_u32_e32 v38, vcc, 8, v38
	v_addc_co_u32_e32 v39, vcc, 0, v39, vcc
	s_add_u32 s10, s10, -1
	v_add_co_u32_e32 v36, vcc, s64, v36
	s_addc_u32 s11, s11, -1
	v_addc_co_u32_e32 v37, vcc, v37, v45, vcc
	s_cmp_eq_u64 s[10:11], 0
	s_waitcnt vmcnt(0)
	v_pk_fma_f32 v[34:35], v[50:51], v[48:49], v[34:35] op_sel_hi:[1,0,1]
	v_pk_fma_f32 v[34:35], v[50:51], v[48:49], v[34:35] op_sel:[1,1,0] op_sel_hi:[0,1,1] neg_lo:[1,0,0]
	s_cbranch_scc0 .LBB143_49
.LBB143_50:                             ;   in Loop: Header=BB143_37 Depth=3
	s_lshl_b32 s10, s20, 8
	v_or3_b32 v7, s10, v3, v2
	v_lshlrev_b32_e32 v7, 3, v7
	ds_read_b64 v[36:37], v7
	s_waitcnt lgkmcnt(0)
	v_pk_fma_f32 v[36:37], s[34:35], v[34:35], v[36:37] op_sel_hi:[1,0,1]
	v_pk_fma_f32 v[34:35], s[56:57], v[34:35], v[36:37] op_sel:[0,1,0]
	ds_write_b64 v7, v[34:35]
.LBB143_51:                             ;   in Loop: Header=BB143_37 Depth=3
	s_or_b64 exec, exec, s[8:9]
	s_mov_b64 s[84:85], -1
	s_mov_b64 s[20:21], s[76:77]
	s_mov_b64 s[10:11], s[78:79]
	s_waitcnt lgkmcnt(0)
	s_barrier
.LBB143_52:                             ;   in Loop: Header=BB143_37 Depth=3
	s_add_u32 s80, s80, 1
	s_addc_u32 s81, s81, 0
	v_cmp_lt_i64_e32 vcc, s[80:81], v[32:33]
	s_and_b64 s[8:9], s[84:85], vcc
	v_add_co_u32_e32 v28, vcc, s66, v28
	v_addc_co_u32_e32 v29, vcc, v29, v47, vcc
	v_add_co_u32_e32 v30, vcc, s66, v30
	v_addc_co_u32_e32 v31, vcc, v31, v47, vcc
	s_and_b64 vcc, exec, s[8:9]
	s_cbranch_vccz .LBB143_55
; %bb.53:                               ;   in Loop: Header=BB143_37 Depth=3
	s_mov_b64 s[76:77], s[20:21]
	s_mov_b64 s[78:79], s[10:11]
	s_branch .LBB143_37
.LBB143_54:                             ;   in Loop: Header=BB143_32 Depth=2
	s_mov_b64 s[20:21], s[76:77]
	s_mov_b64 s[10:11], s[78:79]
.LBB143_55:                             ;   in Loop: Header=BB143_32 Depth=2
	s_add_u32 s8, s14, s74
	v_add_co_u32_e32 v26, vcc, s66, v26
	s_addc_u32 s9, s15, s75
	v_addc_co_u32_e32 v27, vcc, v27, v47, vcc
	s_add_u32 s72, s72, 1
	v_add_co_u32_e32 v24, vcc, s66, v24
	s_addc_u32 s73, s73, 0
	v_addc_co_u32_e32 v25, vcc, v25, v47, vcc
	v_cmp_lt_i64_e32 vcc, s[72:73], v[4:5]
	v_pk_mov_b32 v[28:29], s[10:11], s[10:11] op_sel:[0,1]
	global_store_dwordx2 v6, v[28:29], s[8:9]
	s_cbranch_vccz .LBB143_58
; %bb.56:                               ;   in Loop: Header=BB143_32 Depth=2
	s_mov_b64 s[76:77], s[20:21]
	s_branch .LBB143_32
.LBB143_57:                             ;   in Loop: Header=BB143_32 Depth=2
                                        ; implicit-def: $sgpr78_sgpr79
	s_branch .LBB143_34
.LBB143_58:                             ;   in Loop: Header=BB143_22 Depth=1
	s_andn2_b64 vcc, exec, s[52:53]
	s_cbranch_vccnz .LBB143_70
; %bb.59:                               ;   in Loop: Header=BB143_22 Depth=1
	s_load_dwordx4 s[8:11], s[42:43], 0x0
	s_waitcnt lgkmcnt(0)
	v_pk_mov_b32 v[24:25], s[10:11], s[10:11] op_sel:[0,1]
	v_cmp_ge_i64_e32 vcc, s[8:9], v[24:25]
	s_cbranch_vccnz .LBB143_70
; %bb.60:                               ;   in Loop: Header=BB143_22 Depth=1
	s_sub_u32 s70, s10, s58
	s_subb_u32 s71, s11, 0
	s_sub_u32 s24, s8, s58
	s_subb_u32 s72, s9, 0
	s_lshl_b64 s[10:11], s[8:9], 3
	s_add_u32 s10, s59, s10
	s_mul_i32 s73, s67, s24
	s_mul_i32 s72, s66, s72
	s_addc_u32 s11, s91, s11
	s_add_i32 s74, s72, s73
	v_mov_b32_e32 v7, s24
	v_mad_u64_u32 v[24:25], s[72:73], s66, v7, v[18:19]
	s_add_u32 s8, s19, s8
	v_add_u32_e32 v25, s74, v25
	s_addc_u32 s9, s92, s9
	v_pk_mov_b32 v[26:27], s[48:49], s[48:49] op_sel:[0,1]
	v_pk_mov_b32 v[28:29], s[68:69], s[68:69] op_sel:[0,1]
	;; [unrolled: 1-line block ×3, first 2 shown]
.LBB143_61:                             ;   Parent Loop BB143_22 Depth=1
                                        ; =>  This Inner Loop Header: Depth=2
	s_load_dwordx2 s[68:69], s[10:11], 0x0
	s_mov_b64 s[74:75], -1
	s_waitcnt lgkmcnt(0)
	s_sub_u32 s72, s68, s58
	s_subb_u32 s73, s69, 0
	v_cmp_ge_i64_e32 vcc, s[72:73], v[26:27]
	v_cmp_lt_i64_e64 s[70:71], s[72:73], v[28:29]
	s_and_b64 s[68:69], vcc, s[70:71]
	s_andn2_b64 vcc, exec, s[68:69]
                                        ; implicit-def: $sgpr68_sgpr69
	s_cbranch_vccz .LBB143_63
; %bb.62:                               ;   in Loop: Header=BB143_61 Depth=2
	v_pk_mov_b32 v[32:33], s[20:21], s[20:21] op_sel:[0,1]
	v_cmp_lt_i64_e32 vcc, s[72:73], v[32:33]
	s_and_b64 s[68:69], vcc, exec
	s_cselect_b32 s24, s72, s20
	s_cselect_b32 s73, s73, s21
	s_and_b64 s[68:69], s[70:71], exec
	s_cselect_b32 s69, s21, s73
	s_cselect_b32 s68, s20, s24
	s_mov_b64 s[74:75], 0
.LBB143_63:                             ;   in Loop: Header=BB143_61 Depth=2
	s_andn2_b64 vcc, exec, s[74:75]
	s_cbranch_vccnz .LBB143_67
; %bb.64:                               ;   in Loop: Header=BB143_61 Depth=2
	s_sub_i32 s24, s72, s48
	v_mov_b32_e32 v7, s24
	ds_write_b8 v7, v46 offset:16384
	s_and_saveexec_b64 s[68:69], s[62:63]
	s_cbranch_execz .LBB143_66
; %bb.65:                               ;   in Loop: Header=BB143_61 Depth=2
	global_load_dwordx2 v[32:33], v[24:25], off offset:-4
	s_lshl_b32 s24, s24, 8
	v_or3_b32 v7, s24, v3, v2
	v_lshlrev_b32_e32 v7, 3, v7
	ds_read_b64 v[34:35], v7
	s_waitcnt vmcnt(0) lgkmcnt(0)
	v_pk_fma_f32 v[34:35], s[54:55], v[32:33], v[34:35] op_sel_hi:[1,0,1]
	v_pk_fma_f32 v[32:33], s[60:61], v[32:33], v[34:35] op_sel:[0,1,0]
	ds_write_b64 v7, v[32:33]
.LBB143_66:                             ;   in Loop: Header=BB143_61 Depth=2
	s_or_b64 exec, exec, s[68:69]
	s_mov_b64 s[70:71], -1
	s_mov_b64 s[68:69], s[20:21]
	s_waitcnt lgkmcnt(0)
	s_barrier
.LBB143_67:                             ;   in Loop: Header=BB143_61 Depth=2
	v_cmp_lt_i64_e32 vcc, s[8:9], v[30:31]
	s_and_b64 s[20:21], s[70:71], vcc
	s_add_u32 s10, s10, 8
	s_addc_u32 s11, s11, 0
	v_add_co_u32_e32 v24, vcc, s66, v24
	v_addc_co_u32_e32 v25, vcc, v25, v47, vcc
	s_add_u32 s8, s8, 1
	s_addc_u32 s9, s9, 0
	s_and_b64 vcc, exec, s[20:21]
	s_cbranch_vccz .LBB143_69
; %bb.68:                               ;   in Loop: Header=BB143_61 Depth=2
	s_mov_b64 s[20:21], s[68:69]
	s_branch .LBB143_61
.LBB143_69:                             ;   in Loop: Header=BB143_22 Depth=1
	s_mov_b64 s[20:21], s[68:69]
.LBB143_70:                             ;   in Loop: Header=BB143_22 Depth=1
	s_barrier
	ds_read_u8 v7, v6 offset:16384
	s_add_u32 s10, s48, s18
	s_addc_u32 s11, s49, 0
	s_mov_b32 s24, 0
	s_waitcnt lgkmcnt(0)
	v_cmp_eq_u32_e32 vcc, 0, v7
	s_cbranch_vccnz .LBB143_74
; %bb.71:                               ;   in Loop: Header=BB143_22 Depth=1
	v_lshlrev_b64 v[24:25], 3, v[22:23]
	v_mov_b32_e32 v7, s27
	v_add_co_u32_e32 v24, vcc, s26, v24
	v_addc_co_u32_e32 v25, vcc, v7, v25, vcc
	v_pk_mov_b32 v[26:27], s[10:11], s[10:11] op_sel:[0,1]
	global_store_dwordx2 v[24:25], v[26:27], off
	s_and_saveexec_b64 s[8:9], s[62:63]
	s_cbranch_execz .LBB143_73
; %bb.72:                               ;   in Loop: Header=BB143_22 Depth=1
	v_mul_lo_u32 v7, v23, s44
	v_mul_lo_u32 v26, v22, s45
	v_mad_u64_u32 v[24:25], s[48:49], v22, s44, 0
	v_add3_u32 v25, v25, v26, v7
	ds_read_b64 v[26:27], v43
	v_lshlrev_b64 v[24:25], 3, v[24:25]
	v_add_co_u32_e32 v24, vcc, v10, v24
	v_addc_co_u32_e32 v25, vcc, v1, v25, vcc
	s_waitcnt lgkmcnt(0)
	global_store_dwordx2 v[24:25], v[26:27], off
.LBB143_73:                             ;   in Loop: Header=BB143_22 Depth=1
	s_or_b64 exec, exec, s[8:9]
	s_mov_b32 s24, 1
.LBB143_74:                             ;   in Loop: Header=BB143_22 Depth=1
	ds_read_u8 v7, v6 offset:16385
	v_add_co_u32_e64 v26, s[8:9], -1, v22
	s_waitcnt lgkmcnt(0)
	v_cmp_eq_u32_e32 vcc, 0, v7
	v_addc_co_u32_e64 v7, s[8:9], -1, v23, s[8:9]
	s_cbranch_vccz .LBB143_80
; %bb.75:                               ;   in Loop: Header=BB143_22 Depth=1
	ds_read_u8 v24, v6 offset:16386
	s_waitcnt lgkmcnt(0)
	v_cmp_eq_u32_e32 vcc, 0, v24
	s_cbranch_vccz .LBB143_83
.LBB143_76:                             ;   in Loop: Header=BB143_22 Depth=1
	ds_read_u8 v24, v6 offset:16387
	s_waitcnt lgkmcnt(0)
	v_cmp_eq_u32_e32 vcc, 0, v24
	s_cbranch_vccz .LBB143_86
.LBB143_77:                             ;   in Loop: Header=BB143_22 Depth=1
	ds_read_u8 v24, v6 offset:16388
	s_waitcnt lgkmcnt(0)
	v_cmp_eq_u32_e32 vcc, 0, v24
	s_cbranch_vccz .LBB143_89
.LBB143_78:                             ;   in Loop: Header=BB143_22 Depth=1
	ds_read_u8 v24, v6 offset:16389
	s_waitcnt lgkmcnt(0)
	v_cmp_eq_u32_e32 vcc, 0, v24
	s_cbranch_vccz .LBB143_92
.LBB143_79:                             ;   in Loop: Header=BB143_22 Depth=1
	ds_read_u8 v24, v6 offset:16390
	s_waitcnt lgkmcnt(0)
	v_cmp_eq_u32_e32 vcc, 0, v24
	s_cbranch_vccz .LBB143_95
	s_branch .LBB143_98
.LBB143_80:                             ;   in Loop: Header=BB143_22 Depth=1
	s_add_i32 s24, s24, 1
	v_add_co_u32_e32 v24, vcc, s24, v22
	v_addc_co_u32_e32 v25, vcc, 0, v23, vcc
	s_add_u32 s8, s10, 1
	v_lshlrev_b64 v[24:25], 3, v[24:25]
	s_addc_u32 s9, s11, 0
	v_mov_b32_e32 v27, s90
	v_add_co_u32_e32 v24, vcc, s89, v24
	v_addc_co_u32_e32 v25, vcc, v27, v25, vcc
	v_pk_mov_b32 v[28:29], s[8:9], s[8:9] op_sel:[0,1]
	global_store_dwordx2 v[24:25], v[28:29], off
	s_and_saveexec_b64 s[8:9], s[62:63]
	s_cbranch_execz .LBB143_82
; %bb.81:                               ;   in Loop: Header=BB143_22 Depth=1
	v_mov_b32_e32 v24, s25
	v_add_co_u32_e32 v25, vcc, s24, v26
	v_addc_co_u32_e32 v24, vcc, v7, v24, vcc
	v_mul_lo_u32 v27, v24, s44
	v_mul_lo_u32 v28, v25, s45
	v_mad_u64_u32 v[24:25], s[48:49], v25, s44, 0
	v_add3_u32 v25, v25, v28, v27
	ds_read_b64 v[28:29], v44 offset:2048
	v_lshlrev_b64 v[24:25], 3, v[24:25]
	v_add_co_u32_e32 v24, vcc, v10, v24
	v_addc_co_u32_e32 v25, vcc, v1, v25, vcc
	s_waitcnt lgkmcnt(0)
	global_store_dwordx2 v[24:25], v[28:29], off
.LBB143_82:                             ;   in Loop: Header=BB143_22 Depth=1
	s_or_b64 exec, exec, s[8:9]
	ds_read_u8 v24, v6 offset:16386
	s_waitcnt lgkmcnt(0)
	v_cmp_eq_u32_e32 vcc, 0, v24
	s_cbranch_vccnz .LBB143_76
.LBB143_83:                             ;   in Loop: Header=BB143_22 Depth=1
	s_add_i32 s24, s24, 1
	v_add_co_u32_e32 v24, vcc, s24, v22
	v_addc_co_u32_e32 v25, vcc, 0, v23, vcc
	s_add_u32 s8, s10, 2
	v_lshlrev_b64 v[24:25], 3, v[24:25]
	s_addc_u32 s9, s11, 0
	v_mov_b32_e32 v27, s90
	v_add_co_u32_e32 v24, vcc, s89, v24
	v_addc_co_u32_e32 v25, vcc, v27, v25, vcc
	v_pk_mov_b32 v[28:29], s[8:9], s[8:9] op_sel:[0,1]
	global_store_dwordx2 v[24:25], v[28:29], off
	s_and_saveexec_b64 s[8:9], s[62:63]
	s_cbranch_execz .LBB143_85
; %bb.84:                               ;   in Loop: Header=BB143_22 Depth=1
	v_mov_b32_e32 v24, s25
	v_add_co_u32_e32 v25, vcc, s24, v26
	v_addc_co_u32_e32 v24, vcc, v7, v24, vcc
	v_mul_lo_u32 v27, v24, s44
	v_mul_lo_u32 v28, v25, s45
	v_mad_u64_u32 v[24:25], s[48:49], v25, s44, 0
	v_add3_u32 v25, v25, v28, v27
	ds_read_b64 v[28:29], v44 offset:4096
	v_lshlrev_b64 v[24:25], 3, v[24:25]
	v_add_co_u32_e32 v24, vcc, v10, v24
	v_addc_co_u32_e32 v25, vcc, v1, v25, vcc
	s_waitcnt lgkmcnt(0)
	global_store_dwordx2 v[24:25], v[28:29], off
.LBB143_85:                             ;   in Loop: Header=BB143_22 Depth=1
	s_or_b64 exec, exec, s[8:9]
	ds_read_u8 v24, v6 offset:16387
	s_waitcnt lgkmcnt(0)
	v_cmp_eq_u32_e32 vcc, 0, v24
	s_cbranch_vccnz .LBB143_77
.LBB143_86:                             ;   in Loop: Header=BB143_22 Depth=1
	s_add_i32 s24, s24, 1
	v_add_co_u32_e32 v24, vcc, s24, v22
	v_addc_co_u32_e32 v25, vcc, 0, v23, vcc
	s_add_u32 s8, s10, 3
	v_lshlrev_b64 v[24:25], 3, v[24:25]
	s_addc_u32 s9, s11, 0
	v_mov_b32_e32 v27, s90
	v_add_co_u32_e32 v24, vcc, s89, v24
	v_addc_co_u32_e32 v25, vcc, v27, v25, vcc
	v_pk_mov_b32 v[28:29], s[8:9], s[8:9] op_sel:[0,1]
	global_store_dwordx2 v[24:25], v[28:29], off
	s_and_saveexec_b64 s[8:9], s[62:63]
	s_cbranch_execz .LBB143_88
; %bb.87:                               ;   in Loop: Header=BB143_22 Depth=1
	v_mov_b32_e32 v24, s25
	v_add_co_u32_e32 v25, vcc, s24, v26
	v_addc_co_u32_e32 v24, vcc, v7, v24, vcc
	v_mul_lo_u32 v27, v24, s44
	v_mul_lo_u32 v28, v25, s45
	v_mad_u64_u32 v[24:25], s[48:49], v25, s44, 0
	v_add3_u32 v25, v25, v28, v27
	ds_read_b64 v[28:29], v44 offset:6144
	v_lshlrev_b64 v[24:25], 3, v[24:25]
	v_add_co_u32_e32 v24, vcc, v10, v24
	v_addc_co_u32_e32 v25, vcc, v1, v25, vcc
	s_waitcnt lgkmcnt(0)
	global_store_dwordx2 v[24:25], v[28:29], off
.LBB143_88:                             ;   in Loop: Header=BB143_22 Depth=1
	s_or_b64 exec, exec, s[8:9]
	ds_read_u8 v24, v6 offset:16388
	s_waitcnt lgkmcnt(0)
	v_cmp_eq_u32_e32 vcc, 0, v24
	s_cbranch_vccnz .LBB143_78
.LBB143_89:                             ;   in Loop: Header=BB143_22 Depth=1
	s_add_i32 s24, s24, 1
	v_add_co_u32_e32 v24, vcc, s24, v22
	v_addc_co_u32_e32 v25, vcc, 0, v23, vcc
	s_add_u32 s8, s10, 4
	v_lshlrev_b64 v[24:25], 3, v[24:25]
	s_addc_u32 s9, s11, 0
	v_mov_b32_e32 v27, s90
	v_add_co_u32_e32 v24, vcc, s89, v24
	v_addc_co_u32_e32 v25, vcc, v27, v25, vcc
	v_pk_mov_b32 v[28:29], s[8:9], s[8:9] op_sel:[0,1]
	global_store_dwordx2 v[24:25], v[28:29], off
	s_and_saveexec_b64 s[8:9], s[62:63]
	s_cbranch_execz .LBB143_91
; %bb.90:                               ;   in Loop: Header=BB143_22 Depth=1
	v_mov_b32_e32 v24, s25
	v_add_co_u32_e32 v25, vcc, s24, v26
	v_addc_co_u32_e32 v24, vcc, v7, v24, vcc
	v_mul_lo_u32 v27, v24, s44
	v_mul_lo_u32 v28, v25, s45
	v_mad_u64_u32 v[24:25], s[48:49], v25, s44, 0
	v_add3_u32 v25, v25, v28, v27
	ds_read_b64 v[28:29], v43 offset:8192
	v_lshlrev_b64 v[24:25], 3, v[24:25]
	v_add_co_u32_e32 v24, vcc, v10, v24
	v_addc_co_u32_e32 v25, vcc, v1, v25, vcc
	s_waitcnt lgkmcnt(0)
	global_store_dwordx2 v[24:25], v[28:29], off
.LBB143_91:                             ;   in Loop: Header=BB143_22 Depth=1
	s_or_b64 exec, exec, s[8:9]
	ds_read_u8 v24, v6 offset:16389
	s_waitcnt lgkmcnt(0)
	v_cmp_eq_u32_e32 vcc, 0, v24
	s_cbranch_vccnz .LBB143_79
.LBB143_92:                             ;   in Loop: Header=BB143_22 Depth=1
	s_add_i32 s24, s24, 1
	v_add_co_u32_e32 v24, vcc, s24, v22
	v_addc_co_u32_e32 v25, vcc, 0, v23, vcc
	s_add_u32 s8, s10, 5
	v_lshlrev_b64 v[24:25], 3, v[24:25]
	s_addc_u32 s9, s11, 0
	v_mov_b32_e32 v27, s90
	v_add_co_u32_e32 v24, vcc, s89, v24
	v_addc_co_u32_e32 v25, vcc, v27, v25, vcc
	v_pk_mov_b32 v[28:29], s[8:9], s[8:9] op_sel:[0,1]
	global_store_dwordx2 v[24:25], v[28:29], off
	s_and_saveexec_b64 s[8:9], s[62:63]
	s_cbranch_execz .LBB143_94
; %bb.93:                               ;   in Loop: Header=BB143_22 Depth=1
	v_mov_b32_e32 v24, s25
	v_add_co_u32_e32 v25, vcc, s24, v26
	v_addc_co_u32_e32 v24, vcc, v7, v24, vcc
	v_mul_lo_u32 v27, v24, s44
	v_mul_lo_u32 v28, v25, s45
	v_mad_u64_u32 v[24:25], s[48:49], v25, s44, 0
	v_add3_u32 v25, v25, v28, v27
	ds_read_b64 v[28:29], v44 offset:10240
	v_lshlrev_b64 v[24:25], 3, v[24:25]
	v_add_co_u32_e32 v24, vcc, v10, v24
	v_addc_co_u32_e32 v25, vcc, v1, v25, vcc
	s_waitcnt lgkmcnt(0)
	global_store_dwordx2 v[24:25], v[28:29], off
.LBB143_94:                             ;   in Loop: Header=BB143_22 Depth=1
	s_or_b64 exec, exec, s[8:9]
	ds_read_u8 v24, v6 offset:16390
	s_waitcnt lgkmcnt(0)
	v_cmp_eq_u32_e32 vcc, 0, v24
	s_cbranch_vccnz .LBB143_98
.LBB143_95:                             ;   in Loop: Header=BB143_22 Depth=1
	s_add_i32 s24, s24, 1
	v_add_co_u32_e32 v24, vcc, s24, v22
	v_addc_co_u32_e32 v25, vcc, 0, v23, vcc
	s_add_u32 s8, s10, 6
	v_lshlrev_b64 v[24:25], 3, v[24:25]
	s_addc_u32 s9, s11, 0
	v_mov_b32_e32 v27, s90
	v_add_co_u32_e32 v24, vcc, s89, v24
	v_addc_co_u32_e32 v25, vcc, v27, v25, vcc
	v_pk_mov_b32 v[28:29], s[8:9], s[8:9] op_sel:[0,1]
	global_store_dwordx2 v[24:25], v[28:29], off
	s_and_saveexec_b64 s[8:9], s[62:63]
	s_cbranch_execz .LBB143_97
; %bb.96:                               ;   in Loop: Header=BB143_22 Depth=1
	v_mov_b32_e32 v24, s25
	v_add_co_u32_e32 v25, vcc, s24, v26
	v_addc_co_u32_e32 v24, vcc, v7, v24, vcc
	v_mul_lo_u32 v27, v24, s44
	v_mul_lo_u32 v28, v25, s45
	v_mad_u64_u32 v[24:25], s[48:49], v25, s44, 0
	v_add3_u32 v25, v25, v28, v27
	ds_read_b64 v[28:29], v44 offset:12288
	v_lshlrev_b64 v[24:25], 3, v[24:25]
	v_add_co_u32_e32 v24, vcc, v10, v24
	v_addc_co_u32_e32 v25, vcc, v1, v25, vcc
	s_waitcnt lgkmcnt(0)
	global_store_dwordx2 v[24:25], v[28:29], off
.LBB143_97:                             ;   in Loop: Header=BB143_22 Depth=1
	s_or_b64 exec, exec, s[8:9]
.LBB143_98:                             ;   in Loop: Header=BB143_22 Depth=1
	ds_read_u8 v24, v6 offset:16391
	s_waitcnt lgkmcnt(0)
	v_readfirstlane_b32 s8, v24
	s_bitcmp1_b32 s8, 0
	s_cselect_b64 s[8:9], -1, 0
	s_and_b64 vcc, exec, s[8:9]
	s_cbranch_vccnz .LBB143_100
; %bb.99:                               ;   in Loop: Header=BB143_22 Depth=1
	v_add_co_u32_e32 v24, vcc, s24, v22
	v_addc_co_u32_e32 v25, vcc, 0, v23, vcc
	s_cbranch_execnz .LBB143_21
	s_branch .LBB143_101
.LBB143_100:                            ;   in Loop: Header=BB143_22 Depth=1
                                        ; implicit-def: $vgpr24_vgpr25
.LBB143_101:                            ;   in Loop: Header=BB143_22 Depth=1
	s_add_i32 s24, s24, 1
	v_add_co_u32_e32 v24, vcc, s24, v22
	v_addc_co_u32_e32 v25, vcc, 0, v23, vcc
	s_add_u32 s8, s10, 7
	v_lshlrev_b64 v[22:23], 3, v[24:25]
	s_addc_u32 s9, s11, 0
	v_mov_b32_e32 v27, s90
	v_add_co_u32_e32 v22, vcc, s89, v22
	v_addc_co_u32_e32 v23, vcc, v27, v23, vcc
	v_pk_mov_b32 v[28:29], s[8:9], s[8:9] op_sel:[0,1]
	global_store_dwordx2 v[22:23], v[28:29], off
	s_and_saveexec_b64 s[8:9], s[62:63]
	s_cbranch_execz .LBB143_20
; %bb.102:                              ;   in Loop: Header=BB143_22 Depth=1
	v_mov_b32_e32 v22, s25
	v_add_co_u32_e32 v23, vcc, s24, v26
	v_addc_co_u32_e32 v7, vcc, v7, v22, vcc
	v_mul_lo_u32 v28, v23, s45
	v_mad_u64_u32 v[26:27], s[10:11], v23, s44, 0
	ds_read_b64 v[22:23], v44 offset:14336
	v_mul_lo_u32 v7, v7, s44
	v_add3_u32 v27, v27, v28, v7
	s_andn2_b64 vcc, exec, s[22:23]
	v_lshlrev_b64 v[26:27], 3, v[26:27]
	s_cbranch_vccnz .LBB143_104
; %bb.103:                              ;   in Loop: Header=BB143_22 Depth=1
	v_add_co_u32_e32 v28, vcc, v11, v26
	v_addc_co_u32_e32 v29, vcc, v40, v27, vcc
	s_waitcnt lgkmcnt(0)
	global_store_dwordx2 v[28:29], v[22:23], off
	s_cbranch_execnz .LBB143_20
	s_branch .LBB143_105
.LBB143_104:                            ;   in Loop: Header=BB143_22 Depth=1
.LBB143_105:                            ;   in Loop: Header=BB143_22 Depth=1
	v_add_co_u32_e32 v26, vcc, v41, v26
	v_addc_co_u32_e32 v27, vcc, v42, v27, vcc
	s_waitcnt lgkmcnt(0)
	global_store_dwordx2 v[26:27], v[22:23], off
	s_branch .LBB143_20
.LBB143_106:
	s_endpgm
	.section	.rodata,"a",@progbits
	.p2align	6, 0x0
	.amdhsa_kernel _ZN9rocsparseL31bsrgemm_block_per_row_multipassILj256ELj8ELj16Ell21rocsparse_complex_numIfEEEv20rocsparse_direction_T3_S4_PKS4_S6_NS_24const_host_device_scalarIT4_EEPKT2_S6_PKS8_SC_S6_SE_S9_SC_S6_SE_SC_PS4_PS8_PSA_21rocsparse_index_base_SI_SI_SI_bbb
		.amdhsa_group_segment_fixed_size 16392
		.amdhsa_private_segment_fixed_size 0
		.amdhsa_kernarg_size 180
		.amdhsa_user_sgpr_count 6
		.amdhsa_user_sgpr_private_segment_buffer 1
		.amdhsa_user_sgpr_dispatch_ptr 0
		.amdhsa_user_sgpr_queue_ptr 0
		.amdhsa_user_sgpr_kernarg_segment_ptr 1
		.amdhsa_user_sgpr_dispatch_id 0
		.amdhsa_user_sgpr_flat_scratch_init 0
		.amdhsa_user_sgpr_kernarg_preload_length 0
		.amdhsa_user_sgpr_kernarg_preload_offset 0
		.amdhsa_user_sgpr_private_segment_size 0
		.amdhsa_uses_dynamic_stack 0
		.amdhsa_system_sgpr_private_segment_wavefront_offset 0
		.amdhsa_system_sgpr_workgroup_id_x 1
		.amdhsa_system_sgpr_workgroup_id_y 0
		.amdhsa_system_sgpr_workgroup_id_z 0
		.amdhsa_system_sgpr_workgroup_info 0
		.amdhsa_system_vgpr_workitem_id 0
		.amdhsa_next_free_vgpr 52
		.amdhsa_next_free_sgpr 93
		.amdhsa_accum_offset 52
		.amdhsa_reserve_vcc 1
		.amdhsa_reserve_flat_scratch 0
		.amdhsa_float_round_mode_32 0
		.amdhsa_float_round_mode_16_64 0
		.amdhsa_float_denorm_mode_32 3
		.amdhsa_float_denorm_mode_16_64 3
		.amdhsa_dx10_clamp 1
		.amdhsa_ieee_mode 1
		.amdhsa_fp16_overflow 0
		.amdhsa_tg_split 0
		.amdhsa_exception_fp_ieee_invalid_op 0
		.amdhsa_exception_fp_denorm_src 0
		.amdhsa_exception_fp_ieee_div_zero 0
		.amdhsa_exception_fp_ieee_overflow 0
		.amdhsa_exception_fp_ieee_underflow 0
		.amdhsa_exception_fp_ieee_inexact 0
		.amdhsa_exception_int_div_zero 0
	.end_amdhsa_kernel
	.section	.text._ZN9rocsparseL31bsrgemm_block_per_row_multipassILj256ELj8ELj16Ell21rocsparse_complex_numIfEEEv20rocsparse_direction_T3_S4_PKS4_S6_NS_24const_host_device_scalarIT4_EEPKT2_S6_PKS8_SC_S6_SE_S9_SC_S6_SE_SC_PS4_PS8_PSA_21rocsparse_index_base_SI_SI_SI_bbb,"axG",@progbits,_ZN9rocsparseL31bsrgemm_block_per_row_multipassILj256ELj8ELj16Ell21rocsparse_complex_numIfEEEv20rocsparse_direction_T3_S4_PKS4_S6_NS_24const_host_device_scalarIT4_EEPKT2_S6_PKS8_SC_S6_SE_S9_SC_S6_SE_SC_PS4_PS8_PSA_21rocsparse_index_base_SI_SI_SI_bbb,comdat
.Lfunc_end143:
	.size	_ZN9rocsparseL31bsrgemm_block_per_row_multipassILj256ELj8ELj16Ell21rocsparse_complex_numIfEEEv20rocsparse_direction_T3_S4_PKS4_S6_NS_24const_host_device_scalarIT4_EEPKT2_S6_PKS8_SC_S6_SE_S9_SC_S6_SE_SC_PS4_PS8_PSA_21rocsparse_index_base_SI_SI_SI_bbb, .Lfunc_end143-_ZN9rocsparseL31bsrgemm_block_per_row_multipassILj256ELj8ELj16Ell21rocsparse_complex_numIfEEEv20rocsparse_direction_T3_S4_PKS4_S6_NS_24const_host_device_scalarIT4_EEPKT2_S6_PKS8_SC_S6_SE_S9_SC_S6_SE_SC_PS4_PS8_PSA_21rocsparse_index_base_SI_SI_SI_bbb
                                        ; -- End function
	.section	.AMDGPU.csdata,"",@progbits
; Kernel info:
; codeLenInByte = 4180
; NumSgprs: 97
; NumVgprs: 52
; NumAgprs: 0
; TotalNumVgprs: 52
; ScratchSize: 0
; MemoryBound: 1
; FloatMode: 240
; IeeeMode: 1
; LDSByteSize: 16392 bytes/workgroup (compile time only)
; SGPRBlocks: 12
; VGPRBlocks: 6
; NumSGPRsForWavesPerEU: 97
; NumVGPRsForWavesPerEU: 52
; AccumOffset: 52
; Occupancy: 3
; WaveLimiterHint : 1
; COMPUTE_PGM_RSRC2:SCRATCH_EN: 0
; COMPUTE_PGM_RSRC2:USER_SGPR: 6
; COMPUTE_PGM_RSRC2:TRAP_HANDLER: 0
; COMPUTE_PGM_RSRC2:TGID_X_EN: 1
; COMPUTE_PGM_RSRC2:TGID_Y_EN: 0
; COMPUTE_PGM_RSRC2:TGID_Z_EN: 0
; COMPUTE_PGM_RSRC2:TIDIG_COMP_CNT: 0
; COMPUTE_PGM_RSRC3_GFX90A:ACCUM_OFFSET: 12
; COMPUTE_PGM_RSRC3_GFX90A:TG_SPLIT: 0
	.section	.text._ZN9rocsparseL31bsrgemm_block_per_row_multipassILj256ELj2ELj32Ell21rocsparse_complex_numIfEEEv20rocsparse_direction_T3_S4_PKS4_S6_NS_24const_host_device_scalarIT4_EEPKT2_S6_PKS8_SC_S6_SE_S9_SC_S6_SE_SC_PS4_PS8_PSA_21rocsparse_index_base_SI_SI_SI_bbb,"axG",@progbits,_ZN9rocsparseL31bsrgemm_block_per_row_multipassILj256ELj2ELj32Ell21rocsparse_complex_numIfEEEv20rocsparse_direction_T3_S4_PKS4_S6_NS_24const_host_device_scalarIT4_EEPKT2_S6_PKS8_SC_S6_SE_S9_SC_S6_SE_SC_PS4_PS8_PSA_21rocsparse_index_base_SI_SI_SI_bbb,comdat
	.globl	_ZN9rocsparseL31bsrgemm_block_per_row_multipassILj256ELj2ELj32Ell21rocsparse_complex_numIfEEEv20rocsparse_direction_T3_S4_PKS4_S6_NS_24const_host_device_scalarIT4_EEPKT2_S6_PKS8_SC_S6_SE_S9_SC_S6_SE_SC_PS4_PS8_PSA_21rocsparse_index_base_SI_SI_SI_bbb ; -- Begin function _ZN9rocsparseL31bsrgemm_block_per_row_multipassILj256ELj2ELj32Ell21rocsparse_complex_numIfEEEv20rocsparse_direction_T3_S4_PKS4_S6_NS_24const_host_device_scalarIT4_EEPKT2_S6_PKS8_SC_S6_SE_S9_SC_S6_SE_SC_PS4_PS8_PSA_21rocsparse_index_base_SI_SI_SI_bbb
	.p2align	8
	.type	_ZN9rocsparseL31bsrgemm_block_per_row_multipassILj256ELj2ELj32Ell21rocsparse_complex_numIfEEEv20rocsparse_direction_T3_S4_PKS4_S6_NS_24const_host_device_scalarIT4_EEPKT2_S6_PKS8_SC_S6_SE_S9_SC_S6_SE_SC_PS4_PS8_PSA_21rocsparse_index_base_SI_SI_SI_bbb,@function
_ZN9rocsparseL31bsrgemm_block_per_row_multipassILj256ELj2ELj32Ell21rocsparse_complex_numIfEEEv20rocsparse_direction_T3_S4_PKS4_S6_NS_24const_host_device_scalarIT4_EEPKT2_S6_PKS8_SC_S6_SE_S9_SC_S6_SE_SC_PS4_PS8_PSA_21rocsparse_index_base_SI_SI_SI_bbb: ; @_ZN9rocsparseL31bsrgemm_block_per_row_multipassILj256ELj2ELj32Ell21rocsparse_complex_numIfEEEv20rocsparse_direction_T3_S4_PKS4_S6_NS_24const_host_device_scalarIT4_EEPKT2_S6_PKS8_SC_S6_SE_S9_SC_S6_SE_SC_PS4_PS8_PSA_21rocsparse_index_base_SI_SI_SI_bbb
; %bb.0:
	s_load_dwordx8 s[12:19], s[4:5], 0x90
	s_load_dword s7, s[4:5], 0xb0
	s_load_dwordx8 s[20:27], s[4:5], 0x70
                                        ; implicit-def: $vgpr78 : SGPR spill to VGPR lane
	s_load_dwordx8 s[36:43], s[4:5], 0x50
	s_load_dwordx4 s[8:11], s[4:5], 0x18
	s_load_dwordx8 s[44:51], s[4:5], 0x30
	s_mov_b32 s35, 0
	s_mov_b32 s34, s35
	s_waitcnt lgkmcnt(0)
	s_bitcmp1_b32 s7, 0
	v_writelane_b32 v78, s20, 0
	v_writelane_b32 v78, s21, 1
	;; [unrolled: 1-line block ×3, first 2 shown]
	s_cselect_b64 s[68:69], -1, 0
	s_bitcmp1_b32 s7, 16
	v_writelane_b32 v78, s23, 3
	s_cselect_b64 s[0:1], -1, 0
	v_writelane_b32 v78, s24, 4
	s_xor_b64 s[0:1], s[0:1], -1
	v_writelane_b32 v78, s25, 5
	v_cndmask_b32_e64 v1, 0, 1, s[0:1]
	v_writelane_b32 v78, s26, 6
	s_bitcmp0_b32 s7, 0
	v_cmp_ne_u32_e64 s[0:1], 1, v1
	v_writelane_b32 v78, s27, 7
	s_cbranch_scc1 .LBB144_6
; %bb.1:
	s_load_dwordx2 s[2:3], s[4:5], 0x28
	s_and_b64 vcc, exec, s[0:1]
	s_waitcnt lgkmcnt(0)
	s_mov_b32 s34, s2
	s_cbranch_vccnz .LBB144_3
; %bb.2:
	s_load_dword s34, s[2:3], 0x0
.LBB144_3:
	s_and_b64 vcc, exec, s[0:1]
	s_cbranch_vccnz .LBB144_5
; %bb.4:
	s_load_dword s3, s[2:3], 0x4
.LBB144_5:
	s_waitcnt lgkmcnt(0)
	s_mov_b32 s35, s3
.LBB144_6:
	s_bitcmp1_b32 s7, 8
	s_mov_b32 s55, 0
	s_cselect_b64 s[52:53], -1, 0
	s_bfe_u32 s2, s7, 0x10008
	s_cmp_eq_u32 s2, 0
	s_mov_b32 s54, s55
	s_cbranch_scc1 .LBB144_12
; %bb.7:
	s_and_b64 vcc, exec, s[0:1]
	s_mov_b32 s54, s40
	s_cbranch_vccnz .LBB144_9
; %bb.8:
	s_load_dword s54, s[40:41], 0x0
.LBB144_9:
	s_and_b64 vcc, exec, s[0:1]
	s_cbranch_vccnz .LBB144_11
; %bb.10:
	s_load_dword s41, s[40:41], 0x4
.LBB144_11:
	s_waitcnt lgkmcnt(0)
	s_mov_b32 s55, s41
.LBB144_12:
	s_mov_b64 s[56:57], 0
	s_cmp_eq_u64 s[10:11], 0
	s_mov_b32 s7, 0
	s_cbranch_scc1 .LBB144_14
; %bb.13:
	s_load_dwordx2 s[0:1], s[8:9], 0x0
	s_waitcnt lgkmcnt(0)
	s_lshl_b64 s[0:1], s[0:1], 3
	s_add_u32 s2, s10, s0
	s_addc_u32 s3, s11, s1
	s_lshl_b64 s[0:1], s[6:7], 3
	s_add_u32 s0, s2, s0
	s_addc_u32 s1, s3, s1
	s_load_dwordx2 s[6:7], s[0:1], 0x0
.LBB144_14:
	v_cndmask_b32_e64 v1, 0, 1, s[68:69]
	v_cmp_ne_u32_e64 s[0:1], 1, v1
	s_andn2_b64 vcc, exec, s[68:69]
	s_cbranch_vccz .LBB144_17
; %bb.15:
	s_and_b64 vcc, exec, s[0:1]
	s_mov_b64 s[58:59], 0
	s_cbranch_vccz .LBB144_18
.LBB144_16:
	s_load_dwordx4 s[28:31], s[4:5], 0x8
	s_waitcnt lgkmcnt(0)
	v_cmp_lt_i64_e64 s[0:1], s[28:29], 1
	s_and_b64 vcc, exec, s[0:1]
	s_cbranch_vccz .LBB144_19
	s_branch .LBB144_122
.LBB144_17:
	s_waitcnt lgkmcnt(0)
	s_lshl_b64 s[2:3], s[6:7], 3
	s_add_u32 s2, s44, s2
	s_addc_u32 s3, s45, s3
	s_load_dwordx2 s[2:3], s[2:3], 0x0
	s_waitcnt lgkmcnt(0)
	s_sub_u32 s56, s2, s16
	s_subb_u32 s57, s3, 0
	s_and_b64 vcc, exec, s[0:1]
	s_mov_b64 s[58:59], 0
	s_cbranch_vccnz .LBB144_16
.LBB144_18:
	s_waitcnt lgkmcnt(0)
	s_lshl_b64 s[0:1], s[6:7], 3
	s_add_u32 s0, s44, s0
	s_addc_u32 s1, s45, s1
	s_load_dwordx2 s[0:1], s[0:1], 0x8
	s_waitcnt lgkmcnt(0)
	s_sub_u32 s58, s0, s16
	s_subb_u32 s59, s1, 0
	s_load_dwordx4 s[28:31], s[4:5], 0x8
	s_waitcnt lgkmcnt(0)
	v_cmp_lt_i64_e64 s[0:1], s[28:29], 1
	s_and_b64 vcc, exec, s[0:1]
	s_cbranch_vccnz .LBB144_122
.LBB144_19:
	s_load_dwordx8 s[20:27], s[4:5], 0x70
	s_lshl_b64 s[6:7], s[6:7], 3
	s_load_dword s8, s[4:5], 0x0
	s_mul_hi_u32 s9, s30, s30
	v_lshrrev_b32_e32 v6, 3, v0
	s_waitcnt lgkmcnt(0)
	s_add_u32 s0, s24, s6
	s_addc_u32 s1, s25, s7
	s_load_dwordx2 s[0:1], s[0:1], 0x0
	v_pk_mov_b32 v[4:5], s[58:59], s[58:59] op_sel:[0,1]
	v_cmp_lt_i64_e32 vcc, s[56:57], v[4:5]
	v_mov_b32_e32 v4, 0
	v_mov_b32_e32 v7, v4
	s_waitcnt lgkmcnt(0)
	s_sub_u32 s84, s0, s18
	s_subb_u32 s85, s1, 0
	s_cmp_eq_u32 s8, 0
	s_cselect_b64 s[2:3], -1, 0
	s_cmp_lg_u32 s8, 0
	s_mul_i32 s8, s30, s31
	s_cselect_b64 s[44:45], -1, 0
	s_add_i32 s9, s9, s8
	s_add_i32 s61, s9, s8
	s_xor_b32 s62, s35, 0x80000000
	v_mad_u64_u32 v[8:9], s[8:9], v6, s30, 0
	s_add_u32 s6, s42, s6
	v_mov_b32_e32 v10, v9
	s_addc_u32 s7, s43, s7
	v_cmp_gt_u64_e64 s[4:5], s[30:31], v[6:7]
	v_mad_u64_u32 v[10:11], s[8:9], v6, s31, v[10:11]
	v_lshlrev_b32_e32 v1, 5, v6
	v_writelane_b32 v78, s6, 8
	v_lshlrev_b64 v[6:7], 3, v[6:7]
	v_mov_b32_e32 v9, v10
	v_writelane_b32 v78, s7, 9
	v_mov_b32_e32 v3, s13
	v_add_co_u32_e64 v64, s[6:7], s12, v6
	v_addc_co_u32_e64 v65, s[6:7], v3, v7, s[6:7]
	v_lshlrev_b64 v[6:7], 3, v[8:9]
	v_and_b32_e32 v2, 7, v0
	v_add_co_u32_e64 v66, s[6:7], s12, v6
	v_addc_co_u32_e64 v67, s[6:7], v3, v7, s[6:7]
	v_mad_u64_u32 v[6:7], s[6:7], v2, s30, 0
	v_mov_b32_e32 v8, v7
	v_mov_b32_e32 v3, v4
	v_mad_u64_u32 v[8:9], s[6:7], v2, s31, v[8:9]
	v_or_b32_e32 v14, 8, v2
	s_and_b64 s[68:69], s[68:69], vcc
	v_cmp_gt_i64_e32 vcc, s[30:31], v[2:3]
	v_mov_b32_e32 v7, v8
	v_mov_b32_e32 v15, v4
	v_mad_u64_u32 v[8:9], s[6:7], v14, s30, 0
	s_and_b64 s[70:71], vcc, s[4:5]
	v_cmp_gt_i64_e32 vcc, s[30:31], v[14:15]
	v_mov_b32_e32 v10, v9
	v_or_b32_e32 v16, 16, v2
	v_mov_b32_e32 v17, v4
	s_and_b64 s[72:73], vcc, s[4:5]
	v_mad_u64_u32 v[10:11], s[6:7], v14, s31, v[10:11]
	v_cmp_gt_i64_e32 vcc, s[30:31], v[16:17]
	v_or_b32_e32 v18, 24, v2
	v_mov_b32_e32 v19, v4
	v_mov_b32_e32 v9, v10
	s_and_b64 s[74:75], vcc, s[4:5]
	v_mad_u64_u32 v[10:11], s[6:7], v16, s30, 0
	v_cmp_gt_i64_e32 vcc, s[30:31], v[18:19]
	s_xor_b32 s66, s55, 0x80000000
	v_mov_b32_e32 v12, v11
	s_and_b64 s[76:77], vcc, s[4:5]
	v_mad_u64_u32 v[12:13], s[6:7], v16, s31, v[12:13]
	s_add_u32 s33, s50, 8
	s_movk_i32 s6, 0x200
	s_addc_u32 s22, s51, 0
	v_cmp_gt_u32_e64 s[6:7], s6, v0
	s_add_u32 s23, s26, -8
	s_mul_i32 s60, s30, s30
	v_writelane_b32 v78, s6, 10
	s_addc_u32 s26, s27, -1
	v_writelane_b32 v78, s7, 11
	s_add_u32 s78, s38, 4
	s_mul_i32 s6, s56, s61
	s_mul_hi_u32 s7, s56, s60
	s_addc_u32 s79, s39, 0
	s_add_i32 s6, s7, s6
	s_mul_i32 s7, s57, s60
	v_mov_b32_e32 v11, v12
	v_mad_u64_u32 v[12:13], s[4:5], v18, s30, 0
	v_or_b32_e32 v5, v1, v14
	s_add_i32 s7, s6, s7
	s_mul_i32 s6, s56, s60
	v_mov_b32_e32 v20, v13
	v_lshlrev_b32_e32 v68, 3, v5
	v_or_b32_e32 v5, v1, v16
	s_lshl_b64 s[80:81], s[30:31], 3
	s_lshl_b64 s[82:83], s[60:61], 3
	;; [unrolled: 1-line block ×3, first 2 shown]
	v_mad_u64_u32 v[20:21], s[4:5], v18, s31, v[20:21]
	v_lshlrev_b32_e32 v69, 3, v5
	v_or_b32_e32 v5, v1, v18
	s_add_u32 s6, s48, s6
	v_lshlrev_b32_e32 v70, 3, v5
	v_or_b32_e32 v5, 0x400, v0
	s_movk_i32 s4, 0x700
	v_and_b32_e32 v16, 0xf8, v0
	s_addc_u32 s7, s49, s7
	v_cmp_gt_u32_e64 s[4:5], s4, v5
	v_mov_b32_e32 v5, s7
	v_add_co_u32_e32 v18, vcc, s6, v16
	s_mul_i32 s6, s56, s31
	s_mul_hi_u32 s7, s56, s30
	s_add_i32 s6, s7, s6
	s_mul_i32 s7, s57, s30
	s_add_i32 s7, s6, s7
	s_mul_i32 s6, s56, s30
	v_addc_co_u32_e32 v19, vcc, 0, v5, vcc
	s_lshl_b64 s[6:7], s[6:7], 3
	v_mov_b32_e32 v5, s7
	v_add_co_u32_e32 v23, vcc, s6, v16
	v_lshlrev_b32_e32 v14, 3, v2
	v_addc_co_u32_e32 v5, vcc, 0, v5, vcc
	v_mov_b32_e32 v15, s39
	v_add_co_u32_e32 v17, vcc, s38, v14
	v_addc_co_u32_e32 v15, vcc, 0, v15, vcc
	v_mov_b32_e32 v13, v20
	v_add_co_u32_e32 v20, vcc, 4, v17
	v_addc_co_u32_e32 v21, vcc, 0, v15, vcc
	v_or_b32_e32 v22, 64, v14
	v_mov_b32_e32 v25, s39
	v_add_co_u32_e32 v24, vcc, s38, v22
	v_addc_co_u32_e32 v25, vcc, 0, v25, vcc
	v_or_b32_e32 v26, 0x80, v14
	v_mov_b32_e32 v27, s39
	v_add_co_u32_e32 v28, vcc, s38, v26
	s_mov_b32 s25, 0
	v_addc_co_u32_e32 v29, vcc, 0, v27, vcc
	s_movk_i32 s6, 0xc4
	s_mov_b32 s24, s19
	v_add_co_u32_e32 v30, vcc, s6, v17
	s_mov_b32 s6, s25
	s_mov_b32 s7, s25
	v_pk_mov_b32 v[32:33], s[6:7], s[6:7] op_sel:[0,1]
	s_lshl_b64 s[6:7], s[24:25], 3
	s_movk_i32 s8, 0x100
	s_sub_u32 s6, s20, s6
	v_writelane_b32 v78, s6, 12
	s_subb_u32 s27, s21, s7
	v_cmp_gt_u32_e64 s[6:7], s8, v0
	v_writelane_b32 v78, s6, 13
	v_pk_mov_b32 v[34:35], s[48:49], s[48:49] op_sel:[0,1]
	v_or_b32_e32 v3, v1, v2
	v_writelane_b32 v78, s7, 14
	v_mul_lo_u32 v5, s30, v5
	v_mul_lo_u32 v27, s31, v23
	v_mad_u64_u32 v[34:35], s[6:7], s30, v23, v[34:35]
	s_sub_u32 s19, 1, s19
	v_cmp_gt_u32_e64 s[0:1], 2, v0
	v_lshlrev_b32_e32 v3, 3, v3
	v_lshlrev_b32_e32 v71, 3, v0
	v_addc_co_u32_e32 v31, vcc, 0, v15, vcc
	s_mov_b32 s63, s34
	s_mov_b32 s67, s54
	v_mov_b32_e32 v15, v4
	v_mov_b32_e32 v17, v4
	v_add3_u32 v35, v27, v35, v5
	v_mov_b32_e32 v23, v4
	v_mov_b32_e32 v27, v4
	v_or_b32_e32 v36, 0xc0, v14
	v_mov_b32_e32 v37, v4
	s_subb_u32 s25, 0, 0
	v_mov_b32_e32 v72, 1
	s_mov_b64 s[38:39], 2
	s_mov_b64 s[20:21], 0
	s_branch .LBB144_22
.LBB144_20:                             ;   in Loop: Header=BB144_22 Depth=1
	s_or_b64 exec, exec, s[6:7]
.LBB144_21:                             ;   in Loop: Header=BB144_22 Depth=1
	v_pk_mov_b32 v[38:39], s[28:29], s[28:29] op_sel:[0,1]
	v_cmp_lt_i64_e32 vcc, s[12:13], v[38:39]
	s_and_b64 vcc, vcc, exec
	s_cselect_b32 s20, s12, s28
	s_cselect_b32 s21, s13, s29
	s_add_u32 s38, s20, 2
	s_addc_u32 s39, s21, 0
	s_mov_b64 s[84:85], s[10:11]
	s_barrier
	s_barrier
	s_cbranch_vccz .LBB144_122
.LBB144_22:                             ; =>This Loop Header: Depth=1
                                        ;     Child Loop BB144_32 Depth 2
                                        ;       Child Loop BB144_37 Depth 3
                                        ;         Child Loop BB144_52 Depth 4
                                        ;         Child Loop BB144_48 Depth 4
	;; [unrolled: 1-line block ×8, first 2 shown]
                                        ;     Child Loop BB144_90 Depth 2
	s_and_saveexec_b64 s[6:7], s[0:1]
	s_cbranch_execz .LBB144_24
; %bb.23:                               ;   in Loop: Header=BB144_22 Depth=1
	ds_write_b8 v0, v4 offset:16384
.LBB144_24:                             ;   in Loop: Header=BB144_22 Depth=1
	s_or_b64 exec, exec, s[6:7]
	ds_write2st64_b64 v71, v[32:33], v[32:33] offset1:4
	ds_write2st64_b64 v71, v[32:33], v[32:33] offset0:8 offset1:12
	ds_write_b64 v71, v[32:33] offset:8192
	s_and_saveexec_b64 s[6:7], s[4:5]
	s_xor_b64 s[6:7], exec, s[6:7]
	s_cbranch_execz .LBB144_30
; %bb.25:                               ;   in Loop: Header=BB144_22 Depth=1
	v_mov_b32_e32 v5, v4
	ds_write_b64 v71, v[4:5] offset:10240
	s_mov_b64 s[8:9], exec
	v_readlane_b32 s10, v78, 10
	v_readlane_b32 s11, v78, 11
	s_and_b64 s[10:11], s[8:9], s[10:11]
	s_xor_b64 s[8:9], s[10:11], s[8:9]
	s_mov_b64 exec, s[10:11]
	s_cbranch_execz .LBB144_29
; %bb.26:                               ;   in Loop: Header=BB144_22 Depth=1
	ds_write_b64 v71, v[4:5] offset:12288
	s_mov_b64 s[10:11], exec
	v_readlane_b32 s12, v78, 13
	v_readlane_b32 s13, v78, 14
	s_and_b64 s[12:13], s[10:11], s[12:13]
	s_xor_b64 s[10:11], s[12:13], s[10:11]
	s_mov_b64 exec, s[12:13]
	s_cbranch_execz .LBB144_28
; %bb.27:                               ;   in Loop: Header=BB144_22 Depth=1
	v_mov_b32_e32 v5, v4
	ds_write_b64 v71, v[4:5] offset:14336
.LBB144_28:                             ;   in Loop: Header=BB144_22 Depth=1
	s_or_b64 exec, exec, s[10:11]
.LBB144_29:                             ;   in Loop: Header=BB144_22 Depth=1
	s_or_b64 exec, exec, s[8:9]
.LBB144_30:                             ;   in Loop: Header=BB144_22 Depth=1
	s_or_b64 exec, exec, s[6:7]
	s_andn2_b64 vcc, exec, s[68:69]
	s_mov_b64 s[12:13], s[28:29]
	s_waitcnt lgkmcnt(0)
	s_barrier
	s_cbranch_vccnz .LBB144_85
; %bb.31:                               ;   in Loop: Header=BB144_22 Depth=1
	s_cmp_lg_u64 s[20:21], 0
	s_cselect_b64 s[40:41], -1, 0
	v_pk_mov_b32 v[38:39], v[34:35], v[34:35] op_sel:[0,1]
	v_pk_mov_b32 v[40:41], v[18:19], v[18:19] op_sel:[0,1]
	s_mov_b64 s[86:87], s[28:29]
	s_mov_b64 s[42:43], s[56:57]
.LBB144_32:                             ;   Parent Loop BB144_22 Depth=1
                                        ; =>  This Loop Header: Depth=2
                                        ;       Child Loop BB144_37 Depth 3
                                        ;         Child Loop BB144_52 Depth 4
                                        ;         Child Loop BB144_48 Depth 4
	;; [unrolled: 1-line block ×8, first 2 shown]
	s_lshl_b64 s[48:49], s[42:43], 3
	s_add_u32 s6, s46, s48
	s_addc_u32 s7, s47, s49
	s_load_dwordx2 s[6:7], s[6:7], 0x0
	s_waitcnt lgkmcnt(0)
	s_sub_u32 s6, s6, s16
	s_subb_u32 s7, s7, 0
	s_and_b64 vcc, exec, s[40:41]
	s_cbranch_vccz .LBB144_84
; %bb.33:                               ;   in Loop: Header=BB144_32 Depth=2
	s_add_u32 s8, s14, s48
	s_addc_u32 s9, s15, s49
	global_load_dwordx2 v[42:43], v4, s[8:9]
	s_waitcnt vmcnt(0)
	v_readfirstlane_b32 s90, v42
	v_readfirstlane_b32 s91, v43
	s_cbranch_execnz .LBB144_35
.LBB144_34:                             ;   in Loop: Header=BB144_32 Depth=2
	s_lshl_b64 s[8:9], s[6:7], 3
	s_add_u32 s8, s50, s8
	s_addc_u32 s9, s51, s9
	s_load_dwordx2 s[8:9], s[8:9], 0x0
	s_waitcnt lgkmcnt(0)
	s_sub_u32 s90, s8, s17
	s_subb_u32 s91, s9, 0
.LBB144_35:                             ;   in Loop: Header=BB144_32 Depth=2
	s_lshl_b64 s[6:7], s[6:7], 3
	s_add_u32 s6, s33, s6
	s_addc_u32 s7, s22, s7
	s_load_dwordx2 s[6:7], s[6:7], 0x0
	s_waitcnt lgkmcnt(0)
	s_sub_u32 s88, s6, s17
	s_subb_u32 s89, s7, 0
	v_pk_mov_b32 v[42:43], s[88:89], s[88:89] op_sel:[0,1]
	v_cmp_ge_i64_e32 vcc, s[90:91], v[42:43]
	s_cbranch_vccnz .LBB144_81
; %bb.36:                               ;   in Loop: Header=BB144_32 Depth=2
	v_mov_b32_e32 v5, s90
	v_mad_u64_u32 v[42:43], s[6:7], s80, v5, v[14:15]
	s_mul_i32 s6, s81, s90
	s_mul_i32 s7, s80, s91
	s_add_i32 s8, s7, s6
	v_add_u32_e32 v43, s8, v43
	v_pk_mov_b32 v[54:55], s[78:79], s[78:79] op_sel:[0,1]
	v_mul_lo_u32 v44, s30, v43
	v_mul_lo_u32 v45, s31, v42
	v_mad_u64_u32 v[42:43], s[6:7], s30, v42, v[54:55]
	v_add3_u32 v43, v45, v43, v44
	v_mad_u64_u32 v[44:45], s[6:7], s82, v5, v[20:21]
	s_mul_i32 s6, s83, s90
	s_mul_i32 s7, s82, s91
	s_add_i32 s9, s7, s6
	v_mad_u64_u32 v[46:47], s[6:7], s80, v5, v[22:23]
	v_mad_u64_u32 v[50:51], s[6:7], s80, v5, v[26:27]
	;; [unrolled: 1-line block ×3, first 2 shown]
	v_add_u32_e32 v47, s8, v47
	v_add_u32_e32 v51, s8, v51
	;; [unrolled: 1-line block ×3, first 2 shown]
	v_mul_lo_u32 v48, s30, v47
	v_mul_lo_u32 v49, s31, v46
	v_mad_u64_u32 v[46:47], s[6:7], s30, v46, v[54:55]
	v_mul_lo_u32 v52, s30, v51
	v_mul_lo_u32 v53, s31, v50
	v_mad_u64_u32 v[50:51], s[6:7], s30, v50, v[54:55]
	;; [unrolled: 3-line block ×3, first 2 shown]
	v_add3_u32 v47, v49, v47, v48
	v_mad_u64_u32 v[48:49], s[6:7], s82, v5, v[24:25]
	v_add3_u32 v51, v53, v51, v52
	v_mad_u64_u32 v[52:53], s[6:7], s82, v5, v[28:29]
	;; [unrolled: 2-line block ×3, first 2 shown]
	v_add_u32_e32 v45, s9, v45
	v_add_u32_e32 v49, s9, v49
	;; [unrolled: 1-line block ×4, first 2 shown]
	s_mov_b64 s[92:93], s[90:91]
.LBB144_37:                             ;   Parent Loop BB144_22 Depth=1
                                        ;     Parent Loop BB144_32 Depth=2
                                        ; =>    This Loop Header: Depth=3
                                        ;         Child Loop BB144_52 Depth 4
                                        ;         Child Loop BB144_48 Depth 4
	;; [unrolled: 1-line block ×8, first 2 shown]
	s_lshl_b64 s[6:7], s[92:93], 3
	s_add_u32 s6, s36, s6
	s_addc_u32 s7, s37, s7
	s_load_dwordx2 s[6:7], s[6:7], 0x0
	v_pk_mov_b32 v[58:59], s[20:21], s[20:21] op_sel:[0,1]
	v_pk_mov_b32 v[60:61], s[38:39], s[38:39] op_sel:[0,1]
	s_mov_b64 s[64:65], -1
                                        ; implicit-def: $sgpr94_sgpr95
	s_waitcnt lgkmcnt(0)
	s_sub_u32 s8, s6, s17
	s_subb_u32 s9, s7, 0
	v_cmp_ge_i64_e32 vcc, s[8:9], v[58:59]
	v_cmp_lt_i64_e64 s[12:13], s[8:9], v[60:61]
	s_and_b64 s[6:7], vcc, s[12:13]
	v_cmp_ge_i64_e64 s[10:11], s[8:9], v[60:61]
	s_andn2_b64 vcc, exec, s[6:7]
                                        ; implicit-def: $sgpr12_sgpr13
                                        ; implicit-def: $sgpr6_sgpr7
	s_cbranch_vccz .LBB144_41
; %bb.38:                               ;   in Loop: Header=BB144_37 Depth=3
	s_mov_b64 s[6:7], -1
	s_andn2_b64 vcc, exec, s[10:11]
	s_mov_b64 s[12:13], s[86:87]
	s_mov_b64 s[94:95], s[90:91]
	s_cbranch_vccnz .LBB144_40
; %bb.39:                               ;   in Loop: Header=BB144_37 Depth=3
	v_pk_mov_b32 v[58:59], s[86:87], s[86:87] op_sel:[0,1]
	v_cmp_lt_i64_e32 vcc, s[8:9], v[58:59]
	s_and_b64 s[6:7], vcc, exec
	s_cselect_b32 s13, s9, s87
	s_cselect_b32 s12, s8, s86
	s_mov_b64 s[6:7], 0
	s_mov_b64 s[94:95], s[92:93]
.LBB144_40:                             ;   in Loop: Header=BB144_37 Depth=3
	s_mov_b64 s[64:65], 0
.LBB144_41:                             ;   in Loop: Header=BB144_37 Depth=3
	s_andn2_b64 vcc, exec, s[64:65]
	s_cbranch_vccnz .LBB144_79
; %bb.42:                               ;   in Loop: Header=BB144_37 Depth=3
	s_sub_i32 s6, s8, s20
	v_mov_b32_e32 v5, s6
	v_cndmask_b32_e64 v58, 0, 1, s[44:45]
	ds_write_b8 v5, v72 offset:16384
	v_lshl_add_u32 v5, s6, 10, v1
	v_cmp_ne_u32_e64 s[10:11], 1, v58
	s_and_saveexec_b64 s[12:13], s[70:71]
	s_cbranch_execnz .LBB144_46
; %bb.43:                               ;   in Loop: Header=BB144_37 Depth=3
	s_or_b64 exec, exec, s[12:13]
	s_and_saveexec_b64 s[12:13], s[72:73]
	s_cbranch_execnz .LBB144_54
.LBB144_44:                             ;   in Loop: Header=BB144_37 Depth=3
	s_or_b64 exec, exec, s[12:13]
	s_and_saveexec_b64 s[12:13], s[74:75]
	s_cbranch_execnz .LBB144_62
.LBB144_45:                             ;   in Loop: Header=BB144_37 Depth=3
	s_or_b64 exec, exec, s[12:13]
	s_and_saveexec_b64 s[12:13], s[76:77]
	s_cbranch_execnz .LBB144_70
	s_branch .LBB144_78
.LBB144_46:                             ;   in Loop: Header=BB144_37 Depth=3
	s_and_b64 vcc, exec, s[10:11]
	s_cbranch_vccnz .LBB144_50
; %bb.47:                               ;   in Loop: Header=BB144_37 Depth=3
	v_mov_b32_e32 v58, 0
	v_pk_mov_b32 v[60:61], v[40:41], v[40:41] op_sel:[0,1]
	s_mov_b64 s[6:7], s[30:31]
	v_pk_mov_b32 v[62:63], v[42:43], v[42:43] op_sel:[0,1]
	v_mov_b32_e32 v59, v58
.LBB144_48:                             ;   Parent Loop BB144_22 Depth=1
                                        ;     Parent Loop BB144_32 Depth=2
                                        ;       Parent Loop BB144_37 Depth=3
                                        ; =>      This Inner Loop Header: Depth=4
	global_load_dwordx2 v[74:75], v[62:63], off offset:-4
	global_load_dwordx2 v[76:77], v[60:61], off
	v_add_co_u32_e32 v62, vcc, 8, v62
	v_addc_co_u32_e32 v63, vcc, 0, v63, vcc
	s_add_u32 s6, s6, -1
	v_mov_b32_e32 v73, s81
	v_add_co_u32_e32 v60, vcc, s80, v60
	s_addc_u32 s7, s7, -1
	v_addc_co_u32_e32 v61, vcc, v61, v73, vcc
	s_cmp_lg_u64 s[6:7], 0
	s_waitcnt vmcnt(0)
	v_pk_fma_f32 v[58:59], v[76:77], v[74:75], v[58:59] op_sel_hi:[1,0,1]
	v_pk_fma_f32 v[58:59], v[76:77], v[74:75], v[58:59] op_sel:[1,1,0] op_sel_hi:[0,1,1] neg_lo:[1,0,0]
	s_cbranch_scc1 .LBB144_48
; %bb.49:                               ;   in Loop: Header=BB144_37 Depth=3
	s_branch .LBB144_53
.LBB144_50:                             ;   in Loop: Header=BB144_37 Depth=3
                                        ; implicit-def: $vgpr58_vgpr59
	s_cbranch_execz .LBB144_53
; %bb.51:                               ;   in Loop: Header=BB144_37 Depth=3
	v_mov_b32_e32 v58, 0
	v_pk_mov_b32 v[60:61], v[44:45], v[44:45] op_sel:[0,1]
	s_mov_b64 s[6:7], s[30:31]
	v_pk_mov_b32 v[62:63], v[38:39], v[38:39] op_sel:[0,1]
	v_mov_b32_e32 v59, v58
.LBB144_52:                             ;   Parent Loop BB144_22 Depth=1
                                        ;     Parent Loop BB144_32 Depth=2
                                        ;       Parent Loop BB144_37 Depth=3
                                        ; =>      This Inner Loop Header: Depth=4
	global_load_dwordx2 v[74:75], v[60:61], off offset:-4
	global_load_dwordx2 v[76:77], v[62:63], off
	v_add_co_u32_e32 v62, vcc, 8, v62
	v_addc_co_u32_e32 v63, vcc, 0, v63, vcc
	s_add_u32 s6, s6, -1
	v_mov_b32_e32 v73, s81
	v_add_co_u32_e32 v60, vcc, s80, v60
	s_addc_u32 s7, s7, -1
	v_addc_co_u32_e32 v61, vcc, v61, v73, vcc
	s_cmp_eq_u64 s[6:7], 0
	s_waitcnt vmcnt(0)
	v_pk_fma_f32 v[58:59], v[76:77], v[74:75], v[58:59] op_sel_hi:[1,0,1]
	v_pk_fma_f32 v[58:59], v[76:77], v[74:75], v[58:59] op_sel:[1,1,0] op_sel_hi:[0,1,1] neg_lo:[1,0,0]
	s_cbranch_scc0 .LBB144_52
.LBB144_53:                             ;   in Loop: Header=BB144_37 Depth=3
	v_or_b32_e32 v60, v5, v2
	v_lshlrev_b32_e32 v62, 3, v60
	ds_read_b64 v[60:61], v62
	s_waitcnt lgkmcnt(0)
	v_pk_fma_f32 v[60:61], s[34:35], v[58:59], v[60:61] op_sel_hi:[1,0,1]
	v_pk_fma_f32 v[58:59], s[62:63], v[58:59], v[60:61] op_sel:[0,1,0]
	ds_write_b64 v62, v[58:59]
	s_or_b64 exec, exec, s[12:13]
	s_and_saveexec_b64 s[12:13], s[72:73]
	s_cbranch_execz .LBB144_44
.LBB144_54:                             ;   in Loop: Header=BB144_37 Depth=3
	s_and_b64 vcc, exec, s[10:11]
	s_cbranch_vccnz .LBB144_58
; %bb.55:                               ;   in Loop: Header=BB144_37 Depth=3
	v_mov_b32_e32 v58, 0
	v_pk_mov_b32 v[60:61], v[40:41], v[40:41] op_sel:[0,1]
	v_pk_mov_b32 v[62:63], v[46:47], v[46:47] op_sel:[0,1]
	s_mov_b64 s[6:7], s[30:31]
	v_mov_b32_e32 v59, v58
.LBB144_56:                             ;   Parent Loop BB144_22 Depth=1
                                        ;     Parent Loop BB144_32 Depth=2
                                        ;       Parent Loop BB144_37 Depth=3
                                        ; =>      This Inner Loop Header: Depth=4
	global_load_dwordx2 v[74:75], v[62:63], off offset:-4
	global_load_dwordx2 v[76:77], v[60:61], off
	v_add_co_u32_e32 v62, vcc, 8, v62
	s_add_u32 s6, s6, -1
	v_addc_co_u32_e32 v63, vcc, 0, v63, vcc
	v_mov_b32_e32 v73, s81
	v_add_co_u32_e32 v60, vcc, s80, v60
	s_addc_u32 s7, s7, -1
	v_addc_co_u32_e32 v61, vcc, v61, v73, vcc
	s_cmp_eq_u64 s[6:7], 0
	s_waitcnt vmcnt(0)
	v_pk_fma_f32 v[58:59], v[76:77], v[74:75], v[58:59] op_sel_hi:[1,0,1]
	v_pk_fma_f32 v[58:59], v[76:77], v[74:75], v[58:59] op_sel:[1,1,0] op_sel_hi:[0,1,1] neg_lo:[1,0,0]
	s_cbranch_scc0 .LBB144_56
; %bb.57:                               ;   in Loop: Header=BB144_37 Depth=3
	s_branch .LBB144_61
.LBB144_58:                             ;   in Loop: Header=BB144_37 Depth=3
                                        ; implicit-def: $vgpr58_vgpr59
	s_cbranch_execz .LBB144_61
; %bb.59:                               ;   in Loop: Header=BB144_37 Depth=3
	v_mov_b32_e32 v58, 0
	v_pk_mov_b32 v[60:61], v[38:39], v[38:39] op_sel:[0,1]
	v_pk_mov_b32 v[62:63], v[48:49], v[48:49] op_sel:[0,1]
	s_mov_b64 s[6:7], s[30:31]
	v_mov_b32_e32 v59, v58
.LBB144_60:                             ;   Parent Loop BB144_22 Depth=1
                                        ;     Parent Loop BB144_32 Depth=2
                                        ;       Parent Loop BB144_37 Depth=3
                                        ; =>      This Inner Loop Header: Depth=4
	global_load_dwordx2 v[74:75], v[62:63], off
	global_load_dwordx2 v[76:77], v[60:61], off
	v_add_co_u32_e32 v60, vcc, 8, v60
	s_add_u32 s6, s6, -1
	v_addc_co_u32_e32 v61, vcc, 0, v61, vcc
	v_mov_b32_e32 v73, s81
	v_add_co_u32_e32 v62, vcc, s80, v62
	s_addc_u32 s7, s7, -1
	v_addc_co_u32_e32 v63, vcc, v63, v73, vcc
	s_cmp_eq_u64 s[6:7], 0
	s_waitcnt vmcnt(0)
	v_pk_fma_f32 v[58:59], v[76:77], v[74:75], v[58:59] op_sel_hi:[1,0,1]
	v_pk_fma_f32 v[58:59], v[76:77], v[74:75], v[58:59] op_sel:[1,1,0] op_sel_hi:[0,1,1] neg_lo:[1,0,0]
	s_cbranch_scc0 .LBB144_60
.LBB144_61:                             ;   in Loop: Header=BB144_37 Depth=3
	v_add_lshl_u32 v62, v5, v2, 3
	ds_read_b64 v[60:61], v62 offset:64
	s_waitcnt lgkmcnt(0)
	v_pk_fma_f32 v[60:61], s[34:35], v[58:59], v[60:61] op_sel_hi:[1,0,1]
	v_pk_fma_f32 v[58:59], s[62:63], v[58:59], v[60:61] op_sel:[0,1,0]
	ds_write_b64 v62, v[58:59] offset:64
	s_or_b64 exec, exec, s[12:13]
	s_and_saveexec_b64 s[12:13], s[74:75]
	s_cbranch_execz .LBB144_45
.LBB144_62:                             ;   in Loop: Header=BB144_37 Depth=3
	s_and_b64 vcc, exec, s[10:11]
	s_cbranch_vccnz .LBB144_66
; %bb.63:                               ;   in Loop: Header=BB144_37 Depth=3
	v_mov_b32_e32 v58, 0
	v_pk_mov_b32 v[60:61], v[40:41], v[40:41] op_sel:[0,1]
	v_pk_mov_b32 v[62:63], v[50:51], v[50:51] op_sel:[0,1]
	s_mov_b64 s[6:7], s[30:31]
	v_mov_b32_e32 v59, v58
.LBB144_64:                             ;   Parent Loop BB144_22 Depth=1
                                        ;     Parent Loop BB144_32 Depth=2
                                        ;       Parent Loop BB144_37 Depth=3
                                        ; =>      This Inner Loop Header: Depth=4
	global_load_dwordx2 v[74:75], v[62:63], off offset:-4
	global_load_dwordx2 v[76:77], v[60:61], off
	v_add_co_u32_e32 v62, vcc, 8, v62
	s_add_u32 s6, s6, -1
	v_addc_co_u32_e32 v63, vcc, 0, v63, vcc
	v_mov_b32_e32 v73, s81
	v_add_co_u32_e32 v60, vcc, s80, v60
	s_addc_u32 s7, s7, -1
	v_addc_co_u32_e32 v61, vcc, v61, v73, vcc
	s_cmp_eq_u64 s[6:7], 0
	s_waitcnt vmcnt(0)
	v_pk_fma_f32 v[58:59], v[76:77], v[74:75], v[58:59] op_sel_hi:[1,0,1]
	v_pk_fma_f32 v[58:59], v[76:77], v[74:75], v[58:59] op_sel:[1,1,0] op_sel_hi:[0,1,1] neg_lo:[1,0,0]
	s_cbranch_scc0 .LBB144_64
; %bb.65:                               ;   in Loop: Header=BB144_37 Depth=3
	s_branch .LBB144_69
.LBB144_66:                             ;   in Loop: Header=BB144_37 Depth=3
                                        ; implicit-def: $vgpr58_vgpr59
	s_cbranch_execz .LBB144_69
; %bb.67:                               ;   in Loop: Header=BB144_37 Depth=3
	v_mov_b32_e32 v58, 0
	v_pk_mov_b32 v[60:61], v[38:39], v[38:39] op_sel:[0,1]
	v_pk_mov_b32 v[62:63], v[52:53], v[52:53] op_sel:[0,1]
	s_mov_b64 s[6:7], s[30:31]
	v_mov_b32_e32 v59, v58
.LBB144_68:                             ;   Parent Loop BB144_22 Depth=1
                                        ;     Parent Loop BB144_32 Depth=2
                                        ;       Parent Loop BB144_37 Depth=3
                                        ; =>      This Inner Loop Header: Depth=4
	global_load_dwordx2 v[74:75], v[62:63], off
	global_load_dwordx2 v[76:77], v[60:61], off
	v_add_co_u32_e32 v60, vcc, 8, v60
	s_add_u32 s6, s6, -1
	v_addc_co_u32_e32 v61, vcc, 0, v61, vcc
	v_mov_b32_e32 v73, s81
	v_add_co_u32_e32 v62, vcc, s80, v62
	s_addc_u32 s7, s7, -1
	v_addc_co_u32_e32 v63, vcc, v63, v73, vcc
	s_cmp_eq_u64 s[6:7], 0
	s_waitcnt vmcnt(0)
	v_pk_fma_f32 v[58:59], v[76:77], v[74:75], v[58:59] op_sel_hi:[1,0,1]
	v_pk_fma_f32 v[58:59], v[76:77], v[74:75], v[58:59] op_sel:[1,1,0] op_sel_hi:[0,1,1] neg_lo:[1,0,0]
	s_cbranch_scc0 .LBB144_68
.LBB144_69:                             ;   in Loop: Header=BB144_37 Depth=3
	v_add_lshl_u32 v62, v5, v2, 3
	ds_read_b64 v[60:61], v62 offset:128
	s_waitcnt lgkmcnt(0)
	v_pk_fma_f32 v[60:61], s[34:35], v[58:59], v[60:61] op_sel_hi:[1,0,1]
	v_pk_fma_f32 v[58:59], s[62:63], v[58:59], v[60:61] op_sel:[0,1,0]
	ds_write_b64 v62, v[58:59] offset:128
	s_or_b64 exec, exec, s[12:13]
	s_and_saveexec_b64 s[12:13], s[76:77]
	s_cbranch_execz .LBB144_78
.LBB144_70:                             ;   in Loop: Header=BB144_37 Depth=3
	s_and_b64 vcc, exec, s[10:11]
	s_cbranch_vccnz .LBB144_74
; %bb.71:                               ;   in Loop: Header=BB144_37 Depth=3
	v_mov_b32_e32 v58, 0
	v_pk_mov_b32 v[60:61], v[40:41], v[40:41] op_sel:[0,1]
	v_pk_mov_b32 v[62:63], v[54:55], v[54:55] op_sel:[0,1]
	s_mov_b64 s[6:7], s[30:31]
	v_mov_b32_e32 v59, v58
.LBB144_72:                             ;   Parent Loop BB144_22 Depth=1
                                        ;     Parent Loop BB144_32 Depth=2
                                        ;       Parent Loop BB144_37 Depth=3
                                        ; =>      This Inner Loop Header: Depth=4
	global_load_dwordx2 v[74:75], v[62:63], off offset:-4
	global_load_dwordx2 v[76:77], v[60:61], off
	v_add_co_u32_e32 v62, vcc, 8, v62
	s_add_u32 s6, s6, -1
	v_addc_co_u32_e32 v63, vcc, 0, v63, vcc
	v_mov_b32_e32 v73, s81
	v_add_co_u32_e32 v60, vcc, s80, v60
	s_addc_u32 s7, s7, -1
	v_addc_co_u32_e32 v61, vcc, v61, v73, vcc
	s_cmp_eq_u64 s[6:7], 0
	s_waitcnt vmcnt(0)
	v_pk_fma_f32 v[58:59], v[76:77], v[74:75], v[58:59] op_sel_hi:[1,0,1]
	v_pk_fma_f32 v[58:59], v[76:77], v[74:75], v[58:59] op_sel:[1,1,0] op_sel_hi:[0,1,1] neg_lo:[1,0,0]
	s_cbranch_scc0 .LBB144_72
; %bb.73:                               ;   in Loop: Header=BB144_37 Depth=3
	s_branch .LBB144_77
.LBB144_74:                             ;   in Loop: Header=BB144_37 Depth=3
                                        ; implicit-def: $vgpr58_vgpr59
	s_cbranch_execz .LBB144_77
; %bb.75:                               ;   in Loop: Header=BB144_37 Depth=3
	v_mov_b32_e32 v58, 0
	v_pk_mov_b32 v[60:61], v[38:39], v[38:39] op_sel:[0,1]
	v_pk_mov_b32 v[62:63], v[56:57], v[56:57] op_sel:[0,1]
	s_mov_b64 s[6:7], s[30:31]
	v_mov_b32_e32 v59, v58
.LBB144_76:                             ;   Parent Loop BB144_22 Depth=1
                                        ;     Parent Loop BB144_32 Depth=2
                                        ;       Parent Loop BB144_37 Depth=3
                                        ; =>      This Inner Loop Header: Depth=4
	global_load_dwordx2 v[74:75], v[62:63], off offset:-4
	global_load_dwordx2 v[76:77], v[60:61], off
	v_add_co_u32_e32 v60, vcc, 8, v60
	s_add_u32 s6, s6, -1
	v_addc_co_u32_e32 v61, vcc, 0, v61, vcc
	v_mov_b32_e32 v73, s81
	v_add_co_u32_e32 v62, vcc, s80, v62
	s_addc_u32 s7, s7, -1
	v_addc_co_u32_e32 v63, vcc, v63, v73, vcc
	s_cmp_eq_u64 s[6:7], 0
	s_waitcnt vmcnt(0)
	v_pk_fma_f32 v[58:59], v[76:77], v[74:75], v[58:59] op_sel_hi:[1,0,1]
	v_pk_fma_f32 v[58:59], v[76:77], v[74:75], v[58:59] op_sel:[1,1,0] op_sel_hi:[0,1,1] neg_lo:[1,0,0]
	s_cbranch_scc0 .LBB144_76
.LBB144_77:                             ;   in Loop: Header=BB144_37 Depth=3
	v_add_lshl_u32 v5, v5, v2, 3
	ds_read_b64 v[60:61], v5 offset:192
	s_waitcnt lgkmcnt(0)
	v_pk_fma_f32 v[60:61], s[34:35], v[58:59], v[60:61] op_sel_hi:[1,0,1]
	v_pk_fma_f32 v[58:59], s[62:63], v[58:59], v[60:61] op_sel:[0,1,0]
	ds_write_b64 v5, v[58:59] offset:192
.LBB144_78:                             ;   in Loop: Header=BB144_37 Depth=3
	s_or_b64 exec, exec, s[12:13]
	s_mov_b64 s[6:7], -1
	s_mov_b64 s[12:13], s[86:87]
	s_mov_b64 s[94:95], s[90:91]
	s_waitcnt lgkmcnt(0)
	s_barrier
.LBB144_79:                             ;   in Loop: Header=BB144_37 Depth=3
	s_add_u32 s92, s92, 1
	s_addc_u32 s93, s93, 0
	v_pk_mov_b32 v[58:59], s[88:89], s[88:89] op_sel:[0,1]
	v_cmp_lt_i64_e32 vcc, s[92:93], v[58:59]
	s_and_b64 s[6:7], s[6:7], vcc
	v_mov_b32_e32 v5, s83
	v_add_co_u32_e32 v42, vcc, s82, v42
	v_addc_co_u32_e32 v43, vcc, v43, v5, vcc
	v_add_co_u32_e32 v44, vcc, s82, v44
	v_addc_co_u32_e32 v45, vcc, v45, v5, vcc
	;; [unrolled: 2-line block ×8, first 2 shown]
	s_and_b64 vcc, exec, s[6:7]
	s_cbranch_vccz .LBB144_82
; %bb.80:                               ;   in Loop: Header=BB144_37 Depth=3
	s_mov_b64 s[86:87], s[12:13]
	s_mov_b64 s[90:91], s[94:95]
	s_branch .LBB144_37
.LBB144_81:                             ;   in Loop: Header=BB144_32 Depth=2
	s_mov_b64 s[12:13], s[86:87]
	s_mov_b64 s[94:95], s[90:91]
.LBB144_82:                             ;   in Loop: Header=BB144_32 Depth=2
	s_add_u32 s6, s14, s48
	v_mov_b32_e32 v5, s83
	v_add_co_u32_e32 v40, vcc, s82, v40
	s_addc_u32 s7, s15, s49
	v_addc_co_u32_e32 v41, vcc, v41, v5, vcc
	v_pk_mov_b32 v[42:43], s[94:95], s[94:95] op_sel:[0,1]
	s_add_u32 s42, s42, 1
	v_add_co_u32_e32 v38, vcc, s82, v38
	global_store_dwordx2 v4, v[42:43], s[6:7]
	s_addc_u32 s43, s43, 0
	v_addc_co_u32_e32 v39, vcc, v39, v5, vcc
	v_pk_mov_b32 v[42:43], s[58:59], s[58:59] op_sel:[0,1]
	v_cmp_lt_i64_e32 vcc, s[42:43], v[42:43]
	s_cbranch_vccz .LBB144_85
; %bb.83:                               ;   in Loop: Header=BB144_32 Depth=2
	s_mov_b64 s[86:87], s[12:13]
	s_branch .LBB144_32
.LBB144_84:                             ;   in Loop: Header=BB144_32 Depth=2
                                        ; implicit-def: $sgpr90_sgpr91
	s_branch .LBB144_34
.LBB144_85:                             ;   in Loop: Header=BB144_22 Depth=1
	s_andn2_b64 vcc, exec, s[52:53]
	s_cbranch_vccnz .LBB144_101
; %bb.86:                               ;   in Loop: Header=BB144_22 Depth=1
	v_readlane_b32 s6, v78, 8
	v_readlane_b32 s7, v78, 9
	s_load_dwordx4 s[40:43], s[6:7], 0x0
	s_waitcnt lgkmcnt(0)
	v_pk_mov_b32 v[38:39], s[42:43], s[42:43] op_sel:[0,1]
	v_cmp_ge_i64_e32 vcc, s[40:41], v[38:39]
	s_cbranch_vccnz .LBB144_101
; %bb.87:                               ;   in Loop: Header=BB144_22 Depth=1
	s_sub_u32 s10, s42, s24
	s_subb_u32 s11, s43, 0
	s_sub_u32 s8, s40, s24
	s_subb_u32 s9, s41, 0
	s_lshl_b64 s[6:7], s[40:41], 3
	v_readlane_b32 s42, v78, 12
	s_add_u32 s42, s42, s6
	v_mov_b32_e32 v5, s8
	s_addc_u32 s43, s27, s7
	v_mad_u64_u32 v[38:39], s[6:7], s80, v5, v[16:17]
	s_mul_i32 s6, s81, s8
	s_mul_i32 s7, s80, s9
	s_add_i32 s8, s7, s6
	v_add_u32_e32 v39, s8, v39
	v_mul_lo_u32 v40, s30, v39
	v_mul_lo_u32 v41, s31, v38
	v_mad_u64_u32 v[38:39], s[6:7], s30, v38, v[14:15]
	v_add3_u32 v39, v41, v39, v40
	v_mad_u64_u32 v[40:41], s[6:7], s80, v5, v[14:15]
	v_add_u32_e32 v41, s8, v41
	v_mul_lo_u32 v42, s30, v41
	v_mul_lo_u32 v43, s31, v40
	v_mad_u64_u32 v[40:41], s[6:7], s30, v40, v[16:17]
	v_add3_u32 v41, v43, v41, v42
	v_mad_u64_u32 v[42:43], s[6:7], s80, v5, v[22:23]
	;; [unrolled: 6-line block ×4, first 2 shown]
	v_add_u32_e32 v5, s8, v47
	v_readlane_b32 s88, v78, 0
	v_mul_lo_u32 v5, s30, v5
	v_mul_lo_u32 v48, s31, v46
	v_mad_u64_u32 v[46:47], s[6:7], s30, v46, v[16:17]
	s_add_u32 s40, s19, s40
	v_readlane_b32 s90, v78, 2
	v_readlane_b32 s91, v78, 3
	v_add3_u32 v47, v48, v47, v5
	s_addc_u32 s41, s25, s41
	s_mov_b64 s[48:49], s[90:91]
	v_readlane_b32 s89, v78, 1
	v_readlane_b32 s92, v78, 4
	;; [unrolled: 1-line block ×5, first 2 shown]
	s_branch .LBB144_90
.LBB144_88:                             ;   in Loop: Header=BB144_90 Depth=2
	s_or_b64 exec, exec, s[6:7]
	s_mov_b64 s[8:9], -1
	s_mov_b64 s[6:7], s[12:13]
	s_waitcnt lgkmcnt(0)
	s_barrier
.LBB144_89:                             ;   in Loop: Header=BB144_90 Depth=2
	v_pk_mov_b32 v[48:49], s[10:11], s[10:11] op_sel:[0,1]
	v_cmp_lt_i64_e32 vcc, s[40:41], v[48:49]
	s_and_b64 s[8:9], s[8:9], vcc
	s_add_u32 s42, s42, 8
	s_addc_u32 s43, s43, 0
	s_add_u32 s48, s48, s82
	s_addc_u32 s49, s49, s83
	;; [unrolled: 2-line block ×3, first 2 shown]
	s_mov_b64 s[12:13], s[6:7]
	s_and_b64 vcc, exec, s[8:9]
	s_cbranch_vccz .LBB144_101
.LBB144_90:                             ;   Parent Loop BB144_22 Depth=1
                                        ; =>  This Inner Loop Header: Depth=2
	s_load_dwordx2 s[6:7], s[42:43], 0x0
	v_pk_mov_b32 v[48:49], s[20:21], s[20:21] op_sel:[0,1]
	v_pk_mov_b32 v[50:51], s[38:39], s[38:39] op_sel:[0,1]
	s_mov_b64 s[64:65], -1
	s_waitcnt lgkmcnt(0)
	s_sub_u32 s86, s6, s24
	s_subb_u32 s87, s7, 0
	v_cmp_ge_i64_e32 vcc, s[86:87], v[48:49]
	v_cmp_lt_i64_e64 s[8:9], s[86:87], v[50:51]
	s_and_b64 s[6:7], vcc, s[8:9]
	s_andn2_b64 vcc, exec, s[6:7]
                                        ; implicit-def: $sgpr6_sgpr7
	s_cbranch_vccz .LBB144_92
; %bb.91:                               ;   in Loop: Header=BB144_90 Depth=2
	v_pk_mov_b32 v[48:49], s[12:13], s[12:13] op_sel:[0,1]
	v_cmp_lt_i64_e32 vcc, s[86:87], v[48:49]
	s_and_b64 s[6:7], vcc, exec
	s_cselect_b32 s64, s86, s12
	s_cselect_b32 s65, s87, s13
	s_and_b64 s[6:7], s[8:9], exec
	s_cselect_b32 s7, s13, s65
	s_cselect_b32 s6, s12, s64
	s_mov_b64 s[64:65], 0
.LBB144_92:                             ;   in Loop: Header=BB144_90 Depth=2
	s_andn2_b64 vcc, exec, s[64:65]
	s_cbranch_vccnz .LBB144_89
; %bb.93:                               ;   in Loop: Header=BB144_90 Depth=2
	s_sub_i32 s6, s86, s20
	v_mov_b32_e32 v5, s6
	ds_write_b8 v5, v72 offset:16384
	v_lshl_add_u32 v5, s6, 10, v1
	s_and_saveexec_b64 s[6:7], s[70:71]
	s_cbranch_execnz .LBB144_97
; %bb.94:                               ;   in Loop: Header=BB144_90 Depth=2
	s_or_b64 exec, exec, s[6:7]
	v_add_lshl_u32 v5, v5, v2, 3
	s_and_saveexec_b64 s[6:7], s[72:73]
	s_cbranch_execnz .LBB144_98
.LBB144_95:                             ;   in Loop: Header=BB144_90 Depth=2
	s_or_b64 exec, exec, s[6:7]
	s_and_saveexec_b64 s[6:7], s[74:75]
	s_cbranch_execnz .LBB144_99
.LBB144_96:                             ;   in Loop: Header=BB144_90 Depth=2
	s_or_b64 exec, exec, s[6:7]
	s_and_saveexec_b64 s[6:7], s[76:77]
	s_cbranch_execz .LBB144_88
	s_branch .LBB144_100
.LBB144_97:                             ;   in Loop: Header=BB144_90 Depth=2
	v_cndmask_b32_e64 v48, v40, v38, s[2:3]
	v_cndmask_b32_e64 v49, v41, v39, s[2:3]
	v_mov_b32_e32 v50, s49
	v_add_co_u32_e32 v48, vcc, s48, v48
	v_addc_co_u32_e32 v49, vcc, v50, v49, vcc
	global_load_dwordx2 v[48:49], v[48:49], off
	v_or_b32_e32 v50, v5, v2
	v_lshlrev_b32_e32 v52, 3, v50
	ds_read_b64 v[50:51], v52
	s_waitcnt vmcnt(0) lgkmcnt(0)
	v_pk_fma_f32 v[50:51], s[54:55], v[48:49], v[50:51] op_sel_hi:[1,0,1]
	v_pk_fma_f32 v[48:49], s[66:67], v[48:49], v[50:51] op_sel:[0,1,0]
	ds_write_b64 v52, v[48:49]
	s_or_b64 exec, exec, s[6:7]
	v_add_lshl_u32 v5, v5, v2, 3
	s_and_saveexec_b64 s[6:7], s[72:73]
	s_cbranch_execz .LBB144_95
.LBB144_98:                             ;   in Loop: Header=BB144_90 Depth=2
	v_mov_b32_e32 v48, s49
	v_add_co_u32_e32 v49, vcc, s48, v38
	v_addc_co_u32_e32 v50, vcc, v48, v39, vcc
	v_add_co_u32_e32 v51, vcc, 64, v49
	v_addc_co_u32_e32 v49, vcc, 0, v50, vcc
	;; [unrolled: 2-line block ×3, first 2 shown]
	v_cndmask_b32_e64 v49, v48, v49, s[2:3]
	v_cndmask_b32_e64 v48, v50, v51, s[2:3]
	global_load_dwordx2 v[48:49], v[48:49], off
	ds_read_b64 v[50:51], v5 offset:64
	s_waitcnt vmcnt(0) lgkmcnt(0)
	v_pk_fma_f32 v[50:51], s[54:55], v[48:49], v[50:51] op_sel_hi:[1,0,1]
	v_pk_fma_f32 v[48:49], s[66:67], v[48:49], v[50:51] op_sel:[0,1,0]
	ds_write_b64 v5, v[48:49] offset:64
	s_or_b64 exec, exec, s[6:7]
	s_and_saveexec_b64 s[6:7], s[74:75]
	s_cbranch_execz .LBB144_96
.LBB144_99:                             ;   in Loop: Header=BB144_90 Depth=2
	v_mov_b32_e32 v48, s49
	v_add_co_u32_e32 v49, vcc, s48, v38
	v_addc_co_u32_e32 v50, vcc, v48, v39, vcc
	v_add_co_u32_e32 v51, vcc, 0x80, v49
	v_addc_co_u32_e32 v49, vcc, 0, v50, vcc
	;; [unrolled: 2-line block ×3, first 2 shown]
	v_cndmask_b32_e64 v49, v48, v49, s[2:3]
	v_cndmask_b32_e64 v48, v50, v51, s[2:3]
	global_load_dwordx2 v[48:49], v[48:49], off
	ds_read_b64 v[50:51], v5 offset:128
	s_waitcnt vmcnt(0) lgkmcnt(0)
	v_pk_fma_f32 v[50:51], s[54:55], v[48:49], v[50:51] op_sel_hi:[1,0,1]
	v_pk_fma_f32 v[48:49], s[66:67], v[48:49], v[50:51] op_sel:[0,1,0]
	ds_write_b64 v5, v[48:49] offset:128
	s_or_b64 exec, exec, s[6:7]
	s_and_saveexec_b64 s[6:7], s[76:77]
	s_cbranch_execz .LBB144_88
.LBB144_100:                            ;   in Loop: Header=BB144_90 Depth=2
	v_mov_b32_e32 v48, s49
	v_add_co_u32_e32 v49, vcc, s48, v38
	v_addc_co_u32_e32 v50, vcc, v48, v39, vcc
	v_add_co_u32_e32 v51, vcc, 0xc0, v49
	v_addc_co_u32_e32 v49, vcc, 0, v50, vcc
	;; [unrolled: 2-line block ×3, first 2 shown]
	v_cndmask_b32_e64 v49, v48, v49, s[2:3]
	v_cndmask_b32_e64 v48, v50, v51, s[2:3]
	global_load_dwordx2 v[48:49], v[48:49], off
	ds_read_b64 v[50:51], v5 offset:192
	s_waitcnt vmcnt(0) lgkmcnt(0)
	v_pk_fma_f32 v[50:51], s[54:55], v[48:49], v[50:51] op_sel_hi:[1,0,1]
	v_pk_fma_f32 v[48:49], s[66:67], v[48:49], v[50:51] op_sel:[0,1,0]
	ds_write_b64 v5, v[48:49] offset:192
	s_branch .LBB144_88
.LBB144_101:                            ;   in Loop: Header=BB144_22 Depth=1
	s_barrier
	ds_read_u8 v5, v4 offset:16384
	s_add_u32 s20, s20, s18
	s_addc_u32 s21, s21, 0
	s_mov_b32 s8, 0
	s_waitcnt lgkmcnt(0)
	v_cmp_eq_u32_e32 vcc, 0, v5
	s_cbranch_vccnz .LBB144_108
; %bb.102:                              ;   in Loop: Header=BB144_22 Depth=1
	v_readlane_b32 s88, v78, 0
	v_readlane_b32 s94, v78, 6
	;; [unrolled: 1-line block ×3, first 2 shown]
	s_lshl_b64 s[6:7], s[84:85], 3
	s_mov_b64 s[42:43], s[94:95]
	s_add_u32 s6, s42, s6
	s_addc_u32 s7, s43, s7
	v_pk_mov_b32 v[38:39], s[20:21], s[20:21] op_sel:[0,1]
	global_store_dwordx2 v4, v[38:39], s[6:7]
	s_mul_i32 s6, s84, s61
	s_mul_hi_u32 s7, s84, s60
	s_add_i32 s6, s7, s6
	s_mul_i32 s7, s85, s60
	s_add_i32 s7, s6, s7
	s_mul_i32 s6, s84, s60
	s_lshl_b64 s[6:7], s[6:7], 3
	v_mov_b32_e32 v40, s7
	v_add_co_u32_e32 v5, vcc, s6, v64
	v_addc_co_u32_e32 v38, vcc, v65, v40, vcc
	v_add_co_u32_e32 v39, vcc, s6, v66
	v_readlane_b32 s90, v78, 2
	v_readlane_b32 s91, v78, 3
	v_addc_co_u32_e32 v40, vcc, v67, v40, vcc
	v_readlane_b32 s89, v78, 1
	v_readlane_b32 s92, v78, 4
	;; [unrolled: 1-line block ×3, first 2 shown]
	s_mov_b64 s[38:39], s[90:91]
	s_and_saveexec_b64 s[6:7], s[70:71]
	s_cbranch_execnz .LBB144_115
; %bb.103:                              ;   in Loop: Header=BB144_22 Depth=1
	s_or_b64 exec, exec, s[6:7]
	s_and_saveexec_b64 s[6:7], s[72:73]
	s_cbranch_execnz .LBB144_116
.LBB144_104:                            ;   in Loop: Header=BB144_22 Depth=1
	s_or_b64 exec, exec, s[6:7]
	s_and_saveexec_b64 s[6:7], s[74:75]
	s_cbranch_execnz .LBB144_117
.LBB144_105:                            ;   in Loop: Header=BB144_22 Depth=1
	s_or_b64 exec, exec, s[6:7]
	s_and_saveexec_b64 s[6:7], s[76:77]
	s_cbranch_execz .LBB144_107
.LBB144_106:                            ;   in Loop: Header=BB144_22 Depth=1
	v_lshlrev_b32_e32 v41, 3, v2
	v_add_co_u32_e32 v39, vcc, v39, v41
	v_addc_co_u32_e32 v40, vcc, 0, v40, vcc
	v_add_co_u32_e32 v44, vcc, 0xc0, v39
	ds_read_b64 v[42:43], v3 offset:192
	v_addc_co_u32_e32 v39, vcc, 0, v40, vcc
	v_lshlrev_b64 v[40:41], 3, v[12:13]
	v_add_co_u32_e32 v5, vcc, v5, v40
	v_addc_co_u32_e32 v38, vcc, v38, v41, vcc
	v_cndmask_b32_e64 v39, v38, v39, s[2:3]
	v_cndmask_b32_e64 v38, v5, v44, s[2:3]
	s_waitcnt lgkmcnt(0)
	global_store_dwordx2 v[38:39], v[42:43], off
.LBB144_107:                            ;   in Loop: Header=BB144_22 Depth=1
	s_or_b64 exec, exec, s[6:7]
	s_mov_b32 s8, 1
.LBB144_108:                            ;   in Loop: Header=BB144_22 Depth=1
	ds_read_u8 v5, v4 offset:16385
	s_waitcnt lgkmcnt(0)
	v_readfirstlane_b32 s6, v5
	s_bitcmp1_b32 s6, 0
	s_cselect_b64 s[10:11], -1, 0
	s_mov_b64 s[6:7], -1
	s_and_b64 vcc, exec, s[10:11]
                                        ; implicit-def: $sgpr10_sgpr11
	s_cbranch_vccnz .LBB144_110
; %bb.109:                              ;   in Loop: Header=BB144_22 Depth=1
	s_add_u32 s10, s8, s84
	s_addc_u32 s11, 0, s85
	s_mov_b64 s[6:7], 0
.LBB144_110:                            ;   in Loop: Header=BB144_22 Depth=1
	s_andn2_b64 vcc, exec, s[6:7]
	s_cbranch_vccnz .LBB144_21
; %bb.111:                              ;   in Loop: Header=BB144_22 Depth=1
	s_add_i32 s6, s8, 1
	s_add_u32 s10, s84, s6
	s_addc_u32 s11, s85, 0
	s_add_u32 s38, s10, -1
	s_addc_u32 s39, s11, -1
	s_add_u32 s6, s20, 1
	s_addc_u32 s7, s21, 0
	s_lshl_b64 s[8:9], s[10:11], 3
	s_add_u32 s8, s23, s8
	v_pk_mov_b32 v[38:39], s[6:7], s[6:7] op_sel:[0,1]
	s_mul_i32 s6, s38, s61
	s_mul_hi_u32 s7, s38, s60
	s_addc_u32 s9, s26, s9
	s_add_i32 s6, s7, s6
	s_mul_i32 s39, s39, s60
	s_add_i32 s7, s6, s39
	s_mul_i32 s6, s38, s60
	s_lshl_b64 s[6:7], s[6:7], 3
	v_mov_b32_e32 v40, s7
	v_add_co_u32_e32 v5, vcc, s6, v64
	global_store_dwordx2 v4, v[38:39], s[8:9]
	v_addc_co_u32_e32 v38, vcc, v65, v40, vcc
	v_add_co_u32_e32 v39, vcc, s6, v66
	v_addc_co_u32_e32 v40, vcc, v67, v40, vcc
	v_lshlrev_b32_e32 v41, 3, v2
	s_and_saveexec_b64 s[6:7], s[70:71]
	s_cbranch_execnz .LBB144_118
; %bb.112:                              ;   in Loop: Header=BB144_22 Depth=1
	s_or_b64 exec, exec, s[6:7]
	s_and_saveexec_b64 s[6:7], s[72:73]
	s_cbranch_execnz .LBB144_119
.LBB144_113:                            ;   in Loop: Header=BB144_22 Depth=1
	s_or_b64 exec, exec, s[6:7]
	s_and_saveexec_b64 s[6:7], s[74:75]
	s_cbranch_execnz .LBB144_120
.LBB144_114:                            ;   in Loop: Header=BB144_22 Depth=1
	s_or_b64 exec, exec, s[6:7]
	s_and_saveexec_b64 s[6:7], s[76:77]
	s_cbranch_execz .LBB144_20
	s_branch .LBB144_121
.LBB144_115:                            ;   in Loop: Header=BB144_22 Depth=1
	v_lshlrev_b32_e32 v41, 3, v2
	v_add_co_u32_e32 v41, vcc, v39, v41
	ds_read_b64 v[44:45], v3
	v_addc_co_u32_e32 v46, vcc, 0, v40, vcc
	v_lshlrev_b64 v[42:43], 3, v[6:7]
	v_add_co_u32_e32 v42, vcc, v5, v42
	v_addc_co_u32_e32 v43, vcc, v38, v43, vcc
	v_cndmask_b32_e64 v43, v43, v46, s[2:3]
	v_cndmask_b32_e64 v42, v42, v41, s[2:3]
	s_waitcnt lgkmcnt(0)
	global_store_dwordx2 v[42:43], v[44:45], off
	s_or_b64 exec, exec, s[6:7]
	s_and_saveexec_b64 s[6:7], s[72:73]
	s_cbranch_execz .LBB144_104
.LBB144_116:                            ;   in Loop: Header=BB144_22 Depth=1
	v_lshlrev_b32_e32 v41, 3, v2
	v_add_co_u32_e32 v41, vcc, v39, v41
	v_addc_co_u32_e32 v42, vcc, 0, v40, vcc
	v_add_co_u32_e32 v41, vcc, 64, v41
	ds_read_b64 v[44:45], v3 offset:64
	v_addc_co_u32_e32 v46, vcc, 0, v42, vcc
	v_lshlrev_b64 v[42:43], 3, v[8:9]
	v_add_co_u32_e32 v42, vcc, v5, v42
	v_addc_co_u32_e32 v43, vcc, v38, v43, vcc
	v_cndmask_b32_e64 v43, v43, v46, s[2:3]
	v_cndmask_b32_e64 v42, v42, v41, s[2:3]
	s_waitcnt lgkmcnt(0)
	global_store_dwordx2 v[42:43], v[44:45], off
	s_or_b64 exec, exec, s[6:7]
	s_and_saveexec_b64 s[6:7], s[74:75]
	s_cbranch_execz .LBB144_105
.LBB144_117:                            ;   in Loop: Header=BB144_22 Depth=1
	v_lshlrev_b32_e32 v41, 3, v2
	v_add_co_u32_e32 v41, vcc, v39, v41
	v_addc_co_u32_e32 v42, vcc, 0, v40, vcc
	v_add_co_u32_e32 v41, vcc, 0x80, v41
	ds_read_b64 v[44:45], v3 offset:128
	v_addc_co_u32_e32 v46, vcc, 0, v42, vcc
	v_lshlrev_b64 v[42:43], 3, v[10:11]
	v_add_co_u32_e32 v42, vcc, v5, v42
	v_addc_co_u32_e32 v43, vcc, v38, v43, vcc
	v_cndmask_b32_e64 v43, v43, v46, s[2:3]
	v_cndmask_b32_e64 v42, v42, v41, s[2:3]
	s_waitcnt lgkmcnt(0)
	global_store_dwordx2 v[42:43], v[44:45], off
	s_or_b64 exec, exec, s[6:7]
	s_and_saveexec_b64 s[6:7], s[76:77]
	s_cbranch_execnz .LBB144_106
	s_branch .LBB144_107
.LBB144_118:                            ;   in Loop: Header=BB144_22 Depth=1
	v_add_co_u32_e32 v46, vcc, v39, v41
	ds_read_b64 v[44:45], v3 offset:8192
	v_addc_co_u32_e32 v47, vcc, 0, v40, vcc
	v_lshlrev_b64 v[42:43], 3, v[6:7]
	v_add_co_u32_e32 v42, vcc, v5, v42
	v_addc_co_u32_e32 v43, vcc, v38, v43, vcc
	v_cndmask_b32_e64 v43, v43, v47, s[2:3]
	v_cndmask_b32_e64 v42, v42, v46, s[2:3]
	s_waitcnt lgkmcnt(0)
	global_store_dwordx2 v[42:43], v[44:45], off
	s_or_b64 exec, exec, s[6:7]
	s_and_saveexec_b64 s[6:7], s[72:73]
	s_cbranch_execz .LBB144_113
.LBB144_119:                            ;   in Loop: Header=BB144_22 Depth=1
	v_add_co_u32_e32 v42, vcc, v39, v41
	v_addc_co_u32_e32 v43, vcc, 0, v40, vcc
	v_add_co_u32_e32 v46, vcc, 64, v42
	ds_read_b64 v[44:45], v68 offset:8192
	v_addc_co_u32_e32 v47, vcc, 0, v43, vcc
	v_lshlrev_b64 v[42:43], 3, v[8:9]
	v_add_co_u32_e32 v42, vcc, v5, v42
	v_addc_co_u32_e32 v43, vcc, v38, v43, vcc
	v_cndmask_b32_e64 v43, v43, v47, s[2:3]
	v_cndmask_b32_e64 v42, v42, v46, s[2:3]
	s_waitcnt lgkmcnt(0)
	global_store_dwordx2 v[42:43], v[44:45], off
	s_or_b64 exec, exec, s[6:7]
	s_and_saveexec_b64 s[6:7], s[74:75]
	s_cbranch_execz .LBB144_114
.LBB144_120:                            ;   in Loop: Header=BB144_22 Depth=1
	v_add_co_u32_e32 v42, vcc, v39, v41
	v_addc_co_u32_e32 v43, vcc, 0, v40, vcc
	v_add_co_u32_e32 v46, vcc, 0x80, v42
	ds_read_b64 v[44:45], v69 offset:8192
	v_addc_co_u32_e32 v47, vcc, 0, v43, vcc
	v_lshlrev_b64 v[42:43], 3, v[10:11]
	v_add_co_u32_e32 v42, vcc, v5, v42
	v_addc_co_u32_e32 v43, vcc, v38, v43, vcc
	v_cndmask_b32_e64 v43, v43, v47, s[2:3]
	v_cndmask_b32_e64 v42, v42, v46, s[2:3]
	s_waitcnt lgkmcnt(0)
	global_store_dwordx2 v[42:43], v[44:45], off
	s_or_b64 exec, exec, s[6:7]
	s_and_saveexec_b64 s[6:7], s[76:77]
	s_cbranch_execz .LBB144_20
.LBB144_121:                            ;   in Loop: Header=BB144_22 Depth=1
	v_add_co_u32_e32 v39, vcc, v39, v41
	v_addc_co_u32_e32 v40, vcc, 0, v40, vcc
	v_add_co_u32_e32 v44, vcc, 0xc0, v39
	ds_read_b64 v[42:43], v70 offset:8192
	v_addc_co_u32_e32 v39, vcc, 0, v40, vcc
	v_lshlrev_b64 v[40:41], 3, v[12:13]
	v_add_co_u32_e32 v5, vcc, v5, v40
	v_addc_co_u32_e32 v38, vcc, v38, v41, vcc
	v_cndmask_b32_e64 v39, v38, v39, s[2:3]
	v_cndmask_b32_e64 v38, v5, v44, s[2:3]
	s_waitcnt lgkmcnt(0)
	global_store_dwordx2 v[38:39], v[42:43], off
	s_branch .LBB144_20
.LBB144_122:
	s_endpgm
	.section	.rodata,"a",@progbits
	.p2align	6, 0x0
	.amdhsa_kernel _ZN9rocsparseL31bsrgemm_block_per_row_multipassILj256ELj2ELj32Ell21rocsparse_complex_numIfEEEv20rocsparse_direction_T3_S4_PKS4_S6_NS_24const_host_device_scalarIT4_EEPKT2_S6_PKS8_SC_S6_SE_S9_SC_S6_SE_SC_PS4_PS8_PSA_21rocsparse_index_base_SI_SI_SI_bbb
		.amdhsa_group_segment_fixed_size 16388
		.amdhsa_private_segment_fixed_size 0
		.amdhsa_kernarg_size 180
		.amdhsa_user_sgpr_count 6
		.amdhsa_user_sgpr_private_segment_buffer 1
		.amdhsa_user_sgpr_dispatch_ptr 0
		.amdhsa_user_sgpr_queue_ptr 0
		.amdhsa_user_sgpr_kernarg_segment_ptr 1
		.amdhsa_user_sgpr_dispatch_id 0
		.amdhsa_user_sgpr_flat_scratch_init 0
		.amdhsa_user_sgpr_kernarg_preload_length 0
		.amdhsa_user_sgpr_kernarg_preload_offset 0
		.amdhsa_user_sgpr_private_segment_size 0
		.amdhsa_uses_dynamic_stack 0
		.amdhsa_system_sgpr_private_segment_wavefront_offset 0
		.amdhsa_system_sgpr_workgroup_id_x 1
		.amdhsa_system_sgpr_workgroup_id_y 0
		.amdhsa_system_sgpr_workgroup_id_z 0
		.amdhsa_system_sgpr_workgroup_info 0
		.amdhsa_system_vgpr_workitem_id 0
		.amdhsa_next_free_vgpr 79
		.amdhsa_next_free_sgpr 96
		.amdhsa_accum_offset 80
		.amdhsa_reserve_vcc 1
		.amdhsa_reserve_flat_scratch 0
		.amdhsa_float_round_mode_32 0
		.amdhsa_float_round_mode_16_64 0
		.amdhsa_float_denorm_mode_32 3
		.amdhsa_float_denorm_mode_16_64 3
		.amdhsa_dx10_clamp 1
		.amdhsa_ieee_mode 1
		.amdhsa_fp16_overflow 0
		.amdhsa_tg_split 0
		.amdhsa_exception_fp_ieee_invalid_op 0
		.amdhsa_exception_fp_denorm_src 0
		.amdhsa_exception_fp_ieee_div_zero 0
		.amdhsa_exception_fp_ieee_overflow 0
		.amdhsa_exception_fp_ieee_underflow 0
		.amdhsa_exception_fp_ieee_inexact 0
		.amdhsa_exception_int_div_zero 0
	.end_amdhsa_kernel
	.section	.text._ZN9rocsparseL31bsrgemm_block_per_row_multipassILj256ELj2ELj32Ell21rocsparse_complex_numIfEEEv20rocsparse_direction_T3_S4_PKS4_S6_NS_24const_host_device_scalarIT4_EEPKT2_S6_PKS8_SC_S6_SE_S9_SC_S6_SE_SC_PS4_PS8_PSA_21rocsparse_index_base_SI_SI_SI_bbb,"axG",@progbits,_ZN9rocsparseL31bsrgemm_block_per_row_multipassILj256ELj2ELj32Ell21rocsparse_complex_numIfEEEv20rocsparse_direction_T3_S4_PKS4_S6_NS_24const_host_device_scalarIT4_EEPKT2_S6_PKS8_SC_S6_SE_S9_SC_S6_SE_SC_PS4_PS8_PSA_21rocsparse_index_base_SI_SI_SI_bbb,comdat
.Lfunc_end144:
	.size	_ZN9rocsparseL31bsrgemm_block_per_row_multipassILj256ELj2ELj32Ell21rocsparse_complex_numIfEEEv20rocsparse_direction_T3_S4_PKS4_S6_NS_24const_host_device_scalarIT4_EEPKT2_S6_PKS8_SC_S6_SE_S9_SC_S6_SE_SC_PS4_PS8_PSA_21rocsparse_index_base_SI_SI_SI_bbb, .Lfunc_end144-_ZN9rocsparseL31bsrgemm_block_per_row_multipassILj256ELj2ELj32Ell21rocsparse_complex_numIfEEEv20rocsparse_direction_T3_S4_PKS4_S6_NS_24const_host_device_scalarIT4_EEPKT2_S6_PKS8_SC_S6_SE_S9_SC_S6_SE_SC_PS4_PS8_PSA_21rocsparse_index_base_SI_SI_SI_bbb
                                        ; -- End function
	.section	.AMDGPU.csdata,"",@progbits
; Kernel info:
; codeLenInByte = 5796
; NumSgprs: 100
; NumVgprs: 79
; NumAgprs: 0
; TotalNumVgprs: 79
; ScratchSize: 0
; MemoryBound: 1
; FloatMode: 240
; IeeeMode: 1
; LDSByteSize: 16388 bytes/workgroup (compile time only)
; SGPRBlocks: 12
; VGPRBlocks: 9
; NumSGPRsForWavesPerEU: 100
; NumVGPRsForWavesPerEU: 79
; AccumOffset: 80
; Occupancy: 3
; WaveLimiterHint : 1
; COMPUTE_PGM_RSRC2:SCRATCH_EN: 0
; COMPUTE_PGM_RSRC2:USER_SGPR: 6
; COMPUTE_PGM_RSRC2:TRAP_HANDLER: 0
; COMPUTE_PGM_RSRC2:TGID_X_EN: 1
; COMPUTE_PGM_RSRC2:TGID_Y_EN: 0
; COMPUTE_PGM_RSRC2:TGID_Z_EN: 0
; COMPUTE_PGM_RSRC2:TIDIG_COMP_CNT: 0
; COMPUTE_PGM_RSRC3_GFX90A:ACCUM_OFFSET: 19
; COMPUTE_PGM_RSRC3_GFX90A:TG_SPLIT: 0
	.section	.text._ZN9rocsparseL26bsrgemm_group_reduce_part2ILj256ELj8ELj2E21rocsparse_complex_numIdEllEEvT4_PKT3_PS3_Pi,"axG",@progbits,_ZN9rocsparseL26bsrgemm_group_reduce_part2ILj256ELj8ELj2E21rocsparse_complex_numIdEllEEvT4_PKT3_PS3_Pi,comdat
	.globl	_ZN9rocsparseL26bsrgemm_group_reduce_part2ILj256ELj8ELj2E21rocsparse_complex_numIdEllEEvT4_PKT3_PS3_Pi ; -- Begin function _ZN9rocsparseL26bsrgemm_group_reduce_part2ILj256ELj8ELj2E21rocsparse_complex_numIdEllEEvT4_PKT3_PS3_Pi
	.p2align	8
	.type	_ZN9rocsparseL26bsrgemm_group_reduce_part2ILj256ELj8ELj2E21rocsparse_complex_numIdEllEEvT4_PKT3_PS3_Pi,@function
_ZN9rocsparseL26bsrgemm_group_reduce_part2ILj256ELj8ELj2E21rocsparse_complex_numIdEllEEvT4_PKT3_PS3_Pi: ; @_ZN9rocsparseL26bsrgemm_group_reduce_part2ILj256ELj8ELj2E21rocsparse_complex_numIdEllEEvT4_PKT3_PS3_Pi
; %bb.0:
	s_load_dwordx2 s[10:11], s[4:5], 0x0
	s_load_dwordx2 s[8:9], s[4:5], 0x10
	s_mov_b32 s1, 0
	s_mov_b32 s2, s1
	;; [unrolled: 1-line block ×3, first 2 shown]
	v_lshl_or_b32 v2, s6, 8, v0
	s_mov_b32 s0, s1
	v_pk_mov_b32 v[6:7], s[2:3], s[2:3] op_sel:[0,1]
	v_mov_b32_e32 v3, 0
	v_lshlrev_b32_e32 v1, 6, v0
	v_pk_mov_b32 v[4:5], s[0:1], s[0:1] op_sel:[0,1]
	s_waitcnt lgkmcnt(0)
	v_cmp_gt_i64_e32 vcc, s[10:11], v[2:3]
	ds_write_b128 v1, v[4:7]
	ds_write_b128 v1, v[4:7] offset:16
	ds_write_b128 v1, v[4:7] offset:32
	;; [unrolled: 1-line block ×3, first 2 shown]
	s_waitcnt lgkmcnt(0)
	s_and_saveexec_b64 s[2:3], vcc
	s_cbranch_execz .LBB145_27
; %bb.1:
	s_load_dword s0, s[4:5], 0x20
	s_load_dwordx2 s[12:13], s[4:5], 0x18
	s_load_dwordx2 s[14:15], s[4:5], 0x8
	v_lshlrev_b64 v[4:5], 2, v[2:3]
	s_mov_b64 s[16:17], 0x80
	s_waitcnt lgkmcnt(0)
	s_lshl_b32 s0, s0, 8
	v_mov_b32_e32 v6, s13
	v_add_co_u32_e32 v4, vcc, s12, v4
	v_addc_co_u32_e32 v5, vcc, v6, v5, vcc
	v_lshlrev_b64 v[6:7], 3, v[2:3]
	s_lshl_b64 s[4:5], s[0:1], 2
	v_mov_b32_e32 v8, s15
	v_add_co_u32_e32 v6, vcc, s14, v6
	s_lshl_b64 s[12:13], s[0:1], 3
	v_addc_co_u32_e32 v7, vcc, v8, v7, vcc
	s_mov_b64 s[14:15], 0
	s_mov_b64 s[18:19], 0x100
	v_mov_b32_e32 v12, 7
	v_mov_b32_e32 v13, 5
	;; [unrolled: 1-line block ×9, first 2 shown]
	v_pk_mov_b32 v[8:9], v[2:3], v[2:3] op_sel:[0,1]
	s_branch .LBB145_3
.LBB145_2:                              ;   in Loop: Header=BB145_3 Depth=1
	s_or_b64 exec, exec, s[20:21]
	v_add_co_u32_e32 v8, vcc, s0, v8
	v_addc_co_u32_e32 v9, vcc, v9, v18, vcc
	v_add_co_u32_e32 v4, vcc, s4, v4
	v_addc_co_u32_e32 v5, vcc, v5, v19, vcc
	v_cmp_le_i64_e32 vcc, s[10:11], v[8:9]
	s_or_b64 s[14:15], vcc, s[14:15]
	v_add_co_u32_e32 v6, vcc, s12, v6
	v_addc_co_u32_e32 v7, vcc, v7, v20, vcc
	s_andn2_b64 exec, exec, s[14:15]
	s_cbranch_execz .LBB145_27
.LBB145_3:                              ; =>This Inner Loop Header: Depth=1
	global_load_dwordx4 v[22:25], v[6:7], off
	s_waitcnt vmcnt(0)
	v_sub_co_u32_e32 v10, vcc, v24, v22
	v_subb_co_u32_e32 v11, vcc, v25, v23, vcc
	v_cmp_lt_i64_e32 vcc, 8, v[10:11]
	s_and_saveexec_b64 s[20:21], vcc
	s_xor_b64 s[20:21], exec, s[20:21]
	s_cbranch_execz .LBB145_25
; %bb.4:                                ;   in Loop: Header=BB145_3 Depth=1
	v_cmp_lt_u64_e32 vcc, 16, v[10:11]
	s_and_saveexec_b64 s[22:23], vcc
	s_xor_b64 s[22:23], exec, s[22:23]
	s_cbranch_execz .LBB145_22
; %bb.5:                                ;   in Loop: Header=BB145_3 Depth=1
	v_cmp_lt_u64_e32 vcc, 32, v[10:11]
	;; [unrolled: 5-line block ×5, first 2 shown]
	s_and_saveexec_b64 s[30:31], vcc
	s_xor_b64 s[30:31], exec, s[30:31]
	s_cbranch_execz .LBB145_10
; %bb.9:                                ;   in Loop: Header=BB145_3 Depth=1
	ds_read_b64 v[10:11], v1 offset:56
	global_store_dword v[4:5], v12, off
	s_waitcnt lgkmcnt(0)
	v_add_co_u32_e32 v10, vcc, 1, v10
	v_addc_co_u32_e32 v11, vcc, 0, v11, vcc
	ds_write_b64 v1, v[10:11] offset:56
.LBB145_10:                             ;   in Loop: Header=BB145_3 Depth=1
	s_andn2_saveexec_b64 s[30:31], s[30:31]
	s_cbranch_execz .LBB145_12
; %bb.11:                               ;   in Loop: Header=BB145_3 Depth=1
	ds_read_b64 v[10:11], v1 offset:40
	global_store_dword v[4:5], v13, off
	s_waitcnt lgkmcnt(0)
	v_add_co_u32_e32 v10, vcc, 1, v10
	v_addc_co_u32_e32 v11, vcc, 0, v11, vcc
	ds_write_b64 v1, v[10:11] offset:40
.LBB145_12:                             ;   in Loop: Header=BB145_3 Depth=1
	s_or_b64 exec, exec, s[30:31]
.LBB145_13:                             ;   in Loop: Header=BB145_3 Depth=1
	s_andn2_saveexec_b64 s[28:29], s[28:29]
	s_cbranch_execz .LBB145_15
; %bb.14:                               ;   in Loop: Header=BB145_3 Depth=1
	ds_read_b64 v[10:11], v1 offset:32
	global_store_dword v[4:5], v14, off
	s_waitcnt lgkmcnt(0)
	v_add_co_u32_e32 v10, vcc, 1, v10
	v_addc_co_u32_e32 v11, vcc, 0, v11, vcc
	ds_write_b64 v1, v[10:11] offset:32
.LBB145_15:                             ;   in Loop: Header=BB145_3 Depth=1
	s_or_b64 exec, exec, s[28:29]
.LBB145_16:                             ;   in Loop: Header=BB145_3 Depth=1
	s_andn2_saveexec_b64 s[26:27], s[26:27]
	s_cbranch_execz .LBB145_18
; %bb.17:                               ;   in Loop: Header=BB145_3 Depth=1
	ds_read_b64 v[10:11], v1 offset:24
	global_store_dword v[4:5], v15, off
	s_waitcnt lgkmcnt(0)
	v_add_co_u32_e32 v10, vcc, 1, v10
	v_addc_co_u32_e32 v11, vcc, 0, v11, vcc
	ds_write_b64 v1, v[10:11] offset:24
.LBB145_18:                             ;   in Loop: Header=BB145_3 Depth=1
	s_or_b64 exec, exec, s[26:27]
.LBB145_19:                             ;   in Loop: Header=BB145_3 Depth=1
	s_andn2_saveexec_b64 s[24:25], s[24:25]
	s_cbranch_execz .LBB145_21
; %bb.20:                               ;   in Loop: Header=BB145_3 Depth=1
	ds_read_b64 v[10:11], v1 offset:16
	global_store_dword v[4:5], v16, off
	s_waitcnt lgkmcnt(0)
	v_add_co_u32_e32 v10, vcc, 1, v10
	v_addc_co_u32_e32 v11, vcc, 0, v11, vcc
	ds_write_b64 v1, v[10:11] offset:16
.LBB145_21:                             ;   in Loop: Header=BB145_3 Depth=1
	s_or_b64 exec, exec, s[24:25]
.LBB145_22:                             ;   in Loop: Header=BB145_3 Depth=1
	s_andn2_saveexec_b64 s[22:23], s[22:23]
	s_cbranch_execz .LBB145_24
; %bb.23:                               ;   in Loop: Header=BB145_3 Depth=1
	ds_read_b64 v[10:11], v1 offset:8
	global_store_dword v[4:5], v17, off
	s_waitcnt lgkmcnt(0)
	v_add_co_u32_e32 v10, vcc, 1, v10
	v_addc_co_u32_e32 v11, vcc, 0, v11, vcc
	ds_write_b64 v1, v[10:11] offset:8
.LBB145_24:                             ;   in Loop: Header=BB145_3 Depth=1
	s_or_b64 exec, exec, s[22:23]
.LBB145_25:                             ;   in Loop: Header=BB145_3 Depth=1
	s_andn2_saveexec_b64 s[20:21], s[20:21]
	s_cbranch_execz .LBB145_2
; %bb.26:                               ;   in Loop: Header=BB145_3 Depth=1
	ds_read_b64 v[10:11], v1
	global_store_dword v[4:5], v3, off
	s_waitcnt lgkmcnt(0)
	v_add_co_u32_e32 v10, vcc, 1, v10
	v_addc_co_u32_e32 v11, vcc, 0, v11, vcc
	ds_write_b64 v1, v[10:11]
	s_branch .LBB145_2
.LBB145_27:
	s_or_b64 exec, exec, s[2:3]
	s_movk_i32 s0, 0x80
	v_cmp_gt_u32_e32 vcc, s0, v0
	s_waitcnt lgkmcnt(0)
	s_barrier
	s_barrier
	;; [unrolled: 1-line block ×3, first 2 shown]
	s_and_saveexec_b64 s[0:1], vcc
	s_cbranch_execz .LBB145_29
; %bb.28:
	ds_read_b128 v[2:5], v1 offset:8192
	ds_read_b128 v[6:9], v1
	ds_read_b128 v[10:13], v1 offset:16
	ds_read_b128 v[14:17], v1 offset:32
	ds_read_b128 v[18:21], v1 offset:48
	ds_read_b128 v[22:25], v1 offset:8208
	s_waitcnt lgkmcnt(4)
	v_add_co_u32_e32 v2, vcc, v6, v2
	v_addc_co_u32_e32 v3, vcc, v7, v3, vcc
	v_add_co_u32_e32 v4, vcc, v8, v4
	v_addc_co_u32_e32 v5, vcc, v9, v5, vcc
	ds_write_b128 v1, v[2:5]
	s_waitcnt lgkmcnt(1)
	v_add_co_u32_e32 v2, vcc, v10, v22
	ds_read_b128 v[6:9], v1 offset:8224
	v_addc_co_u32_e32 v3, vcc, v11, v23, vcc
	v_add_co_u32_e32 v4, vcc, v12, v24
	v_addc_co_u32_e32 v5, vcc, v13, v25, vcc
	ds_write_b128 v1, v[2:5] offset:16
	ds_read_b128 v[2:5], v1 offset:8240
	s_waitcnt lgkmcnt(2)
	v_add_co_u32_e32 v6, vcc, v14, v6
	v_addc_co_u32_e32 v7, vcc, v15, v7, vcc
	v_add_co_u32_e32 v8, vcc, v16, v8
	v_addc_co_u32_e32 v9, vcc, v17, v9, vcc
	s_waitcnt lgkmcnt(0)
	v_add_co_u32_e32 v2, vcc, v18, v2
	v_addc_co_u32_e32 v3, vcc, v19, v3, vcc
	v_add_co_u32_e32 v4, vcc, v20, v4
	v_addc_co_u32_e32 v5, vcc, v21, v5, vcc
	ds_write_b128 v1, v[6:9] offset:32
	ds_write_b128 v1, v[2:5] offset:48
.LBB145_29:
	s_or_b64 exec, exec, s[0:1]
	v_cmp_gt_u32_e32 vcc, 64, v0
	s_waitcnt lgkmcnt(0)
	s_barrier
	s_and_saveexec_b64 s[0:1], vcc
	s_cbranch_execz .LBB145_31
; %bb.30:
	ds_read_b128 v[2:5], v1 offset:4096
	ds_read_b128 v[6:9], v1
	ds_read_b128 v[10:13], v1 offset:16
	ds_read_b128 v[14:17], v1 offset:32
	ds_read_b128 v[18:21], v1 offset:48
	ds_read_b128 v[22:25], v1 offset:4112
	s_waitcnt lgkmcnt(4)
	v_add_co_u32_e32 v2, vcc, v6, v2
	v_addc_co_u32_e32 v3, vcc, v7, v3, vcc
	v_add_co_u32_e32 v4, vcc, v8, v4
	v_addc_co_u32_e32 v5, vcc, v9, v5, vcc
	ds_write_b128 v1, v[2:5]
	s_waitcnt lgkmcnt(1)
	v_add_co_u32_e32 v2, vcc, v10, v22
	ds_read_b128 v[6:9], v1 offset:4128
	v_addc_co_u32_e32 v3, vcc, v11, v23, vcc
	v_add_co_u32_e32 v4, vcc, v12, v24
	v_addc_co_u32_e32 v5, vcc, v13, v25, vcc
	ds_write_b128 v1, v[2:5] offset:16
	ds_read_b128 v[2:5], v1 offset:4144
	s_waitcnt lgkmcnt(2)
	v_add_co_u32_e32 v6, vcc, v14, v6
	v_addc_co_u32_e32 v7, vcc, v15, v7, vcc
	v_add_co_u32_e32 v8, vcc, v16, v8
	v_addc_co_u32_e32 v9, vcc, v17, v9, vcc
	s_waitcnt lgkmcnt(0)
	v_add_co_u32_e32 v2, vcc, v18, v2
	v_addc_co_u32_e32 v3, vcc, v19, v3, vcc
	v_add_co_u32_e32 v4, vcc, v20, v4
	v_addc_co_u32_e32 v5, vcc, v21, v5, vcc
	ds_write_b128 v1, v[6:9] offset:32
	ds_write_b128 v1, v[2:5] offset:48
.LBB145_31:
	s_or_b64 exec, exec, s[0:1]
	v_cmp_gt_u32_e32 vcc, 32, v0
	s_waitcnt lgkmcnt(0)
	s_barrier
	;; [unrolled: 40-line block ×4, first 2 shown]
	s_and_saveexec_b64 s[2:3], vcc
	s_cbranch_execz .LBB145_37
; %bb.36:
	ds_read_b128 v[2:5], v1 offset:512
	ds_read_b128 v[6:9], v1
	ds_read_b128 v[10:13], v1 offset:16
	ds_read_b128 v[14:17], v1 offset:32
	;; [unrolled: 1-line block ×4, first 2 shown]
	s_waitcnt lgkmcnt(4)
	v_add_co_u32_e64 v2, s[0:1], v6, v2
	v_addc_co_u32_e64 v3, s[0:1], v7, v3, s[0:1]
	v_add_co_u32_e64 v4, s[0:1], v8, v4
	v_addc_co_u32_e64 v5, s[0:1], v9, v5, s[0:1]
	ds_write_b128 v1, v[2:5]
	s_waitcnt lgkmcnt(1)
	v_add_co_u32_e64 v2, s[0:1], v10, v22
	ds_read_b128 v[6:9], v1 offset:544
	v_addc_co_u32_e64 v3, s[0:1], v11, v23, s[0:1]
	v_add_co_u32_e64 v4, s[0:1], v12, v24
	v_addc_co_u32_e64 v5, s[0:1], v13, v25, s[0:1]
	ds_write_b128 v1, v[2:5] offset:16
	ds_read_b128 v[2:5], v1 offset:560
	s_waitcnt lgkmcnt(2)
	v_add_co_u32_e64 v6, s[0:1], v14, v6
	v_addc_co_u32_e64 v7, s[0:1], v15, v7, s[0:1]
	v_add_co_u32_e64 v8, s[0:1], v16, v8
	v_addc_co_u32_e64 v9, s[0:1], v17, v9, s[0:1]
	s_waitcnt lgkmcnt(0)
	v_add_co_u32_e64 v2, s[0:1], v18, v2
	v_addc_co_u32_e64 v3, s[0:1], v19, v3, s[0:1]
	v_add_co_u32_e64 v4, s[0:1], v20, v4
	v_addc_co_u32_e64 v5, s[0:1], v21, v5, s[0:1]
	ds_write_b128 v1, v[6:9] offset:32
	ds_write_b128 v1, v[2:5] offset:48
.LBB145_37:
	s_or_b64 exec, exec, s[2:3]
	v_cmp_gt_u32_e64 s[0:1], 4, v0
	s_waitcnt lgkmcnt(0)
	s_barrier
	s_and_saveexec_b64 s[2:3], s[0:1]
	s_cbranch_execz .LBB145_39
; %bb.38:
	ds_read_b128 v[2:5], v1 offset:256
	ds_read_b128 v[6:9], v1
	ds_read_b128 v[10:13], v1 offset:16
	ds_read_b128 v[14:17], v1 offset:32
	ds_read_b128 v[18:21], v1 offset:48
	ds_read_b128 v[22:25], v1 offset:272
	s_waitcnt lgkmcnt(4)
	v_add_co_u32_e64 v2, s[0:1], v6, v2
	v_addc_co_u32_e64 v3, s[0:1], v7, v3, s[0:1]
	v_add_co_u32_e64 v4, s[0:1], v8, v4
	v_addc_co_u32_e64 v5, s[0:1], v9, v5, s[0:1]
	ds_write_b128 v1, v[2:5]
	s_waitcnt lgkmcnt(1)
	v_add_co_u32_e64 v2, s[0:1], v10, v22
	ds_read_b128 v[6:9], v1 offset:288
	v_addc_co_u32_e64 v3, s[0:1], v11, v23, s[0:1]
	v_add_co_u32_e64 v4, s[0:1], v12, v24
	v_addc_co_u32_e64 v5, s[0:1], v13, v25, s[0:1]
	ds_write_b128 v1, v[2:5] offset:16
	ds_read_b128 v[2:5], v1 offset:304
	s_waitcnt lgkmcnt(2)
	v_add_co_u32_e64 v6, s[0:1], v14, v6
	v_addc_co_u32_e64 v7, s[0:1], v15, v7, s[0:1]
	v_add_co_u32_e64 v8, s[0:1], v16, v8
	v_addc_co_u32_e64 v9, s[0:1], v17, v9, s[0:1]
	s_waitcnt lgkmcnt(0)
	v_add_co_u32_e64 v2, s[0:1], v18, v2
	v_addc_co_u32_e64 v3, s[0:1], v19, v3, s[0:1]
	v_add_co_u32_e64 v4, s[0:1], v20, v4
	v_addc_co_u32_e64 v5, s[0:1], v21, v5, s[0:1]
	ds_write_b128 v1, v[6:9] offset:32
	ds_write_b128 v1, v[2:5] offset:48
.LBB145_39:
	s_or_b64 exec, exec, s[2:3]
	v_cmp_gt_u32_e64 s[0:1], 2, v0
	s_waitcnt lgkmcnt(0)
	s_barrier
	s_and_saveexec_b64 s[2:3], s[0:1]
	s_cbranch_execz .LBB145_41
; %bb.40:
	ds_read_b128 v[2:5], v1 offset:128
	ds_read_b128 v[6:9], v1
	ds_read_b128 v[10:13], v1 offset:16
	ds_read_b128 v[14:17], v1 offset:32
	;; [unrolled: 1-line block ×4, first 2 shown]
	s_waitcnt lgkmcnt(4)
	v_add_co_u32_e64 v2, s[0:1], v6, v2
	v_addc_co_u32_e64 v3, s[0:1], v7, v3, s[0:1]
	v_add_co_u32_e64 v4, s[0:1], v8, v4
	v_addc_co_u32_e64 v5, s[0:1], v9, v5, s[0:1]
	ds_write_b128 v1, v[2:5]
	s_waitcnt lgkmcnt(1)
	v_add_co_u32_e64 v2, s[0:1], v10, v22
	ds_read_b128 v[6:9], v1 offset:160
	v_addc_co_u32_e64 v3, s[0:1], v11, v23, s[0:1]
	v_add_co_u32_e64 v4, s[0:1], v12, v24
	v_addc_co_u32_e64 v5, s[0:1], v13, v25, s[0:1]
	ds_write_b128 v1, v[2:5] offset:16
	ds_read_b128 v[2:5], v1 offset:176
	s_waitcnt lgkmcnt(2)
	v_add_co_u32_e64 v6, s[0:1], v14, v6
	v_addc_co_u32_e64 v7, s[0:1], v15, v7, s[0:1]
	v_add_co_u32_e64 v8, s[0:1], v16, v8
	v_addc_co_u32_e64 v9, s[0:1], v17, v9, s[0:1]
	s_waitcnt lgkmcnt(0)
	v_add_co_u32_e64 v2, s[0:1], v18, v2
	v_addc_co_u32_e64 v3, s[0:1], v19, v3, s[0:1]
	v_add_co_u32_e64 v4, s[0:1], v20, v4
	v_addc_co_u32_e64 v5, s[0:1], v21, v5, s[0:1]
	ds_write_b128 v1, v[6:9] offset:32
	ds_write_b128 v1, v[2:5] offset:48
.LBB145_41:
	s_or_b64 exec, exec, s[2:3]
	v_cmp_eq_u32_e64 s[0:1], 0, v0
	s_waitcnt lgkmcnt(0)
	s_barrier
	s_and_saveexec_b64 s[2:3], s[0:1]
	s_cbranch_execz .LBB145_43
; %bb.42:
	v_mov_b32_e32 v1, 0
	ds_read_b128 v[2:5], v1 offset:64
	ds_read_b128 v[6:9], v1
	ds_read_b128 v[10:13], v1 offset:16
	ds_read_b128 v[14:17], v1 offset:32
	;; [unrolled: 1-line block ×4, first 2 shown]
	s_waitcnt lgkmcnt(4)
	v_add_co_u32_e64 v2, s[0:1], v6, v2
	v_addc_co_u32_e64 v3, s[0:1], v7, v3, s[0:1]
	v_add_co_u32_e64 v4, s[0:1], v8, v4
	v_addc_co_u32_e64 v5, s[0:1], v9, v5, s[0:1]
	ds_write_b128 v1, v[2:5]
	s_waitcnt lgkmcnt(1)
	v_add_co_u32_e64 v2, s[0:1], v10, v22
	ds_read_b128 v[6:9], v1 offset:96
	v_addc_co_u32_e64 v3, s[0:1], v11, v23, s[0:1]
	v_add_co_u32_e64 v4, s[0:1], v12, v24
	v_addc_co_u32_e64 v5, s[0:1], v13, v25, s[0:1]
	ds_write_b128 v1, v[2:5] offset:16
	ds_read_b128 v[2:5], v1 offset:112
	s_waitcnt lgkmcnt(2)
	v_add_co_u32_e64 v6, s[0:1], v14, v6
	v_addc_co_u32_e64 v7, s[0:1], v15, v7, s[0:1]
	v_add_co_u32_e64 v8, s[0:1], v16, v8
	v_addc_co_u32_e64 v9, s[0:1], v17, v9, s[0:1]
	s_waitcnt lgkmcnt(0)
	v_add_co_u32_e64 v2, s[0:1], v18, v2
	v_addc_co_u32_e64 v3, s[0:1], v19, v3, s[0:1]
	v_add_co_u32_e64 v4, s[0:1], v20, v4
	v_addc_co_u32_e64 v5, s[0:1], v21, v5, s[0:1]
	ds_write_b128 v1, v[6:9] offset:32
	ds_write_b128 v1, v[2:5] offset:48
.LBB145_43:
	s_or_b64 exec, exec, s[2:3]
	s_waitcnt lgkmcnt(0)
	s_barrier
	s_and_saveexec_b64 s[0:1], vcc
	s_cbranch_execz .LBB145_45
; %bb.44:
	v_lshl_or_b32 v2, s6, 3, v0
	v_lshlrev_b32_e32 v0, 3, v0
	ds_read_b64 v[0:1], v0
	v_mov_b32_e32 v3, 0
	v_lshlrev_b64 v[2:3], 3, v[2:3]
	v_mov_b32_e32 v4, s9
	v_add_co_u32_e32 v2, vcc, s8, v2
	v_addc_co_u32_e32 v3, vcc, v4, v3, vcc
	s_waitcnt lgkmcnt(0)
	global_store_dwordx2 v[2:3], v[0:1], off
.LBB145_45:
	s_endpgm
	.section	.rodata,"a",@progbits
	.p2align	6, 0x0
	.amdhsa_kernel _ZN9rocsparseL26bsrgemm_group_reduce_part2ILj256ELj8ELj2E21rocsparse_complex_numIdEllEEvT4_PKT3_PS3_Pi
		.amdhsa_group_segment_fixed_size 16384
		.amdhsa_private_segment_fixed_size 0
		.amdhsa_kernarg_size 288
		.amdhsa_user_sgpr_count 6
		.amdhsa_user_sgpr_private_segment_buffer 1
		.amdhsa_user_sgpr_dispatch_ptr 0
		.amdhsa_user_sgpr_queue_ptr 0
		.amdhsa_user_sgpr_kernarg_segment_ptr 1
		.amdhsa_user_sgpr_dispatch_id 0
		.amdhsa_user_sgpr_flat_scratch_init 0
		.amdhsa_user_sgpr_kernarg_preload_length 0
		.amdhsa_user_sgpr_kernarg_preload_offset 0
		.amdhsa_user_sgpr_private_segment_size 0
		.amdhsa_uses_dynamic_stack 0
		.amdhsa_system_sgpr_private_segment_wavefront_offset 0
		.amdhsa_system_sgpr_workgroup_id_x 1
		.amdhsa_system_sgpr_workgroup_id_y 0
		.amdhsa_system_sgpr_workgroup_id_z 0
		.amdhsa_system_sgpr_workgroup_info 0
		.amdhsa_system_vgpr_workitem_id 0
		.amdhsa_next_free_vgpr 26
		.amdhsa_next_free_sgpr 32
		.amdhsa_accum_offset 28
		.amdhsa_reserve_vcc 1
		.amdhsa_reserve_flat_scratch 0
		.amdhsa_float_round_mode_32 0
		.amdhsa_float_round_mode_16_64 0
		.amdhsa_float_denorm_mode_32 3
		.amdhsa_float_denorm_mode_16_64 3
		.amdhsa_dx10_clamp 1
		.amdhsa_ieee_mode 1
		.amdhsa_fp16_overflow 0
		.amdhsa_tg_split 0
		.amdhsa_exception_fp_ieee_invalid_op 0
		.amdhsa_exception_fp_denorm_src 0
		.amdhsa_exception_fp_ieee_div_zero 0
		.amdhsa_exception_fp_ieee_overflow 0
		.amdhsa_exception_fp_ieee_underflow 0
		.amdhsa_exception_fp_ieee_inexact 0
		.amdhsa_exception_int_div_zero 0
	.end_amdhsa_kernel
	.section	.text._ZN9rocsparseL26bsrgemm_group_reduce_part2ILj256ELj8ELj2E21rocsparse_complex_numIdEllEEvT4_PKT3_PS3_Pi,"axG",@progbits,_ZN9rocsparseL26bsrgemm_group_reduce_part2ILj256ELj8ELj2E21rocsparse_complex_numIdEllEEvT4_PKT3_PS3_Pi,comdat
.Lfunc_end145:
	.size	_ZN9rocsparseL26bsrgemm_group_reduce_part2ILj256ELj8ELj2E21rocsparse_complex_numIdEllEEvT4_PKT3_PS3_Pi, .Lfunc_end145-_ZN9rocsparseL26bsrgemm_group_reduce_part2ILj256ELj8ELj2E21rocsparse_complex_numIdEllEEvT4_PKT3_PS3_Pi
                                        ; -- End function
	.section	.AMDGPU.csdata,"",@progbits
; Kernel info:
; codeLenInByte = 2712
; NumSgprs: 36
; NumVgprs: 26
; NumAgprs: 0
; TotalNumVgprs: 26
; ScratchSize: 0
; MemoryBound: 0
; FloatMode: 240
; IeeeMode: 1
; LDSByteSize: 16384 bytes/workgroup (compile time only)
; SGPRBlocks: 4
; VGPRBlocks: 3
; NumSGPRsForWavesPerEU: 36
; NumVGPRsForWavesPerEU: 26
; AccumOffset: 28
; Occupancy: 4
; WaveLimiterHint : 0
; COMPUTE_PGM_RSRC2:SCRATCH_EN: 0
; COMPUTE_PGM_RSRC2:USER_SGPR: 6
; COMPUTE_PGM_RSRC2:TRAP_HANDLER: 0
; COMPUTE_PGM_RSRC2:TGID_X_EN: 1
; COMPUTE_PGM_RSRC2:TGID_Y_EN: 0
; COMPUTE_PGM_RSRC2:TGID_Z_EN: 0
; COMPUTE_PGM_RSRC2:TIDIG_COMP_CNT: 0
; COMPUTE_PGM_RSRC3_GFX90A:ACCUM_OFFSET: 6
; COMPUTE_PGM_RSRC3_GFX90A:TG_SPLIT: 0
	.section	.text._ZN9rocsparseL26bsrgemm_group_reduce_part2ILj256ELj8ELj8E21rocsparse_complex_numIdEllEEvT4_PKT3_PS3_Pi,"axG",@progbits,_ZN9rocsparseL26bsrgemm_group_reduce_part2ILj256ELj8ELj8E21rocsparse_complex_numIdEllEEvT4_PKT3_PS3_Pi,comdat
	.globl	_ZN9rocsparseL26bsrgemm_group_reduce_part2ILj256ELj8ELj8E21rocsparse_complex_numIdEllEEvT4_PKT3_PS3_Pi ; -- Begin function _ZN9rocsparseL26bsrgemm_group_reduce_part2ILj256ELj8ELj8E21rocsparse_complex_numIdEllEEvT4_PKT3_PS3_Pi
	.p2align	8
	.type	_ZN9rocsparseL26bsrgemm_group_reduce_part2ILj256ELj8ELj8E21rocsparse_complex_numIdEllEEvT4_PKT3_PS3_Pi,@function
_ZN9rocsparseL26bsrgemm_group_reduce_part2ILj256ELj8ELj8E21rocsparse_complex_numIdEllEEvT4_PKT3_PS3_Pi: ; @_ZN9rocsparseL26bsrgemm_group_reduce_part2ILj256ELj8ELj8E21rocsparse_complex_numIdEllEEvT4_PKT3_PS3_Pi
; %bb.0:
	s_load_dwordx2 s[10:11], s[4:5], 0x0
	s_load_dwordx2 s[8:9], s[4:5], 0x10
	s_mov_b32 s1, 0
	s_mov_b32 s2, s1
	;; [unrolled: 1-line block ×3, first 2 shown]
	v_lshl_or_b32 v2, s6, 8, v0
	s_mov_b32 s0, s1
	v_pk_mov_b32 v[6:7], s[2:3], s[2:3] op_sel:[0,1]
	v_mov_b32_e32 v3, 0
	v_lshlrev_b32_e32 v1, 6, v0
	v_pk_mov_b32 v[4:5], s[0:1], s[0:1] op_sel:[0,1]
	s_waitcnt lgkmcnt(0)
	v_cmp_gt_i64_e32 vcc, s[10:11], v[2:3]
	ds_write_b128 v1, v[4:7]
	ds_write_b128 v1, v[4:7] offset:16
	ds_write_b128 v1, v[4:7] offset:32
	;; [unrolled: 1-line block ×3, first 2 shown]
	s_waitcnt lgkmcnt(0)
	s_and_saveexec_b64 s[2:3], vcc
	s_cbranch_execz .LBB146_31
; %bb.1:
	s_load_dword s0, s[4:5], 0x20
	s_load_dwordx2 s[12:13], s[4:5], 0x18
	s_load_dwordx2 s[14:15], s[4:5], 0x8
	v_lshlrev_b64 v[4:5], 2, v[2:3]
	s_mov_b64 s[16:17], 0x80
	s_waitcnt lgkmcnt(0)
	s_lshl_b32 s0, s0, 8
	v_mov_b32_e32 v6, s13
	v_add_co_u32_e32 v4, vcc, s12, v4
	v_addc_co_u32_e32 v5, vcc, v6, v5, vcc
	v_lshlrev_b64 v[6:7], 3, v[2:3]
	s_lshl_b64 s[4:5], s[0:1], 2
	v_mov_b32_e32 v8, s15
	v_add_co_u32_e32 v6, vcc, s14, v6
	s_lshl_b64 s[12:13], s[0:1], 3
	v_addc_co_u32_e32 v7, vcc, v8, v7, vcc
	s_mov_b64 s[14:15], 0
	s_mov_b64 s[18:19], 0x100
	;; [unrolled: 1-line block ×3, first 2 shown]
	v_mov_b32_e32 v12, 7
	v_mov_b32_e32 v13, 6
	;; [unrolled: 1-line block ×10, first 2 shown]
	v_pk_mov_b32 v[8:9], v[2:3], v[2:3] op_sel:[0,1]
	s_branch .LBB146_3
.LBB146_2:                              ;   in Loop: Header=BB146_3 Depth=1
	s_or_b64 exec, exec, s[22:23]
	v_add_co_u32_e32 v8, vcc, s0, v8
	v_addc_co_u32_e32 v9, vcc, v9, v19, vcc
	v_add_co_u32_e32 v4, vcc, s4, v4
	v_addc_co_u32_e32 v5, vcc, v5, v20, vcc
	v_cmp_le_i64_e32 vcc, s[10:11], v[8:9]
	s_or_b64 s[14:15], vcc, s[14:15]
	v_add_co_u32_e32 v6, vcc, s12, v6
	v_addc_co_u32_e32 v7, vcc, v7, v21, vcc
	s_andn2_b64 exec, exec, s[14:15]
	s_cbranch_execz .LBB146_31
.LBB146_3:                              ; =>This Inner Loop Header: Depth=1
	global_load_dwordx4 v[22:25], v[6:7], off
	s_waitcnt vmcnt(0)
	v_sub_co_u32_e32 v10, vcc, v24, v22
	v_subb_co_u32_e32 v11, vcc, v25, v23, vcc
	v_cmp_lt_i64_e32 vcc, 8, v[10:11]
	s_and_saveexec_b64 s[22:23], vcc
	s_xor_b64 s[22:23], exec, s[22:23]
	s_cbranch_execz .LBB146_29
; %bb.4:                                ;   in Loop: Header=BB146_3 Depth=1
	v_cmp_lt_u64_e32 vcc, 16, v[10:11]
	s_and_saveexec_b64 s[24:25], vcc
	s_xor_b64 s[24:25], exec, s[24:25]
	s_cbranch_execz .LBB146_26
; %bb.5:                                ;   in Loop: Header=BB146_3 Depth=1
	v_cmp_lt_u64_e32 vcc, 32, v[10:11]
	;; [unrolled: 5-line block ×6, first 2 shown]
	s_and_saveexec_b64 s[36:37], vcc
	s_xor_b64 s[36:37], exec, s[36:37]
	s_cbranch_execz .LBB146_11
; %bb.10:                               ;   in Loop: Header=BB146_3 Depth=1
	ds_read_b64 v[10:11], v1 offset:56
	global_store_dword v[4:5], v12, off
	s_waitcnt lgkmcnt(0)
	v_add_co_u32_e32 v10, vcc, 1, v10
	v_addc_co_u32_e32 v11, vcc, 0, v11, vcc
	ds_write_b64 v1, v[10:11] offset:56
.LBB146_11:                             ;   in Loop: Header=BB146_3 Depth=1
	s_andn2_saveexec_b64 s[36:37], s[36:37]
	s_cbranch_execz .LBB146_13
; %bb.12:                               ;   in Loop: Header=BB146_3 Depth=1
	ds_read_b64 v[10:11], v1 offset:48
	global_store_dword v[4:5], v13, off
	s_waitcnt lgkmcnt(0)
	v_add_co_u32_e32 v10, vcc, 1, v10
	v_addc_co_u32_e32 v11, vcc, 0, v11, vcc
	ds_write_b64 v1, v[10:11] offset:48
.LBB146_13:                             ;   in Loop: Header=BB146_3 Depth=1
	s_or_b64 exec, exec, s[36:37]
.LBB146_14:                             ;   in Loop: Header=BB146_3 Depth=1
	s_andn2_saveexec_b64 s[34:35], s[34:35]
	s_cbranch_execz .LBB146_16
; %bb.15:                               ;   in Loop: Header=BB146_3 Depth=1
	ds_read_b64 v[10:11], v1 offset:40
	global_store_dword v[4:5], v14, off
	s_waitcnt lgkmcnt(0)
	v_add_co_u32_e32 v10, vcc, 1, v10
	v_addc_co_u32_e32 v11, vcc, 0, v11, vcc
	ds_write_b64 v1, v[10:11] offset:40
.LBB146_16:                             ;   in Loop: Header=BB146_3 Depth=1
	s_or_b64 exec, exec, s[34:35]
.LBB146_17:                             ;   in Loop: Header=BB146_3 Depth=1
	s_andn2_saveexec_b64 s[30:31], s[30:31]
	s_cbranch_execz .LBB146_19
; %bb.18:                               ;   in Loop: Header=BB146_3 Depth=1
	ds_read_b64 v[10:11], v1 offset:32
	global_store_dword v[4:5], v15, off
	s_waitcnt lgkmcnt(0)
	v_add_co_u32_e32 v10, vcc, 1, v10
	v_addc_co_u32_e32 v11, vcc, 0, v11, vcc
	ds_write_b64 v1, v[10:11] offset:32
.LBB146_19:                             ;   in Loop: Header=BB146_3 Depth=1
	s_or_b64 exec, exec, s[30:31]
.LBB146_20:                             ;   in Loop: Header=BB146_3 Depth=1
	s_andn2_saveexec_b64 s[28:29], s[28:29]
	s_cbranch_execz .LBB146_22
; %bb.21:                               ;   in Loop: Header=BB146_3 Depth=1
	ds_read_b64 v[10:11], v1 offset:24
	global_store_dword v[4:5], v16, off
	s_waitcnt lgkmcnt(0)
	v_add_co_u32_e32 v10, vcc, 1, v10
	v_addc_co_u32_e32 v11, vcc, 0, v11, vcc
	ds_write_b64 v1, v[10:11] offset:24
.LBB146_22:                             ;   in Loop: Header=BB146_3 Depth=1
	s_or_b64 exec, exec, s[28:29]
.LBB146_23:                             ;   in Loop: Header=BB146_3 Depth=1
	s_andn2_saveexec_b64 s[26:27], s[26:27]
	s_cbranch_execz .LBB146_25
; %bb.24:                               ;   in Loop: Header=BB146_3 Depth=1
	ds_read_b64 v[10:11], v1 offset:16
	global_store_dword v[4:5], v17, off
	s_waitcnt lgkmcnt(0)
	v_add_co_u32_e32 v10, vcc, 1, v10
	v_addc_co_u32_e32 v11, vcc, 0, v11, vcc
	ds_write_b64 v1, v[10:11] offset:16
.LBB146_25:                             ;   in Loop: Header=BB146_3 Depth=1
	s_or_b64 exec, exec, s[26:27]
.LBB146_26:                             ;   in Loop: Header=BB146_3 Depth=1
	s_andn2_saveexec_b64 s[24:25], s[24:25]
	s_cbranch_execz .LBB146_28
; %bb.27:                               ;   in Loop: Header=BB146_3 Depth=1
	ds_read_b64 v[10:11], v1 offset:8
	global_store_dword v[4:5], v18, off
	s_waitcnt lgkmcnt(0)
	v_add_co_u32_e32 v10, vcc, 1, v10
	v_addc_co_u32_e32 v11, vcc, 0, v11, vcc
	ds_write_b64 v1, v[10:11] offset:8
.LBB146_28:                             ;   in Loop: Header=BB146_3 Depth=1
	s_or_b64 exec, exec, s[24:25]
.LBB146_29:                             ;   in Loop: Header=BB146_3 Depth=1
	s_andn2_saveexec_b64 s[22:23], s[22:23]
	s_cbranch_execz .LBB146_2
; %bb.30:                               ;   in Loop: Header=BB146_3 Depth=1
	ds_read_b64 v[10:11], v1
	global_store_dword v[4:5], v3, off
	s_waitcnt lgkmcnt(0)
	v_add_co_u32_e32 v10, vcc, 1, v10
	v_addc_co_u32_e32 v11, vcc, 0, v11, vcc
	ds_write_b64 v1, v[10:11]
	s_branch .LBB146_2
.LBB146_31:
	s_or_b64 exec, exec, s[2:3]
	s_movk_i32 s0, 0x80
	v_cmp_gt_u32_e32 vcc, s0, v0
	s_waitcnt lgkmcnt(0)
	s_barrier
	s_barrier
	;; [unrolled: 1-line block ×3, first 2 shown]
	s_and_saveexec_b64 s[0:1], vcc
	s_cbranch_execz .LBB146_33
; %bb.32:
	ds_read_b128 v[2:5], v1 offset:8192
	ds_read_b128 v[6:9], v1
	ds_read_b128 v[10:13], v1 offset:16
	ds_read_b128 v[14:17], v1 offset:32
	ds_read_b128 v[18:21], v1 offset:48
	ds_read_b128 v[22:25], v1 offset:8208
	s_waitcnt lgkmcnt(4)
	v_add_co_u32_e32 v2, vcc, v6, v2
	v_addc_co_u32_e32 v3, vcc, v7, v3, vcc
	v_add_co_u32_e32 v4, vcc, v8, v4
	v_addc_co_u32_e32 v5, vcc, v9, v5, vcc
	ds_write_b128 v1, v[2:5]
	s_waitcnt lgkmcnt(1)
	v_add_co_u32_e32 v2, vcc, v10, v22
	ds_read_b128 v[6:9], v1 offset:8224
	v_addc_co_u32_e32 v3, vcc, v11, v23, vcc
	v_add_co_u32_e32 v4, vcc, v12, v24
	v_addc_co_u32_e32 v5, vcc, v13, v25, vcc
	ds_write_b128 v1, v[2:5] offset:16
	ds_read_b128 v[2:5], v1 offset:8240
	s_waitcnt lgkmcnt(2)
	v_add_co_u32_e32 v6, vcc, v14, v6
	v_addc_co_u32_e32 v7, vcc, v15, v7, vcc
	v_add_co_u32_e32 v8, vcc, v16, v8
	v_addc_co_u32_e32 v9, vcc, v17, v9, vcc
	s_waitcnt lgkmcnt(0)
	v_add_co_u32_e32 v2, vcc, v18, v2
	v_addc_co_u32_e32 v3, vcc, v19, v3, vcc
	v_add_co_u32_e32 v4, vcc, v20, v4
	v_addc_co_u32_e32 v5, vcc, v21, v5, vcc
	ds_write_b128 v1, v[6:9] offset:32
	ds_write_b128 v1, v[2:5] offset:48
.LBB146_33:
	s_or_b64 exec, exec, s[0:1]
	v_cmp_gt_u32_e32 vcc, 64, v0
	s_waitcnt lgkmcnt(0)
	s_barrier
	s_and_saveexec_b64 s[0:1], vcc
	s_cbranch_execz .LBB146_35
; %bb.34:
	ds_read_b128 v[2:5], v1 offset:4096
	ds_read_b128 v[6:9], v1
	ds_read_b128 v[10:13], v1 offset:16
	ds_read_b128 v[14:17], v1 offset:32
	ds_read_b128 v[18:21], v1 offset:48
	ds_read_b128 v[22:25], v1 offset:4112
	s_waitcnt lgkmcnt(4)
	v_add_co_u32_e32 v2, vcc, v6, v2
	v_addc_co_u32_e32 v3, vcc, v7, v3, vcc
	v_add_co_u32_e32 v4, vcc, v8, v4
	v_addc_co_u32_e32 v5, vcc, v9, v5, vcc
	ds_write_b128 v1, v[2:5]
	s_waitcnt lgkmcnt(1)
	v_add_co_u32_e32 v2, vcc, v10, v22
	ds_read_b128 v[6:9], v1 offset:4128
	v_addc_co_u32_e32 v3, vcc, v11, v23, vcc
	v_add_co_u32_e32 v4, vcc, v12, v24
	v_addc_co_u32_e32 v5, vcc, v13, v25, vcc
	ds_write_b128 v1, v[2:5] offset:16
	ds_read_b128 v[2:5], v1 offset:4144
	s_waitcnt lgkmcnt(2)
	v_add_co_u32_e32 v6, vcc, v14, v6
	v_addc_co_u32_e32 v7, vcc, v15, v7, vcc
	v_add_co_u32_e32 v8, vcc, v16, v8
	v_addc_co_u32_e32 v9, vcc, v17, v9, vcc
	s_waitcnt lgkmcnt(0)
	v_add_co_u32_e32 v2, vcc, v18, v2
	v_addc_co_u32_e32 v3, vcc, v19, v3, vcc
	v_add_co_u32_e32 v4, vcc, v20, v4
	v_addc_co_u32_e32 v5, vcc, v21, v5, vcc
	ds_write_b128 v1, v[6:9] offset:32
	ds_write_b128 v1, v[2:5] offset:48
.LBB146_35:
	s_or_b64 exec, exec, s[0:1]
	v_cmp_gt_u32_e32 vcc, 32, v0
	s_waitcnt lgkmcnt(0)
	s_barrier
	;; [unrolled: 40-line block ×4, first 2 shown]
	s_and_saveexec_b64 s[2:3], vcc
	s_cbranch_execz .LBB146_41
; %bb.40:
	ds_read_b128 v[2:5], v1 offset:512
	ds_read_b128 v[6:9], v1
	ds_read_b128 v[10:13], v1 offset:16
	ds_read_b128 v[14:17], v1 offset:32
	;; [unrolled: 1-line block ×4, first 2 shown]
	s_waitcnt lgkmcnt(4)
	v_add_co_u32_e64 v2, s[0:1], v6, v2
	v_addc_co_u32_e64 v3, s[0:1], v7, v3, s[0:1]
	v_add_co_u32_e64 v4, s[0:1], v8, v4
	v_addc_co_u32_e64 v5, s[0:1], v9, v5, s[0:1]
	ds_write_b128 v1, v[2:5]
	s_waitcnt lgkmcnt(1)
	v_add_co_u32_e64 v2, s[0:1], v10, v22
	ds_read_b128 v[6:9], v1 offset:544
	v_addc_co_u32_e64 v3, s[0:1], v11, v23, s[0:1]
	v_add_co_u32_e64 v4, s[0:1], v12, v24
	v_addc_co_u32_e64 v5, s[0:1], v13, v25, s[0:1]
	ds_write_b128 v1, v[2:5] offset:16
	ds_read_b128 v[2:5], v1 offset:560
	s_waitcnt lgkmcnt(2)
	v_add_co_u32_e64 v6, s[0:1], v14, v6
	v_addc_co_u32_e64 v7, s[0:1], v15, v7, s[0:1]
	v_add_co_u32_e64 v8, s[0:1], v16, v8
	v_addc_co_u32_e64 v9, s[0:1], v17, v9, s[0:1]
	s_waitcnt lgkmcnt(0)
	v_add_co_u32_e64 v2, s[0:1], v18, v2
	v_addc_co_u32_e64 v3, s[0:1], v19, v3, s[0:1]
	v_add_co_u32_e64 v4, s[0:1], v20, v4
	v_addc_co_u32_e64 v5, s[0:1], v21, v5, s[0:1]
	ds_write_b128 v1, v[6:9] offset:32
	ds_write_b128 v1, v[2:5] offset:48
.LBB146_41:
	s_or_b64 exec, exec, s[2:3]
	v_cmp_gt_u32_e64 s[0:1], 4, v0
	s_waitcnt lgkmcnt(0)
	s_barrier
	s_and_saveexec_b64 s[2:3], s[0:1]
	s_cbranch_execz .LBB146_43
; %bb.42:
	ds_read_b128 v[2:5], v1 offset:256
	ds_read_b128 v[6:9], v1
	ds_read_b128 v[10:13], v1 offset:16
	ds_read_b128 v[14:17], v1 offset:32
	;; [unrolled: 1-line block ×4, first 2 shown]
	s_waitcnt lgkmcnt(4)
	v_add_co_u32_e64 v2, s[0:1], v6, v2
	v_addc_co_u32_e64 v3, s[0:1], v7, v3, s[0:1]
	v_add_co_u32_e64 v4, s[0:1], v8, v4
	v_addc_co_u32_e64 v5, s[0:1], v9, v5, s[0:1]
	ds_write_b128 v1, v[2:5]
	s_waitcnt lgkmcnt(1)
	v_add_co_u32_e64 v2, s[0:1], v10, v22
	ds_read_b128 v[6:9], v1 offset:288
	v_addc_co_u32_e64 v3, s[0:1], v11, v23, s[0:1]
	v_add_co_u32_e64 v4, s[0:1], v12, v24
	v_addc_co_u32_e64 v5, s[0:1], v13, v25, s[0:1]
	ds_write_b128 v1, v[2:5] offset:16
	ds_read_b128 v[2:5], v1 offset:304
	s_waitcnt lgkmcnt(2)
	v_add_co_u32_e64 v6, s[0:1], v14, v6
	v_addc_co_u32_e64 v7, s[0:1], v15, v7, s[0:1]
	v_add_co_u32_e64 v8, s[0:1], v16, v8
	v_addc_co_u32_e64 v9, s[0:1], v17, v9, s[0:1]
	s_waitcnt lgkmcnt(0)
	v_add_co_u32_e64 v2, s[0:1], v18, v2
	v_addc_co_u32_e64 v3, s[0:1], v19, v3, s[0:1]
	v_add_co_u32_e64 v4, s[0:1], v20, v4
	v_addc_co_u32_e64 v5, s[0:1], v21, v5, s[0:1]
	ds_write_b128 v1, v[6:9] offset:32
	ds_write_b128 v1, v[2:5] offset:48
.LBB146_43:
	s_or_b64 exec, exec, s[2:3]
	v_cmp_gt_u32_e64 s[0:1], 2, v0
	s_waitcnt lgkmcnt(0)
	s_barrier
	s_and_saveexec_b64 s[2:3], s[0:1]
	s_cbranch_execz .LBB146_45
; %bb.44:
	ds_read_b128 v[2:5], v1 offset:128
	ds_read_b128 v[6:9], v1
	ds_read_b128 v[10:13], v1 offset:16
	ds_read_b128 v[14:17], v1 offset:32
	;; [unrolled: 1-line block ×4, first 2 shown]
	s_waitcnt lgkmcnt(4)
	v_add_co_u32_e64 v2, s[0:1], v6, v2
	v_addc_co_u32_e64 v3, s[0:1], v7, v3, s[0:1]
	v_add_co_u32_e64 v4, s[0:1], v8, v4
	v_addc_co_u32_e64 v5, s[0:1], v9, v5, s[0:1]
	ds_write_b128 v1, v[2:5]
	s_waitcnt lgkmcnt(1)
	v_add_co_u32_e64 v2, s[0:1], v10, v22
	ds_read_b128 v[6:9], v1 offset:160
	v_addc_co_u32_e64 v3, s[0:1], v11, v23, s[0:1]
	v_add_co_u32_e64 v4, s[0:1], v12, v24
	v_addc_co_u32_e64 v5, s[0:1], v13, v25, s[0:1]
	ds_write_b128 v1, v[2:5] offset:16
	ds_read_b128 v[2:5], v1 offset:176
	s_waitcnt lgkmcnt(2)
	v_add_co_u32_e64 v6, s[0:1], v14, v6
	v_addc_co_u32_e64 v7, s[0:1], v15, v7, s[0:1]
	v_add_co_u32_e64 v8, s[0:1], v16, v8
	v_addc_co_u32_e64 v9, s[0:1], v17, v9, s[0:1]
	s_waitcnt lgkmcnt(0)
	v_add_co_u32_e64 v2, s[0:1], v18, v2
	v_addc_co_u32_e64 v3, s[0:1], v19, v3, s[0:1]
	v_add_co_u32_e64 v4, s[0:1], v20, v4
	v_addc_co_u32_e64 v5, s[0:1], v21, v5, s[0:1]
	ds_write_b128 v1, v[6:9] offset:32
	ds_write_b128 v1, v[2:5] offset:48
.LBB146_45:
	s_or_b64 exec, exec, s[2:3]
	v_cmp_eq_u32_e64 s[0:1], 0, v0
	s_waitcnt lgkmcnt(0)
	s_barrier
	s_and_saveexec_b64 s[2:3], s[0:1]
	s_cbranch_execz .LBB146_47
; %bb.46:
	v_mov_b32_e32 v1, 0
	ds_read_b128 v[2:5], v1 offset:64
	ds_read_b128 v[6:9], v1
	ds_read_b128 v[10:13], v1 offset:16
	ds_read_b128 v[14:17], v1 offset:32
	;; [unrolled: 1-line block ×4, first 2 shown]
	s_waitcnt lgkmcnt(4)
	v_add_co_u32_e64 v2, s[0:1], v6, v2
	v_addc_co_u32_e64 v3, s[0:1], v7, v3, s[0:1]
	v_add_co_u32_e64 v4, s[0:1], v8, v4
	v_addc_co_u32_e64 v5, s[0:1], v9, v5, s[0:1]
	ds_write_b128 v1, v[2:5]
	s_waitcnt lgkmcnt(1)
	v_add_co_u32_e64 v2, s[0:1], v10, v22
	ds_read_b128 v[6:9], v1 offset:96
	v_addc_co_u32_e64 v3, s[0:1], v11, v23, s[0:1]
	v_add_co_u32_e64 v4, s[0:1], v12, v24
	v_addc_co_u32_e64 v5, s[0:1], v13, v25, s[0:1]
	ds_write_b128 v1, v[2:5] offset:16
	ds_read_b128 v[2:5], v1 offset:112
	s_waitcnt lgkmcnt(2)
	v_add_co_u32_e64 v6, s[0:1], v14, v6
	v_addc_co_u32_e64 v7, s[0:1], v15, v7, s[0:1]
	v_add_co_u32_e64 v8, s[0:1], v16, v8
	v_addc_co_u32_e64 v9, s[0:1], v17, v9, s[0:1]
	s_waitcnt lgkmcnt(0)
	v_add_co_u32_e64 v2, s[0:1], v18, v2
	v_addc_co_u32_e64 v3, s[0:1], v19, v3, s[0:1]
	v_add_co_u32_e64 v4, s[0:1], v20, v4
	v_addc_co_u32_e64 v5, s[0:1], v21, v5, s[0:1]
	ds_write_b128 v1, v[6:9] offset:32
	ds_write_b128 v1, v[2:5] offset:48
.LBB146_47:
	s_or_b64 exec, exec, s[2:3]
	s_waitcnt lgkmcnt(0)
	s_barrier
	s_and_saveexec_b64 s[0:1], vcc
	s_cbranch_execz .LBB146_49
; %bb.48:
	v_lshl_or_b32 v2, s6, 3, v0
	v_lshlrev_b32_e32 v0, 3, v0
	ds_read_b64 v[0:1], v0
	v_mov_b32_e32 v3, 0
	v_lshlrev_b64 v[2:3], 3, v[2:3]
	v_mov_b32_e32 v4, s9
	v_add_co_u32_e32 v2, vcc, s8, v2
	v_addc_co_u32_e32 v3, vcc, v4, v3, vcc
	s_waitcnt lgkmcnt(0)
	global_store_dwordx2 v[2:3], v[0:1], off
.LBB146_49:
	s_endpgm
	.section	.rodata,"a",@progbits
	.p2align	6, 0x0
	.amdhsa_kernel _ZN9rocsparseL26bsrgemm_group_reduce_part2ILj256ELj8ELj8E21rocsparse_complex_numIdEllEEvT4_PKT3_PS3_Pi
		.amdhsa_group_segment_fixed_size 16384
		.amdhsa_private_segment_fixed_size 0
		.amdhsa_kernarg_size 288
		.amdhsa_user_sgpr_count 6
		.amdhsa_user_sgpr_private_segment_buffer 1
		.amdhsa_user_sgpr_dispatch_ptr 0
		.amdhsa_user_sgpr_queue_ptr 0
		.amdhsa_user_sgpr_kernarg_segment_ptr 1
		.amdhsa_user_sgpr_dispatch_id 0
		.amdhsa_user_sgpr_flat_scratch_init 0
		.amdhsa_user_sgpr_kernarg_preload_length 0
		.amdhsa_user_sgpr_kernarg_preload_offset 0
		.amdhsa_user_sgpr_private_segment_size 0
		.amdhsa_uses_dynamic_stack 0
		.amdhsa_system_sgpr_private_segment_wavefront_offset 0
		.amdhsa_system_sgpr_workgroup_id_x 1
		.amdhsa_system_sgpr_workgroup_id_y 0
		.amdhsa_system_sgpr_workgroup_id_z 0
		.amdhsa_system_sgpr_workgroup_info 0
		.amdhsa_system_vgpr_workitem_id 0
		.amdhsa_next_free_vgpr 26
		.amdhsa_next_free_sgpr 38
		.amdhsa_accum_offset 28
		.amdhsa_reserve_vcc 1
		.amdhsa_reserve_flat_scratch 0
		.amdhsa_float_round_mode_32 0
		.amdhsa_float_round_mode_16_64 0
		.amdhsa_float_denorm_mode_32 3
		.amdhsa_float_denorm_mode_16_64 3
		.amdhsa_dx10_clamp 1
		.amdhsa_ieee_mode 1
		.amdhsa_fp16_overflow 0
		.amdhsa_tg_split 0
		.amdhsa_exception_fp_ieee_invalid_op 0
		.amdhsa_exception_fp_denorm_src 0
		.amdhsa_exception_fp_ieee_div_zero 0
		.amdhsa_exception_fp_ieee_overflow 0
		.amdhsa_exception_fp_ieee_underflow 0
		.amdhsa_exception_fp_ieee_inexact 0
		.amdhsa_exception_int_div_zero 0
	.end_amdhsa_kernel
	.section	.text._ZN9rocsparseL26bsrgemm_group_reduce_part2ILj256ELj8ELj8E21rocsparse_complex_numIdEllEEvT4_PKT3_PS3_Pi,"axG",@progbits,_ZN9rocsparseL26bsrgemm_group_reduce_part2ILj256ELj8ELj8E21rocsparse_complex_numIdEllEEvT4_PKT3_PS3_Pi,comdat
.Lfunc_end146:
	.size	_ZN9rocsparseL26bsrgemm_group_reduce_part2ILj256ELj8ELj8E21rocsparse_complex_numIdEllEEvT4_PKT3_PS3_Pi, .Lfunc_end146-_ZN9rocsparseL26bsrgemm_group_reduce_part2ILj256ELj8ELj8E21rocsparse_complex_numIdEllEEvT4_PKT3_PS3_Pi
                                        ; -- End function
	.section	.AMDGPU.csdata,"",@progbits
; Kernel info:
; codeLenInByte = 2788
; NumSgprs: 42
; NumVgprs: 26
; NumAgprs: 0
; TotalNumVgprs: 26
; ScratchSize: 0
; MemoryBound: 0
; FloatMode: 240
; IeeeMode: 1
; LDSByteSize: 16384 bytes/workgroup (compile time only)
; SGPRBlocks: 5
; VGPRBlocks: 3
; NumSGPRsForWavesPerEU: 42
; NumVGPRsForWavesPerEU: 26
; AccumOffset: 28
; Occupancy: 4
; WaveLimiterHint : 0
; COMPUTE_PGM_RSRC2:SCRATCH_EN: 0
; COMPUTE_PGM_RSRC2:USER_SGPR: 6
; COMPUTE_PGM_RSRC2:TRAP_HANDLER: 0
; COMPUTE_PGM_RSRC2:TGID_X_EN: 1
; COMPUTE_PGM_RSRC2:TGID_Y_EN: 0
; COMPUTE_PGM_RSRC2:TGID_Z_EN: 0
; COMPUTE_PGM_RSRC2:TIDIG_COMP_CNT: 0
; COMPUTE_PGM_RSRC3_GFX90A:ACCUM_OFFSET: 6
; COMPUTE_PGM_RSRC3_GFX90A:TG_SPLIT: 0
	.section	.text._ZN9rocsparseL27bsrgemm_fill_wf_per_row_2x2ILj256ELj16ELj8ELj137Ell21rocsparse_complex_numIdEEEv20rocsparse_direction_T4_S4_PKS4_S6_NS_24const_host_device_scalarIT5_EEPKT3_S6_PKS8_SC_S6_SE_S9_SC_S6_SE_SC_PS4_PS8_21rocsparse_index_base_SH_SH_SH_bbb,"axG",@progbits,_ZN9rocsparseL27bsrgemm_fill_wf_per_row_2x2ILj256ELj16ELj8ELj137Ell21rocsparse_complex_numIdEEEv20rocsparse_direction_T4_S4_PKS4_S6_NS_24const_host_device_scalarIT5_EEPKT3_S6_PKS8_SC_S6_SE_S9_SC_S6_SE_SC_PS4_PS8_21rocsparse_index_base_SH_SH_SH_bbb,comdat
	.globl	_ZN9rocsparseL27bsrgemm_fill_wf_per_row_2x2ILj256ELj16ELj8ELj137Ell21rocsparse_complex_numIdEEEv20rocsparse_direction_T4_S4_PKS4_S6_NS_24const_host_device_scalarIT5_EEPKT3_S6_PKS8_SC_S6_SE_S9_SC_S6_SE_SC_PS4_PS8_21rocsparse_index_base_SH_SH_SH_bbb ; -- Begin function _ZN9rocsparseL27bsrgemm_fill_wf_per_row_2x2ILj256ELj16ELj8ELj137Ell21rocsparse_complex_numIdEEEv20rocsparse_direction_T4_S4_PKS4_S6_NS_24const_host_device_scalarIT5_EEPKT3_S6_PKS8_SC_S6_SE_S9_SC_S6_SE_SC_PS4_PS8_21rocsparse_index_base_SH_SH_SH_bbb
	.p2align	8
	.type	_ZN9rocsparseL27bsrgemm_fill_wf_per_row_2x2ILj256ELj16ELj8ELj137Ell21rocsparse_complex_numIdEEEv20rocsparse_direction_T4_S4_PKS4_S6_NS_24const_host_device_scalarIT5_EEPKT3_S6_PKS8_SC_S6_SE_S9_SC_S6_SE_SC_PS4_PS8_21rocsparse_index_base_SH_SH_SH_bbb,@function
_ZN9rocsparseL27bsrgemm_fill_wf_per_row_2x2ILj256ELj16ELj8ELj137Ell21rocsparse_complex_numIdEEEv20rocsparse_direction_T4_S4_PKS4_S6_NS_24const_host_device_scalarIT5_EEPKT3_S6_PKS8_SC_S6_SE_S9_SC_S6_SE_SC_PS4_PS8_21rocsparse_index_base_SH_SH_SH_bbb: ; @_ZN9rocsparseL27bsrgemm_fill_wf_per_row_2x2ILj256ELj16ELj8ELj137Ell21rocsparse_complex_numIdEEEv20rocsparse_direction_T4_S4_PKS4_S6_NS_24const_host_device_scalarIT5_EEPKT3_S6_PKS8_SC_S6_SE_S9_SC_S6_SE_SC_PS4_PS8_21rocsparse_index_base_SH_SH_SH_bbb
; %bb.0:
	s_add_u32 flat_scratch_lo, s6, s9
	s_addc_u32 flat_scratch_hi, s7, 0
	s_add_u32 s0, s0, s9
	s_load_dword s9, s[4:5], 0xb8
	s_load_dwordx4 s[16:19], s[4:5], 0x28
	s_load_dwordx4 s[12:15], s[4:5], 0x68
	s_addc_u32 s1, s1, 0
	v_pk_mov_b32 v[16:17], 0, 0
	s_waitcnt lgkmcnt(0)
	s_bitcmp1_b32 s9, 0
	v_mov_b32_e32 v1, s17
	s_cselect_b64 s[52:53], -1, 0
	s_bitcmp1_b32 s9, 16
	buffer_store_dword v1, off, s[0:3], 0 offset:4
	v_mov_b32_e32 v1, s16
	s_cselect_b64 s[6:7], -1, 0
	buffer_store_dword v1, off, s[0:3], 0
	v_mov_b32_e32 v1, s13
	buffer_store_dword v1, off, s[0:3], 0 offset:12
	v_mov_b32_e32 v1, s12
	s_xor_b64 s[10:11], s[6:7], -1
	buffer_store_dword v1, off, s[0:3], 0 offset:8
	v_cndmask_b32_e64 v1, 0, 1, s[10:11]
	s_bitcmp0_b32 s9, 0
	v_cmp_ne_u32_e64 s[10:11], 1, v1
	v_pk_mov_b32 v[22:23], v[16:17], v[16:17] op_sel:[0,1]
	v_pk_mov_b32 v[24:25], v[16:17], v[16:17] op_sel:[0,1]
	s_cbranch_scc1 .LBB147_3
; %bb.1:
	s_mov_b64 s[20:21], src_private_base
	s_and_b64 s[22:23], s[6:7], exec
	s_cselect_b32 s20, s21, s17
	v_mov_b32_e32 v1, 0
	v_mov_b32_e32 v2, s16
	v_cndmask_b32_e64 v2, v2, v1, s[6:7]
	v_mov_b32_e32 v3, s20
	flat_load_dwordx2 v[22:23], v[2:3]
	s_and_b64 vcc, exec, s[10:11]
	v_pk_mov_b32 v[24:25], s[18:19], s[18:19] op_sel:[0,1]
	s_cbranch_vccnz .LBB147_3
; %bb.2:
	v_pk_mov_b32 v[2:3], s[16:17], s[16:17] op_sel:[0,1]
	flat_load_dwordx2 v[24:25], v[2:3] offset:8
.LBB147_3:
	s_load_dwordx4 s[28:31], s[4:5], 0xa8
	s_bitcmp1_b32 s9, 8
	s_cselect_b64 s[34:35], -1, 0
	s_bfe_u32 s9, s9, 0x10008
	s_cmp_eq_u32 s9, 0
	v_pk_mov_b32 v[18:19], v[16:17], v[16:17] op_sel:[0,1]
	s_cbranch_scc1 .LBB147_6
; %bb.4:
	s_mov_b64 s[16:17], src_private_base
	s_and_b64 s[18:19], s[6:7], exec
	s_cselect_b32 s9, s17, s13
	v_mov_b32_e32 v1, 8
	v_mov_b32_e32 v2, s12
	v_cndmask_b32_e64 v2, v2, v1, s[6:7]
	v_mov_b32_e32 v3, s9
	flat_load_dwordx2 v[18:19], v[2:3]
	s_and_b64 vcc, exec, s[10:11]
	v_pk_mov_b32 v[16:17], s[14:15], s[14:15] op_sel:[0,1]
	s_cbranch_vccnz .LBB147_6
; %bb.5:
	v_pk_mov_b32 v[2:3], s[12:13], s[12:13] op_sel:[0,1]
	flat_load_dwordx2 v[16:17], v[2:3] offset:8
.LBB147_6:
	s_load_dwordx4 s[44:47], s[4:5], 0x98
	s_load_dwordx8 s[12:19], s[4:5], 0x78
	s_load_dwordx4 s[48:51], s[4:5], 0x58
	s_load_dwordx8 s[20:27], s[4:5], 0x8
	s_load_dwordx8 s[36:43], s[4:5], 0x38
	v_and_b32_e32 v53, 15, v0
	v_lshrrev_b32_e32 v4, 4, v0
	v_mov_b32_e32 v0, 0x2000
	v_lshl_or_b32 v62, v4, 6, v0
	v_cmp_gt_u32_e64 s[6:7], 8, v53
	s_and_saveexec_b64 s[10:11], s[6:7]
	s_cbranch_execz .LBB147_8
; %bb.7:
	v_lshl_add_u32 v2, v53, 3, v62
	s_waitcnt lgkmcnt(0)
	v_pk_mov_b32 v[0:1], s[22:23], s[22:23] op_sel:[0,1]
	ds_write_b64 v2, v[0:1]
.LBB147_8:
	s_or_b64 exec, exec, s[10:11]
	v_lshlrev_b32_e32 v0, 4, v53
	v_lshl_or_b32 v6, v4, 9, v0
	v_mov_b32_e32 v0, 0
	v_or_b32_e32 v5, -16, v53
	s_mov_b64 s[10:11], 0
	v_mov_b32_e32 v1, v0
	v_mov_b32_e32 v2, v0
	;; [unrolled: 1-line block ×3, first 2 shown]
.LBB147_9:                              ; =>This Inner Loop Header: Depth=1
	v_add_co_u32_e32 v5, vcc, 16, v5
	s_xor_b64 s[54:55], vcc, -1
	s_and_b64 s[54:55], exec, s[54:55]
	ds_write_b128 v6, v[0:3]
	s_or_b64 s[10:11], s[54:55], s[10:11]
	v_add_u32_e32 v6, 0x100, v6
	s_andn2_b64 exec, exec, s[10:11]
	s_cbranch_execnz .LBB147_9
; %bb.10:
	s_or_b64 exec, exec, s[10:11]
	v_lshl_or_b32 v20, s8, 4, v4
	v_mov_b32_e32 v21, 0
	s_waitcnt lgkmcnt(0)
	v_cmp_gt_i64_e32 vcc, s[20:21], v[20:21]
	s_barrier
	s_and_saveexec_b64 s[8:9], vcc
	s_cbranch_execz .LBB147_16
; %bb.11:
	s_cmp_eq_u64 s[26:27], 0
	s_cbranch_scc1 .LBB147_13
; %bb.12:
	s_load_dwordx2 s[8:9], s[24:25], 0x0
	v_lshlrev_b64 v[0:1], 3, v[20:21]
	s_waitcnt lgkmcnt(0)
	s_lshl_b64 s[8:9], s[8:9], 3
	s_add_u32 s8, s26, s8
	s_addc_u32 s9, s27, s9
	v_mov_b32_e32 v2, s9
	v_add_co_u32_e32 v0, vcc, s8, v0
	v_addc_co_u32_e32 v1, vcc, v2, v1, vcc
	global_load_dwordx2 v[20:21], v[0:1], off
.LBB147_13:
	s_load_dword s33, s[4:5], 0x0
	s_andn2_b64 vcc, exec, s[52:53]
	v_lshlrev_b32_e32 v63, 9, v4
	s_cbranch_vccz .LBB147_17
; %bb.14:
	s_andn2_b64 vcc, exec, s[34:35]
	s_waitcnt lgkmcnt(0)
	s_cbranch_vccz .LBB147_72
.LBB147_15:
	s_and_b64 exec, exec, s[6:7]
	s_cbranch_execnz .LBB147_124
.LBB147_16:
	s_endpgm
.LBB147_17:
	s_waitcnt vmcnt(0)
	v_lshlrev_b64 v[0:1], 3, v[20:21]
	v_mov_b32_e32 v2, s37
	v_add_co_u32_e32 v0, vcc, s36, v0
	v_addc_co_u32_e32 v1, vcc, v2, v1, vcc
	global_load_dwordx4 v[0:3], v[0:1], off
	v_subrev_co_u32_e32 v4, vcc, s28, v53
	v_subb_co_u32_e64 v5, s[4:5], 0, 0, vcc
	s_mov_b32 s10, 0
	s_waitcnt vmcnt(0)
	v_subrev_co_u32_e32 v26, vcc, s28, v2
	v_subbrev_co_u32_e32 v27, vcc, 0, v3, vcc
	v_add_co_u32_e32 v28, vcc, v0, v4
	v_addc_co_u32_e32 v29, vcc, v1, v5, vcc
	v_cmp_lt_i64_e32 vcc, v[28:29], v[26:27]
	s_and_saveexec_b64 s[4:5], vcc
	s_cbranch_execz .LBB147_71
; %bb.18:
	s_waitcnt lgkmcnt(0)
	s_cmp_eq_u32 s33, 0
	s_mov_b32 s56, s28
	s_mov_b32 s57, s29
	;; [unrolled: 1-line block ×3, first 2 shown]
	s_cselect_b32 s59, 1, 2
	s_cselect_b32 s60, 2, 1
	s_mov_b64 s[8:9], 0
	v_mov_b32_e32 v64, s39
	v_mov_b32_e32 v65, s10
	;; [unrolled: 1-line block ×3, first 2 shown]
	s_branch .LBB147_20
.LBB147_19:                             ;   in Loop: Header=BB147_20 Depth=1
	s_or_b64 exec, exec, s[10:11]
	v_add_co_u32_e32 v28, vcc, 16, v28
	v_addc_co_u32_e32 v29, vcc, 0, v29, vcc
	v_cmp_ge_i64_e32 vcc, v[28:29], v[26:27]
	s_or_b64 s[8:9], vcc, s[8:9]
	s_andn2_b64 exec, exec, s[8:9]
	s_cbranch_execz .LBB147_71
.LBB147_20:                             ; =>This Loop Header: Depth=1
                                        ;     Child Loop BB147_23 Depth 2
                                        ;       Child Loop BB147_25 Depth 3
                                        ;       Child Loop BB147_37 Depth 3
	;; [unrolled: 1-line block ×4, first 2 shown]
	v_lshlrev_b64 v[0:1], 3, v[28:29]
	v_add_co_u32_e32 v0, vcc, s38, v0
	v_addc_co_u32_e32 v1, vcc, v64, v1, vcc
	global_load_dwordx2 v[0:1], v[0:1], off
	s_waitcnt vmcnt(0)
	v_subrev_co_u32_e32 v0, vcc, s56, v0
	v_subb_co_u32_e32 v1, vcc, v1, v65, vcc
	v_lshlrev_b64 v[0:1], 3, v[0:1]
	v_add_co_u32_e32 v0, vcc, s42, v0
	v_addc_co_u32_e32 v1, vcc, v66, v1, vcc
	global_load_dwordx4 v[0:3], v[0:1], off
	s_waitcnt vmcnt(0)
	v_cmp_lt_i64_e32 vcc, v[0:1], v[2:3]
	s_and_saveexec_b64 s[10:11], vcc
	s_cbranch_execz .LBB147_19
; %bb.21:                               ;   in Loop: Header=BB147_20 Depth=1
	v_lshlrev_b64 v[4:5], 6, v[28:29]
	v_mov_b32_e32 v32, s41
	v_add_co_u32_e32 v12, vcc, s40, v4
	v_lshlrev_b64 v[30:31], 2, v[28:29]
	v_addc_co_u32_e32 v13, vcc, v32, v5, vcc
	global_load_dwordx4 v[4:7], v[12:13], off
	global_load_dwordx4 v[8:11], v[12:13], off offset:48
	v_or_b32_e32 v13, 0, v31
	v_or_b32_e32 v12, s59, v30
	v_lshlrev_b64 v[12:13], 4, v[12:13]
	v_add_co_u32_e32 v12, vcc, s40, v12
	v_or_b32_e32 v31, 0, v31
	v_or_b32_e32 v30, s60, v30
	v_addc_co_u32_e32 v13, vcc, v32, v13, vcc
	v_lshlrev_b64 v[30:31], 4, v[30:31]
	v_add_co_u32_e32 v30, vcc, s40, v30
	v_addc_co_u32_e32 v31, vcc, v32, v31, vcc
	global_load_dwordx4 v[12:15], v[12:13], off
	v_mov_b32_e32 v33, s58
	global_load_dwordx4 v[54:57], v[30:31], off
	v_subrev_co_u32_e32 v30, vcc, s57, v2
	v_subb_co_u32_e32 v31, vcc, v3, v33, vcc
	v_subrev_co_u32_e32 v32, vcc, s57, v0
	v_subb_co_u32_e32 v33, vcc, v1, v33, vcc
	s_mov_b64 s[20:21], 0
	s_waitcnt vmcnt(3)
	v_mul_f64 v[34:35], v[6:7], -v[24:25]
	v_mul_f64 v[36:37], v[22:23], v[6:7]
	s_waitcnt vmcnt(2)
	v_mul_f64 v[38:39], v[10:11], -v[24:25]
	v_mul_f64 v[40:41], v[22:23], v[10:11]
	v_fmac_f64_e32 v[34:35], v[22:23], v[4:5]
	v_fmac_f64_e32 v[36:37], v[24:25], v[4:5]
	;; [unrolled: 1-line block ×4, first 2 shown]
	s_waitcnt vmcnt(1)
	v_mul_f64 v[42:43], v[14:15], -v[24:25]
	v_mul_f64 v[44:45], v[22:23], v[14:15]
	s_waitcnt vmcnt(0)
	v_mul_f64 v[46:47], v[56:57], -v[24:25]
	v_mul_f64 v[48:49], v[22:23], v[56:57]
	v_fmac_f64_e32 v[42:43], v[22:23], v[12:13]
	v_fmac_f64_e32 v[44:45], v[24:25], v[12:13]
	v_fmac_f64_e32 v[46:47], v[22:23], v[54:55]
	v_fmac_f64_e32 v[48:49], v[24:25], v[54:55]
	s_branch .LBB147_23
.LBB147_22:                             ;   in Loop: Header=BB147_23 Depth=2
	s_or_b64 exec, exec, s[24:25]
	v_add_co_u32_e32 v32, vcc, 1, v32
	v_addc_co_u32_e32 v33, vcc, 0, v33, vcc
	v_cmp_ge_i64_e32 vcc, v[32:33], v[30:31]
	s_or_b64 s[20:21], vcc, s[20:21]
	s_andn2_b64 exec, exec, s[20:21]
	s_cbranch_execz .LBB147_19
.LBB147_23:                             ;   Parent Loop BB147_20 Depth=1
                                        ; =>  This Loop Header: Depth=2
                                        ;       Child Loop BB147_25 Depth 3
                                        ;       Child Loop BB147_37 Depth 3
	;; [unrolled: 1-line block ×4, first 2 shown]
	v_lshlrev_b64 v[0:1], 3, v[32:33]
	v_mov_b32_e32 v2, s49
	v_add_co_u32_e32 v0, vcc, s48, v0
	v_addc_co_u32_e32 v1, vcc, v2, v1, vcc
	global_load_dwordx2 v[50:51], v[0:1], off
	v_lshlrev_b64 v[0:1], 2, v[32:33]
	v_or_b32_e32 v3, 0, v1
	v_or_b32_e32 v2, s59, v0
	;; [unrolled: 1-line block ×4, first 2 shown]
	v_lshlrev_b64 v[0:1], 4, v[0:1]
	v_mov_b32_e32 v6, s51
	v_add_co_u32_e32 v0, vcc, s50, v0
	v_lshlrev_b64 v[4:5], 6, v[32:33]
	v_addc_co_u32_e32 v1, vcc, v6, v1, vcc
	v_add_co_u32_e32 v54, vcc, s50, v4
	global_load_dwordx4 v[12:15], v[0:1], off
	v_addc_co_u32_e32 v55, vcc, v6, v5, vcc
	global_load_dwordx4 v[8:11], v[54:55], off
	v_lshlrev_b64 v[0:1], 4, v[2:3]
	v_add_co_u32_e32 v56, vcc, s50, v0
	v_addc_co_u32_e32 v57, vcc, v6, v1, vcc
	global_load_dwordx4 v[0:3], v[56:57], off
	global_load_dwordx4 v[4:7], v[54:55], off offset:48
	v_mov_b32_e32 v52, s58
	s_mov_b64 s[24:25], 0
	s_waitcnt vmcnt(4)
	v_subrev_co_u32_e32 v50, vcc, s57, v50
	v_subb_co_u32_e32 v51, vcc, v51, v52, vcc
	v_and_b32_e32 v52, 7, v50
	v_pk_mov_b32 v[58:59], v[52:53], v[52:53] op_sel:[0,1]
	s_waitcnt vmcnt(3)
	v_mul_f64 v[56:57], v[14:15], -v[44:45]
	v_mul_f64 v[54:55], v[42:43], v[14:15]
	v_fmac_f64_e32 v[56:57], v[42:43], v[12:13]
	v_fmac_f64_e32 v[54:55], v[44:45], v[12:13]
	s_waitcnt vmcnt(2)
	v_fmac_f64_e32 v[56:57], v[34:35], v[8:9]
	v_fmac_f64_e32 v[54:55], v[36:37], v[8:9]
	v_fma_f64 v[56:57], -v[36:37], v[10:11], v[56:57]
	v_fmac_f64_e32 v[54:55], v[34:35], v[10:11]
	s_branch .LBB147_25
.LBB147_24:                             ;   in Loop: Header=BB147_25 Depth=3
	s_or_b64 exec, exec, s[26:27]
	s_xor_b64 s[26:27], s[28:29], -1
	s_and_b64 s[26:27], exec, s[26:27]
	s_or_b64 s[24:25], s[26:27], s[24:25]
	s_andn2_b64 exec, exec, s[24:25]
	s_cbranch_execz .LBB147_35
.LBB147_25:                             ;   Parent Loop BB147_20 Depth=1
                                        ;     Parent Loop BB147_23 Depth=2
                                        ; =>    This Inner Loop Header: Depth=3
	v_lshl_add_u32 v59, v58, 3, v62
	ds_read_b64 v[60:61], v59
                                        ; implicit-def: $sgpr28_sgpr29
	s_waitcnt lgkmcnt(0)
	v_cmp_ne_u64_e32 vcc, v[60:61], v[50:51]
	s_and_saveexec_b64 s[26:27], vcc
	s_xor_b64 s[26:27], exec, s[26:27]
	s_cbranch_execz .LBB147_33
; %bb.26:                               ;   in Loop: Header=BB147_25 Depth=3
	v_cmp_ne_u64_e32 vcc, s[22:23], v[60:61]
                                        ; implicit-def: $sgpr28_sgpr29
	s_and_saveexec_b64 s[36:37], vcc
	s_xor_b64 s[36:37], exec, s[36:37]
; %bb.27:                               ;   in Loop: Header=BB147_25 Depth=3
	v_add_u32_e32 v58, 1, v58
	v_and_b32_e32 v58, 7, v58
	s_mov_b64 s[28:29], -1
                                        ; implicit-def: $vgpr59
; %bb.28:                               ;   in Loop: Header=BB147_25 Depth=3
	s_andn2_saveexec_b64 s[36:37], s[36:37]
	s_cbranch_execz .LBB147_32
; %bb.29:                               ;   in Loop: Header=BB147_25 Depth=3
	v_pk_mov_b32 v[60:61], s[22:23], s[22:23] op_sel:[0,1]
	ds_cmpst_rtn_b64 v[60:61], v59, v[60:61], v[50:51]
	s_mov_b64 s[52:53], -1
	s_waitcnt lgkmcnt(0)
	v_cmp_eq_u64_e32 vcc, s[22:23], v[60:61]
	s_and_saveexec_b64 s[54:55], vcc
	s_cbranch_execz .LBB147_31
; %bb.30:                               ;   in Loop: Header=BB147_25 Depth=3
	v_lshl_add_u32 v59, v58, 6, v63
	ds_add_f64 v59, v[56:57]
	ds_add_f64 v59, v[54:55] offset:8
	s_xor_b64 s[52:53], exec, -1
.LBB147_31:                             ;   in Loop: Header=BB147_25 Depth=3
	s_or_b64 exec, exec, s[54:55]
	s_andn2_b64 s[28:29], s[28:29], exec
	s_and_b64 s[52:53], s[52:53], exec
	s_or_b64 s[28:29], s[28:29], s[52:53]
.LBB147_32:                             ;   in Loop: Header=BB147_25 Depth=3
	s_or_b64 exec, exec, s[36:37]
	s_and_b64 s[28:29], s[28:29], exec
.LBB147_33:                             ;   in Loop: Header=BB147_25 Depth=3
	s_andn2_saveexec_b64 s[26:27], s[26:27]
	s_cbranch_execz .LBB147_24
; %bb.34:                               ;   in Loop: Header=BB147_25 Depth=3
	v_lshl_add_u32 v59, v58, 6, v63
	ds_add_f64 v59, v[56:57]
	ds_add_f64 v59, v[54:55] offset:8
	s_andn2_b64 s[28:29], s[28:29], exec
	s_branch .LBB147_24
.LBB147_35:                             ;   in Loop: Header=BB147_23 Depth=2
	s_or_b64 exec, exec, s[24:25]
	s_waitcnt vmcnt(0)
	v_mul_f64 v[56:57], v[6:7], -v[44:45]
	v_mul_f64 v[54:55], v[42:43], v[6:7]
	v_fmac_f64_e32 v[56:57], v[42:43], v[4:5]
	v_fmac_f64_e32 v[54:55], v[44:45], v[4:5]
	;; [unrolled: 1-line block ×4, first 2 shown]
	v_fma_f64 v[56:57], -v[36:37], v[2:3], v[56:57]
	v_fmac_f64_e32 v[54:55], v[34:35], v[2:3]
	s_mov_b64 s[24:25], 0
	v_pk_mov_b32 v[58:59], v[52:53], v[52:53] op_sel:[0,1]
	s_branch .LBB147_37
.LBB147_36:                             ;   in Loop: Header=BB147_37 Depth=3
	s_or_b64 exec, exec, s[26:27]
	s_xor_b64 s[26:27], s[28:29], -1
	s_and_b64 s[26:27], exec, s[26:27]
	s_or_b64 s[24:25], s[26:27], s[24:25]
	s_andn2_b64 exec, exec, s[24:25]
	s_cbranch_execz .LBB147_47
.LBB147_37:                             ;   Parent Loop BB147_20 Depth=1
                                        ;     Parent Loop BB147_23 Depth=2
                                        ; =>    This Inner Loop Header: Depth=3
	v_lshl_add_u32 v59, v58, 3, v62
	ds_read_b64 v[60:61], v59
                                        ; implicit-def: $sgpr28_sgpr29
	s_waitcnt lgkmcnt(0)
	v_cmp_ne_u64_e32 vcc, v[60:61], v[50:51]
	s_and_saveexec_b64 s[26:27], vcc
	s_xor_b64 s[26:27], exec, s[26:27]
	s_cbranch_execz .LBB147_45
; %bb.38:                               ;   in Loop: Header=BB147_37 Depth=3
	v_cmp_ne_u64_e32 vcc, s[22:23], v[60:61]
                                        ; implicit-def: $sgpr28_sgpr29
	s_and_saveexec_b64 s[36:37], vcc
	s_xor_b64 s[36:37], exec, s[36:37]
; %bb.39:                               ;   in Loop: Header=BB147_37 Depth=3
	v_add_u32_e32 v58, 1, v58
	v_and_b32_e32 v58, 7, v58
	s_mov_b64 s[28:29], -1
                                        ; implicit-def: $vgpr59
; %bb.40:                               ;   in Loop: Header=BB147_37 Depth=3
	s_andn2_saveexec_b64 s[36:37], s[36:37]
	s_cbranch_execz .LBB147_44
; %bb.41:                               ;   in Loop: Header=BB147_37 Depth=3
	v_pk_mov_b32 v[60:61], s[22:23], s[22:23] op_sel:[0,1]
	ds_cmpst_rtn_b64 v[60:61], v59, v[60:61], v[50:51]
	s_mov_b64 s[52:53], -1
	s_waitcnt lgkmcnt(0)
	v_cmp_eq_u64_e32 vcc, s[22:23], v[60:61]
	s_and_saveexec_b64 s[54:55], vcc
	s_cbranch_execz .LBB147_43
; %bb.42:                               ;   in Loop: Header=BB147_37 Depth=3
	v_lshl_add_u32 v59, v58, 6, v63
	ds_add_f64 v59, v[56:57] offset:16
	ds_add_f64 v59, v[54:55] offset:24
	s_xor_b64 s[52:53], exec, -1
.LBB147_43:                             ;   in Loop: Header=BB147_37 Depth=3
	s_or_b64 exec, exec, s[54:55]
	s_andn2_b64 s[28:29], s[28:29], exec
	s_and_b64 s[52:53], s[52:53], exec
	s_or_b64 s[28:29], s[28:29], s[52:53]
.LBB147_44:                             ;   in Loop: Header=BB147_37 Depth=3
	s_or_b64 exec, exec, s[36:37]
	s_and_b64 s[28:29], s[28:29], exec
.LBB147_45:                             ;   in Loop: Header=BB147_37 Depth=3
	s_andn2_saveexec_b64 s[26:27], s[26:27]
	s_cbranch_execz .LBB147_36
; %bb.46:                               ;   in Loop: Header=BB147_37 Depth=3
	v_lshl_add_u32 v59, v58, 6, v63
	ds_add_f64 v59, v[56:57] offset:16
	ds_add_f64 v59, v[54:55] offset:24
	s_andn2_b64 s[28:29], s[28:29], exec
	s_branch .LBB147_36
.LBB147_47:                             ;   in Loop: Header=BB147_23 Depth=2
	s_or_b64 exec, exec, s[24:25]
	v_mul_f64 v[54:55], v[14:15], -v[40:41]
	v_mul_f64 v[14:15], v[38:39], v[14:15]
	v_fmac_f64_e32 v[54:55], v[38:39], v[12:13]
	v_fmac_f64_e32 v[14:15], v[40:41], v[12:13]
	;; [unrolled: 1-line block ×4, first 2 shown]
	v_fma_f64 v[12:13], -v[48:49], v[10:11], v[54:55]
	v_fmac_f64_e32 v[14:15], v[46:47], v[10:11]
	s_mov_b64 s[24:25], 0
	v_pk_mov_b32 v[8:9], v[52:53], v[52:53] op_sel:[0,1]
	s_branch .LBB147_49
.LBB147_48:                             ;   in Loop: Header=BB147_49 Depth=3
	s_or_b64 exec, exec, s[26:27]
	s_xor_b64 s[26:27], s[28:29], -1
	s_and_b64 s[26:27], exec, s[26:27]
	s_or_b64 s[24:25], s[26:27], s[24:25]
	s_andn2_b64 exec, exec, s[24:25]
	s_cbranch_execz .LBB147_59
.LBB147_49:                             ;   Parent Loop BB147_20 Depth=1
                                        ;     Parent Loop BB147_23 Depth=2
                                        ; =>    This Inner Loop Header: Depth=3
	v_lshl_add_u32 v9, v8, 3, v62
	ds_read_b64 v[10:11], v9
                                        ; implicit-def: $sgpr28_sgpr29
	s_waitcnt lgkmcnt(0)
	v_cmp_ne_u64_e32 vcc, v[10:11], v[50:51]
	s_and_saveexec_b64 s[26:27], vcc
	s_xor_b64 s[26:27], exec, s[26:27]
	s_cbranch_execz .LBB147_57
; %bb.50:                               ;   in Loop: Header=BB147_49 Depth=3
	v_cmp_ne_u64_e32 vcc, s[22:23], v[10:11]
                                        ; implicit-def: $sgpr28_sgpr29
	s_and_saveexec_b64 s[36:37], vcc
	s_xor_b64 s[36:37], exec, s[36:37]
; %bb.51:                               ;   in Loop: Header=BB147_49 Depth=3
	v_add_u32_e32 v8, 1, v8
	v_and_b32_e32 v8, 7, v8
	s_mov_b64 s[28:29], -1
                                        ; implicit-def: $vgpr9
; %bb.52:                               ;   in Loop: Header=BB147_49 Depth=3
	s_andn2_saveexec_b64 s[36:37], s[36:37]
	s_cbranch_execz .LBB147_56
; %bb.53:                               ;   in Loop: Header=BB147_49 Depth=3
	v_pk_mov_b32 v[10:11], s[22:23], s[22:23] op_sel:[0,1]
	ds_cmpst_rtn_b64 v[10:11], v9, v[10:11], v[50:51]
	s_mov_b64 s[52:53], -1
	s_waitcnt lgkmcnt(0)
	v_cmp_eq_u64_e32 vcc, s[22:23], v[10:11]
	s_and_saveexec_b64 s[54:55], vcc
	s_cbranch_execz .LBB147_55
; %bb.54:                               ;   in Loop: Header=BB147_49 Depth=3
	v_lshl_add_u32 v9, v8, 6, v63
	ds_add_f64 v9, v[12:13] offset:32
	ds_add_f64 v9, v[14:15] offset:40
	s_xor_b64 s[52:53], exec, -1
.LBB147_55:                             ;   in Loop: Header=BB147_49 Depth=3
	s_or_b64 exec, exec, s[54:55]
	s_andn2_b64 s[28:29], s[28:29], exec
	s_and_b64 s[52:53], s[52:53], exec
	s_or_b64 s[28:29], s[28:29], s[52:53]
.LBB147_56:                             ;   in Loop: Header=BB147_49 Depth=3
	s_or_b64 exec, exec, s[36:37]
	s_and_b64 s[28:29], s[28:29], exec
.LBB147_57:                             ;   in Loop: Header=BB147_49 Depth=3
	s_andn2_saveexec_b64 s[26:27], s[26:27]
	s_cbranch_execz .LBB147_48
; %bb.58:                               ;   in Loop: Header=BB147_49 Depth=3
	v_lshl_add_u32 v9, v8, 6, v63
	ds_add_f64 v9, v[12:13] offset:32
	ds_add_f64 v9, v[14:15] offset:40
	s_andn2_b64 s[28:29], s[28:29], exec
	s_branch .LBB147_48
.LBB147_59:                             ;   in Loop: Header=BB147_23 Depth=2
	s_or_b64 exec, exec, s[24:25]
	v_mul_f64 v[8:9], v[6:7], -v[40:41]
	v_mul_f64 v[6:7], v[38:39], v[6:7]
	v_fmac_f64_e32 v[8:9], v[38:39], v[4:5]
	v_fmac_f64_e32 v[6:7], v[40:41], v[4:5]
	v_fmac_f64_e32 v[8:9], v[46:47], v[0:1]
	v_fmac_f64_e32 v[6:7], v[48:49], v[0:1]
	v_fma_f64 v[4:5], -v[48:49], v[2:3], v[8:9]
	v_fmac_f64_e32 v[6:7], v[46:47], v[2:3]
	s_mov_b64 s[24:25], 0
	s_branch .LBB147_61
.LBB147_60:                             ;   in Loop: Header=BB147_61 Depth=3
	s_or_b64 exec, exec, s[26:27]
	s_xor_b64 s[26:27], s[28:29], -1
	s_and_b64 s[26:27], exec, s[26:27]
	s_or_b64 s[24:25], s[26:27], s[24:25]
	s_andn2_b64 exec, exec, s[24:25]
	s_cbranch_execz .LBB147_22
.LBB147_61:                             ;   Parent Loop BB147_20 Depth=1
                                        ;     Parent Loop BB147_23 Depth=2
                                        ; =>    This Inner Loop Header: Depth=3
	v_lshl_add_u32 v2, v52, 3, v62
	ds_read_b64 v[0:1], v2
                                        ; implicit-def: $sgpr28_sgpr29
	s_waitcnt lgkmcnt(0)
	v_cmp_ne_u64_e32 vcc, v[0:1], v[50:51]
	s_and_saveexec_b64 s[26:27], vcc
	s_xor_b64 s[26:27], exec, s[26:27]
	s_cbranch_execz .LBB147_69
; %bb.62:                               ;   in Loop: Header=BB147_61 Depth=3
	v_cmp_ne_u64_e32 vcc, s[22:23], v[0:1]
                                        ; implicit-def: $sgpr28_sgpr29
	s_and_saveexec_b64 s[36:37], vcc
	s_xor_b64 s[36:37], exec, s[36:37]
; %bb.63:                               ;   in Loop: Header=BB147_61 Depth=3
	v_add_u32_e32 v0, 1, v52
	v_and_b32_e32 v52, 7, v0
	s_mov_b64 s[28:29], -1
                                        ; implicit-def: $vgpr2
; %bb.64:                               ;   in Loop: Header=BB147_61 Depth=3
	s_andn2_saveexec_b64 s[36:37], s[36:37]
	s_cbranch_execz .LBB147_68
; %bb.65:                               ;   in Loop: Header=BB147_61 Depth=3
	v_pk_mov_b32 v[0:1], s[22:23], s[22:23] op_sel:[0,1]
	ds_cmpst_rtn_b64 v[0:1], v2, v[0:1], v[50:51]
	s_mov_b64 s[52:53], -1
	s_waitcnt lgkmcnt(0)
	v_cmp_eq_u64_e32 vcc, s[22:23], v[0:1]
	s_and_saveexec_b64 s[54:55], vcc
	s_cbranch_execz .LBB147_67
; %bb.66:                               ;   in Loop: Header=BB147_61 Depth=3
	v_lshl_add_u32 v0, v52, 6, v63
	ds_add_f64 v0, v[4:5] offset:48
	ds_add_f64 v0, v[6:7] offset:56
	s_xor_b64 s[52:53], exec, -1
.LBB147_67:                             ;   in Loop: Header=BB147_61 Depth=3
	s_or_b64 exec, exec, s[54:55]
	s_andn2_b64 s[28:29], s[28:29], exec
	s_and_b64 s[52:53], s[52:53], exec
	s_or_b64 s[28:29], s[28:29], s[52:53]
.LBB147_68:                             ;   in Loop: Header=BB147_61 Depth=3
	s_or_b64 exec, exec, s[36:37]
	s_and_b64 s[28:29], s[28:29], exec
.LBB147_69:                             ;   in Loop: Header=BB147_61 Depth=3
	s_andn2_saveexec_b64 s[26:27], s[26:27]
	s_cbranch_execz .LBB147_60
; %bb.70:                               ;   in Loop: Header=BB147_61 Depth=3
	v_lshl_add_u32 v0, v52, 6, v63
	ds_add_f64 v0, v[4:5] offset:48
	ds_add_f64 v0, v[6:7] offset:56
	s_andn2_b64 s[28:29], s[28:29], exec
	s_branch .LBB147_60
.LBB147_71:
	s_or_b64 exec, exec, s[4:5]
	s_andn2_b64 vcc, exec, s[34:35]
	s_waitcnt lgkmcnt(0)
	s_cbranch_vccnz .LBB147_15
.LBB147_72:
	s_waitcnt vmcnt(0)
	v_lshlrev_b64 v[0:1], 3, v[20:21]
	v_mov_b32_e32 v2, s13
	v_add_co_u32_e32 v0, vcc, s12, v0
	v_addc_co_u32_e32 v1, vcc, v2, v1, vcc
	global_load_dwordx4 v[0:3], v[0:1], off
	v_subrev_co_u32_e32 v4, vcc, s31, v53
	v_subb_co_u32_e64 v5, s[4:5], 0, 0, vcc
	s_mov_b32 s10, 0
	s_waitcnt vmcnt(0)
	v_subrev_co_u32_e32 v12, vcc, s31, v2
	v_subbrev_co_u32_e32 v13, vcc, 0, v3, vcc
	v_add_co_u32_e32 v14, vcc, v0, v4
	v_addc_co_u32_e32 v15, vcc, v1, v5, vcc
	v_cmp_lt_i64_e32 vcc, v[14:15], v[12:13]
	s_and_saveexec_b64 s[4:5], vcc
	s_cbranch_execz .LBB147_123
; %bb.73:
	s_cmp_eq_u32 s33, 0
	s_mov_b32 s34, s31
	s_cselect_b32 s31, 1, 2
	s_cselect_b32 s35, 2, 1
	s_mov_b64 s[8:9], 0
	v_mov_b32_e32 v25, s17
	v_mov_b32_e32 v34, s15
	;; [unrolled: 1-line block ×3, first 2 shown]
	s_branch .LBB147_75
.LBB147_74:                             ;   in Loop: Header=BB147_75 Depth=1
	s_or_b64 exec, exec, s[10:11]
	v_add_co_u32_e32 v14, vcc, 16, v14
	v_addc_co_u32_e32 v15, vcc, 0, v15, vcc
	v_cmp_ge_i64_e32 vcc, v[14:15], v[12:13]
	s_or_b64 s[8:9], vcc, s[8:9]
	s_andn2_b64 exec, exec, s[8:9]
	s_cbranch_execz .LBB147_123
.LBB147_75:                             ; =>This Loop Header: Depth=1
                                        ;     Child Loop BB147_77 Depth 2
                                        ;     Child Loop BB147_89 Depth 2
	;; [unrolled: 1-line block ×4, first 2 shown]
	v_lshlrev_b64 v[0:1], 6, v[14:15]
	v_add_co_u32_e32 v6, vcc, s16, v0
	v_lshlrev_b64 v[4:5], 2, v[14:15]
	v_addc_co_u32_e32 v7, vcc, v25, v1, vcc
	global_load_dwordx4 v[30:33], v[6:7], off
	global_load_dwordx4 v[0:3], v[6:7], off offset:48
	v_or_b32_e32 v7, 0, v5
	v_or_b32_e32 v6, s31, v4
	v_lshlrev_b64 v[6:7], 4, v[6:7]
	v_add_co_u32_e32 v22, vcc, s16, v6
	v_addc_co_u32_e32 v23, vcc, v25, v7, vcc
	v_lshlrev_b64 v[6:7], 3, v[14:15]
	v_add_co_u32_e32 v6, vcc, s14, v6
	v_addc_co_u32_e32 v7, vcc, v34, v7, vcc
	v_or_b32_e32 v5, 0, v5
	global_load_dwordx2 v[36:37], v[6:7], off
	v_or_b32_e32 v4, s35, v4
	v_lshlrev_b64 v[4:5], 4, v[4:5]
	v_add_co_u32_e32 v26, vcc, s16, v4
	v_addc_co_u32_e32 v27, vcc, v25, v5, vcc
	global_load_dwordx4 v[8:11], v[22:23], off
	global_load_dwordx4 v[4:7], v[26:27], off
	s_mov_b64 s[10:11], 0
	s_waitcnt vmcnt(4)
	v_mul_f64 v[26:27], v[32:33], -v[16:17]
	v_mul_f64 v[28:29], v[18:19], v[32:33]
	v_fmac_f64_e32 v[26:27], v[18:19], v[30:31]
	v_fmac_f64_e32 v[28:29], v[16:17], v[30:31]
	s_waitcnt vmcnt(2)
	v_subrev_co_u32_e32 v22, vcc, s34, v36
	v_and_b32_e32 v24, 7, v22
	v_subb_co_u32_e32 v23, vcc, v37, v35, vcc
	v_pk_mov_b32 v[30:31], v[24:25], v[24:25] op_sel:[0,1]
	s_branch .LBB147_77
.LBB147_76:                             ;   in Loop: Header=BB147_77 Depth=2
	s_or_b64 exec, exec, s[12:13]
	s_xor_b64 s[12:13], s[20:21], -1
	s_and_b64 s[12:13], exec, s[12:13]
	s_or_b64 s[10:11], s[12:13], s[10:11]
	s_andn2_b64 exec, exec, s[10:11]
	s_cbranch_execz .LBB147_87
.LBB147_77:                             ;   Parent Loop BB147_75 Depth=1
                                        ; =>  This Inner Loop Header: Depth=2
	v_lshl_add_u32 v31, v30, 3, v62
	ds_read_b64 v[32:33], v31
                                        ; implicit-def: $sgpr20_sgpr21
	s_waitcnt lgkmcnt(0)
	v_cmp_ne_u64_e32 vcc, v[32:33], v[22:23]
	s_and_saveexec_b64 s[12:13], vcc
	s_xor_b64 s[12:13], exec, s[12:13]
	s_cbranch_execz .LBB147_85
; %bb.78:                               ;   in Loop: Header=BB147_77 Depth=2
	v_cmp_ne_u64_e32 vcc, s[22:23], v[32:33]
                                        ; implicit-def: $sgpr20_sgpr21
	s_and_saveexec_b64 s[24:25], vcc
	s_xor_b64 s[24:25], exec, s[24:25]
; %bb.79:                               ;   in Loop: Header=BB147_77 Depth=2
	v_add_u32_e32 v30, 1, v30
	v_and_b32_e32 v30, 7, v30
	s_mov_b64 s[20:21], -1
                                        ; implicit-def: $vgpr31
; %bb.80:                               ;   in Loop: Header=BB147_77 Depth=2
	s_andn2_saveexec_b64 s[24:25], s[24:25]
	s_cbranch_execz .LBB147_84
; %bb.81:                               ;   in Loop: Header=BB147_77 Depth=2
	v_pk_mov_b32 v[32:33], s[22:23], s[22:23] op_sel:[0,1]
	ds_cmpst_rtn_b64 v[32:33], v31, v[32:33], v[22:23]
	s_mov_b64 s[26:27], -1
	s_waitcnt lgkmcnt(0)
	v_cmp_eq_u64_e32 vcc, s[22:23], v[32:33]
	s_and_saveexec_b64 s[28:29], vcc
	s_cbranch_execz .LBB147_83
; %bb.82:                               ;   in Loop: Header=BB147_77 Depth=2
	v_lshl_add_u32 v31, v30, 6, v63
	ds_add_f64 v31, v[26:27]
	ds_add_f64 v31, v[28:29] offset:8
	s_xor_b64 s[26:27], exec, -1
.LBB147_83:                             ;   in Loop: Header=BB147_77 Depth=2
	s_or_b64 exec, exec, s[28:29]
	s_andn2_b64 s[20:21], s[20:21], exec
	s_and_b64 s[26:27], s[26:27], exec
	s_or_b64 s[20:21], s[20:21], s[26:27]
.LBB147_84:                             ;   in Loop: Header=BB147_77 Depth=2
	s_or_b64 exec, exec, s[24:25]
	s_and_b64 s[20:21], s[20:21], exec
.LBB147_85:                             ;   in Loop: Header=BB147_77 Depth=2
	s_andn2_saveexec_b64 s[12:13], s[12:13]
	s_cbranch_execz .LBB147_76
; %bb.86:                               ;   in Loop: Header=BB147_77 Depth=2
	v_lshl_add_u32 v31, v30, 6, v63
	ds_add_f64 v31, v[26:27]
	ds_add_f64 v31, v[28:29] offset:8
	s_andn2_b64 s[20:21], s[20:21], exec
	s_branch .LBB147_76
.LBB147_87:                             ;   in Loop: Header=BB147_75 Depth=1
	s_or_b64 exec, exec, s[10:11]
	s_waitcnt vmcnt(1)
	v_mul_f64 v[26:27], v[10:11], -v[16:17]
	v_mul_f64 v[10:11], v[18:19], v[10:11]
	v_fmac_f64_e32 v[26:27], v[18:19], v[8:9]
	v_fmac_f64_e32 v[10:11], v[16:17], v[8:9]
	s_mov_b64 s[10:11], 0
	v_pk_mov_b32 v[8:9], v[24:25], v[24:25] op_sel:[0,1]
	s_branch .LBB147_89
.LBB147_88:                             ;   in Loop: Header=BB147_89 Depth=2
	s_or_b64 exec, exec, s[12:13]
	s_xor_b64 s[12:13], s[20:21], -1
	s_and_b64 s[12:13], exec, s[12:13]
	s_or_b64 s[10:11], s[12:13], s[10:11]
	s_andn2_b64 exec, exec, s[10:11]
	s_cbranch_execz .LBB147_99
.LBB147_89:                             ;   Parent Loop BB147_75 Depth=1
                                        ; =>  This Inner Loop Header: Depth=2
	v_lshl_add_u32 v9, v8, 3, v62
	ds_read_b64 v[28:29], v9
                                        ; implicit-def: $sgpr20_sgpr21
	s_waitcnt lgkmcnt(0)
	v_cmp_ne_u64_e32 vcc, v[28:29], v[22:23]
	s_and_saveexec_b64 s[12:13], vcc
	s_xor_b64 s[12:13], exec, s[12:13]
	s_cbranch_execz .LBB147_97
; %bb.90:                               ;   in Loop: Header=BB147_89 Depth=2
	v_cmp_ne_u64_e32 vcc, s[22:23], v[28:29]
                                        ; implicit-def: $sgpr20_sgpr21
	s_and_saveexec_b64 s[24:25], vcc
	s_xor_b64 s[24:25], exec, s[24:25]
; %bb.91:                               ;   in Loop: Header=BB147_89 Depth=2
	v_add_u32_e32 v8, 1, v8
	v_and_b32_e32 v8, 7, v8
	s_mov_b64 s[20:21], -1
                                        ; implicit-def: $vgpr9
; %bb.92:                               ;   in Loop: Header=BB147_89 Depth=2
	s_andn2_saveexec_b64 s[24:25], s[24:25]
	s_cbranch_execz .LBB147_96
; %bb.93:                               ;   in Loop: Header=BB147_89 Depth=2
	v_pk_mov_b32 v[28:29], s[22:23], s[22:23] op_sel:[0,1]
	ds_cmpst_rtn_b64 v[28:29], v9, v[28:29], v[22:23]
	s_mov_b64 s[26:27], -1
	s_waitcnt lgkmcnt(0)
	v_cmp_eq_u64_e32 vcc, s[22:23], v[28:29]
	s_and_saveexec_b64 s[28:29], vcc
	s_cbranch_execz .LBB147_95
; %bb.94:                               ;   in Loop: Header=BB147_89 Depth=2
	v_lshl_add_u32 v9, v8, 6, v63
	ds_add_f64 v9, v[26:27] offset:16
	ds_add_f64 v9, v[10:11] offset:24
	s_xor_b64 s[26:27], exec, -1
.LBB147_95:                             ;   in Loop: Header=BB147_89 Depth=2
	s_or_b64 exec, exec, s[28:29]
	s_andn2_b64 s[20:21], s[20:21], exec
	s_and_b64 s[26:27], s[26:27], exec
	s_or_b64 s[20:21], s[20:21], s[26:27]
.LBB147_96:                             ;   in Loop: Header=BB147_89 Depth=2
	s_or_b64 exec, exec, s[24:25]
	s_and_b64 s[20:21], s[20:21], exec
.LBB147_97:                             ;   in Loop: Header=BB147_89 Depth=2
	s_andn2_saveexec_b64 s[12:13], s[12:13]
	s_cbranch_execz .LBB147_88
; %bb.98:                               ;   in Loop: Header=BB147_89 Depth=2
	v_lshl_add_u32 v9, v8, 6, v63
	ds_add_f64 v9, v[26:27] offset:16
	ds_add_f64 v9, v[10:11] offset:24
	s_andn2_b64 s[20:21], s[20:21], exec
	s_branch .LBB147_88
.LBB147_99:                             ;   in Loop: Header=BB147_75 Depth=1
	s_or_b64 exec, exec, s[10:11]
	s_waitcnt vmcnt(0)
	v_mul_f64 v[8:9], v[6:7], -v[16:17]
	v_mul_f64 v[6:7], v[18:19], v[6:7]
	v_fmac_f64_e32 v[8:9], v[18:19], v[4:5]
	v_fmac_f64_e32 v[6:7], v[16:17], v[4:5]
	s_mov_b64 s[10:11], 0
	v_pk_mov_b32 v[4:5], v[24:25], v[24:25] op_sel:[0,1]
	s_branch .LBB147_101
.LBB147_100:                            ;   in Loop: Header=BB147_101 Depth=2
	s_or_b64 exec, exec, s[12:13]
	s_xor_b64 s[12:13], s[20:21], -1
	s_and_b64 s[12:13], exec, s[12:13]
	s_or_b64 s[10:11], s[12:13], s[10:11]
	s_andn2_b64 exec, exec, s[10:11]
	s_cbranch_execz .LBB147_111
.LBB147_101:                            ;   Parent Loop BB147_75 Depth=1
                                        ; =>  This Inner Loop Header: Depth=2
	v_lshl_add_u32 v5, v4, 3, v62
	ds_read_b64 v[10:11], v5
                                        ; implicit-def: $sgpr20_sgpr21
	s_waitcnt lgkmcnt(0)
	v_cmp_ne_u64_e32 vcc, v[10:11], v[22:23]
	s_and_saveexec_b64 s[12:13], vcc
	s_xor_b64 s[12:13], exec, s[12:13]
	s_cbranch_execz .LBB147_109
; %bb.102:                              ;   in Loop: Header=BB147_101 Depth=2
	v_cmp_ne_u64_e32 vcc, s[22:23], v[10:11]
                                        ; implicit-def: $sgpr20_sgpr21
	s_and_saveexec_b64 s[24:25], vcc
	s_xor_b64 s[24:25], exec, s[24:25]
; %bb.103:                              ;   in Loop: Header=BB147_101 Depth=2
	v_add_u32_e32 v4, 1, v4
	v_and_b32_e32 v4, 7, v4
	s_mov_b64 s[20:21], -1
                                        ; implicit-def: $vgpr5
; %bb.104:                              ;   in Loop: Header=BB147_101 Depth=2
	s_andn2_saveexec_b64 s[24:25], s[24:25]
	s_cbranch_execz .LBB147_108
; %bb.105:                              ;   in Loop: Header=BB147_101 Depth=2
	v_pk_mov_b32 v[10:11], s[22:23], s[22:23] op_sel:[0,1]
	ds_cmpst_rtn_b64 v[10:11], v5, v[10:11], v[22:23]
	s_mov_b64 s[26:27], -1
	s_waitcnt lgkmcnt(0)
	v_cmp_eq_u64_e32 vcc, s[22:23], v[10:11]
	s_and_saveexec_b64 s[28:29], vcc
	s_cbranch_execz .LBB147_107
; %bb.106:                              ;   in Loop: Header=BB147_101 Depth=2
	v_lshl_add_u32 v5, v4, 6, v63
	ds_add_f64 v5, v[8:9] offset:32
	ds_add_f64 v5, v[6:7] offset:40
	s_xor_b64 s[26:27], exec, -1
.LBB147_107:                            ;   in Loop: Header=BB147_101 Depth=2
	s_or_b64 exec, exec, s[28:29]
	s_andn2_b64 s[20:21], s[20:21], exec
	s_and_b64 s[26:27], s[26:27], exec
	s_or_b64 s[20:21], s[20:21], s[26:27]
.LBB147_108:                            ;   in Loop: Header=BB147_101 Depth=2
	s_or_b64 exec, exec, s[24:25]
	s_and_b64 s[20:21], s[20:21], exec
.LBB147_109:                            ;   in Loop: Header=BB147_101 Depth=2
	s_andn2_saveexec_b64 s[12:13], s[12:13]
	s_cbranch_execz .LBB147_100
; %bb.110:                              ;   in Loop: Header=BB147_101 Depth=2
	v_lshl_add_u32 v5, v4, 6, v63
	ds_add_f64 v5, v[8:9] offset:32
	ds_add_f64 v5, v[6:7] offset:40
	s_andn2_b64 s[20:21], s[20:21], exec
	s_branch .LBB147_100
.LBB147_111:                            ;   in Loop: Header=BB147_75 Depth=1
	s_or_b64 exec, exec, s[10:11]
	v_mul_f64 v[4:5], v[2:3], -v[16:17]
	v_mul_f64 v[2:3], v[18:19], v[2:3]
	v_fmac_f64_e32 v[4:5], v[18:19], v[0:1]
	v_fmac_f64_e32 v[2:3], v[16:17], v[0:1]
	s_mov_b64 s[10:11], 0
	s_branch .LBB147_113
.LBB147_112:                            ;   in Loop: Header=BB147_113 Depth=2
	s_or_b64 exec, exec, s[12:13]
	s_xor_b64 s[12:13], s[20:21], -1
	s_and_b64 s[12:13], exec, s[12:13]
	s_or_b64 s[10:11], s[12:13], s[10:11]
	s_andn2_b64 exec, exec, s[10:11]
	s_cbranch_execz .LBB147_74
.LBB147_113:                            ;   Parent Loop BB147_75 Depth=1
                                        ; =>  This Inner Loop Header: Depth=2
	v_lshl_add_u32 v6, v24, 3, v62
	ds_read_b64 v[0:1], v6
                                        ; implicit-def: $sgpr20_sgpr21
	s_waitcnt lgkmcnt(0)
	v_cmp_ne_u64_e32 vcc, v[0:1], v[22:23]
	s_and_saveexec_b64 s[12:13], vcc
	s_xor_b64 s[12:13], exec, s[12:13]
	s_cbranch_execz .LBB147_121
; %bb.114:                              ;   in Loop: Header=BB147_113 Depth=2
	v_cmp_ne_u64_e32 vcc, s[22:23], v[0:1]
                                        ; implicit-def: $sgpr20_sgpr21
	s_and_saveexec_b64 s[24:25], vcc
	s_xor_b64 s[24:25], exec, s[24:25]
; %bb.115:                              ;   in Loop: Header=BB147_113 Depth=2
	v_add_u32_e32 v0, 1, v24
	v_and_b32_e32 v24, 7, v0
	s_mov_b64 s[20:21], -1
                                        ; implicit-def: $vgpr6
; %bb.116:                              ;   in Loop: Header=BB147_113 Depth=2
	s_andn2_saveexec_b64 s[24:25], s[24:25]
	s_cbranch_execz .LBB147_120
; %bb.117:                              ;   in Loop: Header=BB147_113 Depth=2
	v_pk_mov_b32 v[0:1], s[22:23], s[22:23] op_sel:[0,1]
	ds_cmpst_rtn_b64 v[0:1], v6, v[0:1], v[22:23]
	s_mov_b64 s[26:27], -1
	s_waitcnt lgkmcnt(0)
	v_cmp_eq_u64_e32 vcc, s[22:23], v[0:1]
	s_and_saveexec_b64 s[28:29], vcc
	s_cbranch_execz .LBB147_119
; %bb.118:                              ;   in Loop: Header=BB147_113 Depth=2
	v_lshl_add_u32 v0, v24, 6, v63
	ds_add_f64 v0, v[4:5] offset:48
	ds_add_f64 v0, v[2:3] offset:56
	s_xor_b64 s[26:27], exec, -1
.LBB147_119:                            ;   in Loop: Header=BB147_113 Depth=2
	s_or_b64 exec, exec, s[28:29]
	s_andn2_b64 s[20:21], s[20:21], exec
	s_and_b64 s[26:27], s[26:27], exec
	s_or_b64 s[20:21], s[20:21], s[26:27]
.LBB147_120:                            ;   in Loop: Header=BB147_113 Depth=2
	s_or_b64 exec, exec, s[24:25]
	s_and_b64 s[20:21], s[20:21], exec
.LBB147_121:                            ;   in Loop: Header=BB147_113 Depth=2
	s_andn2_saveexec_b64 s[12:13], s[12:13]
	s_cbranch_execz .LBB147_112
; %bb.122:                              ;   in Loop: Header=BB147_113 Depth=2
	v_lshl_add_u32 v0, v24, 6, v63
	ds_add_f64 v0, v[4:5] offset:48
	ds_add_f64 v0, v[2:3] offset:56
	s_andn2_b64 s[20:21], s[20:21], exec
	s_branch .LBB147_112
.LBB147_123:
	s_or_b64 exec, exec, s[4:5]
	s_waitcnt lgkmcnt(0)
	s_and_b64 exec, exec, s[6:7]
	s_cbranch_execz .LBB147_16
.LBB147_124:
	v_lshl_add_u32 v0, v53, 3, v62
	ds_read_b64 v[0:1], v0
	s_waitcnt lgkmcnt(0)
	v_cmp_gt_i64_e32 vcc, s[22:23], v[0:1]
	s_and_b64 exec, exec, vcc
	s_cbranch_execz .LBB147_16
; %bb.125:
	s_waitcnt vmcnt(0)
	v_lshlrev_b64 v[2:3], 3, v[20:21]
	v_mov_b32_e32 v4, s19
	v_add_co_u32_e32 v2, vcc, s18, v2
	v_addc_co_u32_e32 v3, vcc, v4, v3, vcc
	global_load_dwordx2 v[34:35], v[2:3], off
	ds_read_b128 v[2:5], v62
	ds_read_b128 v[6:9], v62 offset:16
	ds_read_b128 v[10:13], v62 offset:32
	;; [unrolled: 1-line block ×3, first 2 shown]
	v_add_co_u32_e32 v36, vcc, s30, v0
	v_addc_co_u32_e32 v37, vcc, 0, v1, vcc
	s_waitcnt lgkmcnt(3)
	v_cmp_gt_i64_e32 vcc, v[0:1], v[2:3]
	v_cndmask_b32_e64 v2, 0, 1, vcc
	v_cmp_gt_i64_e32 vcc, v[0:1], v[4:5]
	v_cndmask_b32_e64 v3, 0, 1, vcc
	s_waitcnt lgkmcnt(2)
	v_cmp_gt_i64_e32 vcc, v[0:1], v[6:7]
	v_cndmask_b32_e64 v4, 0, 1, vcc
	v_cmp_gt_i64_e32 vcc, v[0:1], v[8:9]
	v_cndmask_b32_e64 v5, 0, 1, vcc
	s_waitcnt lgkmcnt(1)
	v_cmp_gt_i64_e32 vcc, v[0:1], v[10:11]
	v_cndmask_b32_e64 v6, 0, 1, vcc
	v_cmp_gt_i64_e32 vcc, v[0:1], v[12:13]
	v_cndmask_b32_e64 v7, 0, 1, vcc
	s_waitcnt lgkmcnt(0)
	v_cmp_gt_i64_e32 vcc, v[0:1], v[14:15]
	v_cndmask_b32_e64 v8, 0, 1, vcc
	v_cmp_gt_i64_e32 vcc, v[0:1], v[16:17]
	v_cndmask_b32_e64 v0, 0, 1, vcc
	s_cmp_eq_u32 s33, 0
	v_lshlrev_b32_e32 v26, 2, v53
	s_cselect_b32 s4, 1, 2
	s_cselect_b32 s5, 2, 1
	v_or_b32_e32 v27, s4, v26
	v_or_b32_e32 v26, s5, v26
	v_lshl_add_u32 v22, v53, 6, v63
	v_lshl_add_u32 v27, v27, 4, v63
	;; [unrolled: 1-line block ×3, first 2 shown]
	ds_read2_b64 v[18:21], v22 offset1:1
	ds_read2_b64 v[22:25], v22 offset0:6 offset1:7
	ds_read2_b64 v[26:29], v27 offset1:1
	ds_read2_b64 v[30:33], v30 offset1:1
	v_mov_b32_e32 v38, s45
	v_mov_b32_e32 v39, s47
	s_waitcnt vmcnt(0)
	v_subrev_co_u32_e32 v1, vcc, s30, v34
	v_subbrev_co_u32_e32 v9, vcc, 0, v35, vcc
	v_add_co_u32_e32 v1, vcc, v1, v2
	v_addc_co_u32_e32 v2, vcc, 0, v9, vcc
	v_add_co_u32_e32 v1, vcc, v1, v3
	v_addc_co_u32_e32 v2, vcc, 0, v2, vcc
	;; [unrolled: 2-line block ×8, first 2 shown]
	v_lshlrev_b64 v[2:3], 3, v[0:1]
	v_add_co_u32_e32 v2, vcc, s44, v2
	v_lshlrev_b64 v[0:1], 6, v[0:1]
	v_addc_co_u32_e32 v3, vcc, v38, v3, vcc
	v_add_co_u32_e32 v0, vcc, s46, v0
	v_addc_co_u32_e32 v1, vcc, v39, v1, vcc
	global_store_dwordx2 v[2:3], v[36:37], off
	s_waitcnt lgkmcnt(3)
	global_store_dwordx4 v[0:1], v[18:21], off
	s_waitcnt lgkmcnt(1)
	global_store_dwordx4 v[0:1], v[26:29], off offset:16
	s_waitcnt lgkmcnt(0)
	global_store_dwordx4 v[0:1], v[30:33], off offset:32
	global_store_dwordx4 v[0:1], v[22:25], off offset:48
	s_endpgm
	.section	.rodata,"a",@progbits
	.p2align	6, 0x0
	.amdhsa_kernel _ZN9rocsparseL27bsrgemm_fill_wf_per_row_2x2ILj256ELj16ELj8ELj137Ell21rocsparse_complex_numIdEEEv20rocsparse_direction_T4_S4_PKS4_S6_NS_24const_host_device_scalarIT5_EEPKT3_S6_PKS8_SC_S6_SE_S9_SC_S6_SE_SC_PS4_PS8_21rocsparse_index_base_SH_SH_SH_bbb
		.amdhsa_group_segment_fixed_size 9216
		.amdhsa_private_segment_fixed_size 24
		.amdhsa_kernarg_size 188
		.amdhsa_user_sgpr_count 8
		.amdhsa_user_sgpr_private_segment_buffer 1
		.amdhsa_user_sgpr_dispatch_ptr 0
		.amdhsa_user_sgpr_queue_ptr 0
		.amdhsa_user_sgpr_kernarg_segment_ptr 1
		.amdhsa_user_sgpr_dispatch_id 0
		.amdhsa_user_sgpr_flat_scratch_init 1
		.amdhsa_user_sgpr_kernarg_preload_length 0
		.amdhsa_user_sgpr_kernarg_preload_offset 0
		.amdhsa_user_sgpr_private_segment_size 0
		.amdhsa_uses_dynamic_stack 0
		.amdhsa_system_sgpr_private_segment_wavefront_offset 1
		.amdhsa_system_sgpr_workgroup_id_x 1
		.amdhsa_system_sgpr_workgroup_id_y 0
		.amdhsa_system_sgpr_workgroup_id_z 0
		.amdhsa_system_sgpr_workgroup_info 0
		.amdhsa_system_vgpr_workitem_id 0
		.amdhsa_next_free_vgpr 67
		.amdhsa_next_free_sgpr 61
		.amdhsa_accum_offset 68
		.amdhsa_reserve_vcc 1
		.amdhsa_reserve_flat_scratch 1
		.amdhsa_float_round_mode_32 0
		.amdhsa_float_round_mode_16_64 0
		.amdhsa_float_denorm_mode_32 3
		.amdhsa_float_denorm_mode_16_64 3
		.amdhsa_dx10_clamp 1
		.amdhsa_ieee_mode 1
		.amdhsa_fp16_overflow 0
		.amdhsa_tg_split 0
		.amdhsa_exception_fp_ieee_invalid_op 0
		.amdhsa_exception_fp_denorm_src 0
		.amdhsa_exception_fp_ieee_div_zero 0
		.amdhsa_exception_fp_ieee_overflow 0
		.amdhsa_exception_fp_ieee_underflow 0
		.amdhsa_exception_fp_ieee_inexact 0
		.amdhsa_exception_int_div_zero 0
	.end_amdhsa_kernel
	.section	.text._ZN9rocsparseL27bsrgemm_fill_wf_per_row_2x2ILj256ELj16ELj8ELj137Ell21rocsparse_complex_numIdEEEv20rocsparse_direction_T4_S4_PKS4_S6_NS_24const_host_device_scalarIT5_EEPKT3_S6_PKS8_SC_S6_SE_S9_SC_S6_SE_SC_PS4_PS8_21rocsparse_index_base_SH_SH_SH_bbb,"axG",@progbits,_ZN9rocsparseL27bsrgemm_fill_wf_per_row_2x2ILj256ELj16ELj8ELj137Ell21rocsparse_complex_numIdEEEv20rocsparse_direction_T4_S4_PKS4_S6_NS_24const_host_device_scalarIT5_EEPKT3_S6_PKS8_SC_S6_SE_S9_SC_S6_SE_SC_PS4_PS8_21rocsparse_index_base_SH_SH_SH_bbb,comdat
.Lfunc_end147:
	.size	_ZN9rocsparseL27bsrgemm_fill_wf_per_row_2x2ILj256ELj16ELj8ELj137Ell21rocsparse_complex_numIdEEEv20rocsparse_direction_T4_S4_PKS4_S6_NS_24const_host_device_scalarIT5_EEPKT3_S6_PKS8_SC_S6_SE_S9_SC_S6_SE_SC_PS4_PS8_21rocsparse_index_base_SH_SH_SH_bbb, .Lfunc_end147-_ZN9rocsparseL27bsrgemm_fill_wf_per_row_2x2ILj256ELj16ELj8ELj137Ell21rocsparse_complex_numIdEEEv20rocsparse_direction_T4_S4_PKS4_S6_NS_24const_host_device_scalarIT5_EEPKT3_S6_PKS8_SC_S6_SE_S9_SC_S6_SE_SC_PS4_PS8_21rocsparse_index_base_SH_SH_SH_bbb
                                        ; -- End function
	.section	.AMDGPU.csdata,"",@progbits
; Kernel info:
; codeLenInByte = 4316
; NumSgprs: 67
; NumVgprs: 67
; NumAgprs: 0
; TotalNumVgprs: 67
; ScratchSize: 24
; MemoryBound: 0
; FloatMode: 240
; IeeeMode: 1
; LDSByteSize: 9216 bytes/workgroup (compile time only)
; SGPRBlocks: 8
; VGPRBlocks: 8
; NumSGPRsForWavesPerEU: 67
; NumVGPRsForWavesPerEU: 67
; AccumOffset: 68
; Occupancy: 7
; WaveLimiterHint : 1
; COMPUTE_PGM_RSRC2:SCRATCH_EN: 1
; COMPUTE_PGM_RSRC2:USER_SGPR: 8
; COMPUTE_PGM_RSRC2:TRAP_HANDLER: 0
; COMPUTE_PGM_RSRC2:TGID_X_EN: 1
; COMPUTE_PGM_RSRC2:TGID_Y_EN: 0
; COMPUTE_PGM_RSRC2:TGID_Z_EN: 0
; COMPUTE_PGM_RSRC2:TIDIG_COMP_CNT: 0
; COMPUTE_PGM_RSRC3_GFX90A:ACCUM_OFFSET: 16
; COMPUTE_PGM_RSRC3_GFX90A:TG_SPLIT: 0
	.section	.text._ZN9rocsparseL27bsrgemm_fill_wf_per_row_2x2ILj256ELj16ELj16ELj137Ell21rocsparse_complex_numIdEEEv20rocsparse_direction_T4_S4_PKS4_S6_NS_24const_host_device_scalarIT5_EEPKT3_S6_PKS8_SC_S6_SE_S9_SC_S6_SE_SC_PS4_PS8_21rocsparse_index_base_SH_SH_SH_bbb,"axG",@progbits,_ZN9rocsparseL27bsrgemm_fill_wf_per_row_2x2ILj256ELj16ELj16ELj137Ell21rocsparse_complex_numIdEEEv20rocsparse_direction_T4_S4_PKS4_S6_NS_24const_host_device_scalarIT5_EEPKT3_S6_PKS8_SC_S6_SE_S9_SC_S6_SE_SC_PS4_PS8_21rocsparse_index_base_SH_SH_SH_bbb,comdat
	.globl	_ZN9rocsparseL27bsrgemm_fill_wf_per_row_2x2ILj256ELj16ELj16ELj137Ell21rocsparse_complex_numIdEEEv20rocsparse_direction_T4_S4_PKS4_S6_NS_24const_host_device_scalarIT5_EEPKT3_S6_PKS8_SC_S6_SE_S9_SC_S6_SE_SC_PS4_PS8_21rocsparse_index_base_SH_SH_SH_bbb ; -- Begin function _ZN9rocsparseL27bsrgemm_fill_wf_per_row_2x2ILj256ELj16ELj16ELj137Ell21rocsparse_complex_numIdEEEv20rocsparse_direction_T4_S4_PKS4_S6_NS_24const_host_device_scalarIT5_EEPKT3_S6_PKS8_SC_S6_SE_S9_SC_S6_SE_SC_PS4_PS8_21rocsparse_index_base_SH_SH_SH_bbb
	.p2align	8
	.type	_ZN9rocsparseL27bsrgemm_fill_wf_per_row_2x2ILj256ELj16ELj16ELj137Ell21rocsparse_complex_numIdEEEv20rocsparse_direction_T4_S4_PKS4_S6_NS_24const_host_device_scalarIT5_EEPKT3_S6_PKS8_SC_S6_SE_S9_SC_S6_SE_SC_PS4_PS8_21rocsparse_index_base_SH_SH_SH_bbb,@function
_ZN9rocsparseL27bsrgemm_fill_wf_per_row_2x2ILj256ELj16ELj16ELj137Ell21rocsparse_complex_numIdEEEv20rocsparse_direction_T4_S4_PKS4_S6_NS_24const_host_device_scalarIT5_EEPKT3_S6_PKS8_SC_S6_SE_S9_SC_S6_SE_SC_PS4_PS8_21rocsparse_index_base_SH_SH_SH_bbb: ; @_ZN9rocsparseL27bsrgemm_fill_wf_per_row_2x2ILj256ELj16ELj16ELj137Ell21rocsparse_complex_numIdEEEv20rocsparse_direction_T4_S4_PKS4_S6_NS_24const_host_device_scalarIT5_EEPKT3_S6_PKS8_SC_S6_SE_S9_SC_S6_SE_SC_PS4_PS8_21rocsparse_index_base_SH_SH_SH_bbb
; %bb.0:
	s_add_u32 flat_scratch_lo, s8, s11
	s_addc_u32 flat_scratch_hi, s9, 0
	s_add_u32 s0, s0, s11
	s_load_dword s11, s[6:7], 0xb8
	s_load_dwordx4 s[28:31], s[6:7], 0xa8
	s_load_dwordx2 s[8:9], s[4:5], 0x4
	s_addc_u32 s1, s1, 0
	s_load_dwordx4 s[12:15], s[6:7], 0x28
	s_load_dwordx4 s[40:43], s[6:7], 0x68
	s_waitcnt lgkmcnt(0)
	s_bitcmp1_b32 s11, 0
	s_cselect_b64 s[52:53], -1, 0
	s_bitcmp1_b32 s11, 16
	s_cselect_b64 s[4:5], -1, 0
	s_lshr_b32 s8, s8, 16
	v_and_b32_e32 v1, 0x3ff, v0
	s_mul_i32 s8, s8, s9
	v_mul_lo_u32 v2, s8, v1
	v_bfe_u32 v3, v0, 10, 10
	v_mad_u32_u24 v2, v3, s9, v2
	v_bfe_u32 v0, v0, 20, 10
	v_add_lshl_u32 v0, v2, v0, 3
	v_pk_mov_b32 v[2:3], s[12:13], s[12:13] op_sel:[0,1]
	ds_write_b64 v0, v[2:3] offset:18432
	v_mov_b32_e32 v2, s41
	buffer_store_dword v2, off, s[0:3], 0 offset:4
	v_mov_b32_e32 v2, s40
	s_xor_b64 s[8:9], s[4:5], -1
	buffer_store_dword v2, off, s[0:3], 0
	v_pk_mov_b32 v[16:17], 0, 0
	v_cndmask_b32_e64 v2, 0, 1, s[8:9]
	s_bitcmp0_b32 s11, 0
	v_cmp_ne_u32_e64 s[8:9], 1, v2
	v_pk_mov_b32 v[22:23], v[16:17], v[16:17] op_sel:[0,1]
	v_pk_mov_b32 v[24:25], v[16:17], v[16:17] op_sel:[0,1]
	s_cbranch_scc1 .LBB148_3
; %bb.1:
	s_mov_b64 s[16:17], src_shared_base
	s_and_b64 s[18:19], s[4:5], exec
	v_add_u32_e32 v0, 0x4800, v0
	s_cselect_b32 s16, s17, s13
	v_mov_b32_e32 v2, s12
	v_cndmask_b32_e64 v2, v2, v0, s[4:5]
	v_mov_b32_e32 v3, s16
	flat_load_dwordx2 v[22:23], v[2:3]
	s_and_b64 vcc, exec, s[8:9]
	v_pk_mov_b32 v[24:25], s[14:15], s[14:15] op_sel:[0,1]
	s_cbranch_vccnz .LBB148_3
; %bb.2:
	v_pk_mov_b32 v[2:3], s[12:13], s[12:13] op_sel:[0,1]
	flat_load_dwordx2 v[24:25], v[2:3] offset:8
.LBB148_3:
	s_load_dwordx4 s[36:39], s[6:7], 0x98
	s_load_dwordx8 s[12:19], s[6:7], 0x78
	s_load_dwordx4 s[44:47], s[6:7], 0x58
	s_load_dwordx4 s[48:51], s[6:7], 0x18
	s_load_dwordx8 s[20:27], s[6:7], 0x38
	s_bitcmp1_b32 s11, 8
	s_cselect_b64 s[34:35], -1, 0
	s_bfe_u32 s11, s11, 0x10008
	s_mov_b64 s[54:55], 0
	s_cmp_eq_u32 s11, 0
	v_pk_mov_b32 v[18:19], v[16:17], v[16:17] op_sel:[0,1]
	s_cbranch_scc1 .LBB148_6
; %bb.4:
	s_mov_b64 s[56:57], src_private_base
	s_and_b64 s[58:59], s[4:5], exec
	s_cselect_b32 s11, s57, s41
	v_mov_b32_e32 v0, 0
	v_mov_b32_e32 v2, s40
	v_cndmask_b32_e64 v2, v2, v0, s[4:5]
	v_mov_b32_e32 v3, s11
	flat_load_dwordx2 v[18:19], v[2:3]
	s_and_b64 vcc, exec, s[8:9]
	v_pk_mov_b32 v[16:17], s[42:43], s[42:43] op_sel:[0,1]
	s_cbranch_vccnz .LBB148_6
; %bb.5:
	v_pk_mov_b32 v[2:3], s[40:41], s[40:41] op_sel:[0,1]
	flat_load_dwordx2 v[16:17], v[2:3] offset:8
.LBB148_6:
	s_load_dwordx4 s[40:43], s[6:7], 0x8
	v_and_b32_e32 v53, 15, v1
	v_lshrrev_b32_e32 v4, 4, v1
	v_and_b32_e32 v0, 0xf0, v1
	v_mov_b32_e32 v1, 0x4000
	v_lshl_or_b32 v63, v0, 3, v1
	v_lshl_or_b32 v64, v53, 3, v63
	s_waitcnt lgkmcnt(0)
	v_pk_mov_b32 v[0:1], s[42:43], s[42:43] op_sel:[0,1]
	ds_write_b64 v64, v[0:1]
	v_lshlrev_b32_e32 v0, 4, v53
	v_lshl_or_b32 v6, v4, 10, v0
	v_mov_b32_e32 v0, 0
	v_or_b32_e32 v5, -16, v53
	v_mov_b32_e32 v1, v0
	v_mov_b32_e32 v2, v0
	v_mov_b32_e32 v3, v0
.LBB148_7:                              ; =>This Inner Loop Header: Depth=1
	v_add_u32_e32 v5, 16, v5
	v_cmp_lt_u32_e32 vcc, 47, v5
	ds_write_b128 v6, v[0:3]
	s_or_b64 s[54:55], vcc, s[54:55]
	v_add_u32_e32 v6, 0x100, v6
	s_andn2_b64 exec, exec, s[54:55]
	s_cbranch_execnz .LBB148_7
; %bb.8:
	s_or_b64 exec, exec, s[54:55]
	v_lshl_or_b32 v0, s10, 4, v4
	v_mov_b32_e32 v1, 0
	v_cmp_gt_i64_e32 vcc, s[40:41], v[0:1]
	s_waitcnt lgkmcnt(0)
	s_barrier
	s_and_saveexec_b64 s[4:5], vcc
	s_cbranch_execz .LBB148_122
; %bb.9:
	s_cmp_eq_u64 s[50:51], 0
	s_cbranch_scc1 .LBB148_11
; %bb.10:
	s_load_dwordx2 s[4:5], s[48:49], 0x0
	v_lshlrev_b64 v[0:1], 3, v[0:1]
	s_waitcnt lgkmcnt(0)
	s_lshl_b64 s[4:5], s[4:5], 3
	s_add_u32 s4, s50, s4
	s_addc_u32 s5, s51, s5
	v_mov_b32_e32 v2, s5
	v_add_co_u32_e32 v0, vcc, s4, v0
	v_addc_co_u32_e32 v1, vcc, v2, v1, vcc
	global_load_dwordx2 v[0:1], v[0:1], off
.LBB148_11:
	s_load_dword s33, s[6:7], 0x0
	v_lshlrev_b32_e32 v62, 10, v4
	s_andn2_b64 vcc, exec, s[52:53]
	s_waitcnt vmcnt(0)
	v_lshlrev_b64 v[20:21], 3, v[0:1]
	s_cbranch_vccnz .LBB148_67
; %bb.12:
	v_mov_b32_e32 v1, s21
	v_add_co_u32_e32 v0, vcc, s20, v20
	v_addc_co_u32_e32 v1, vcc, v1, v21, vcc
	global_load_dwordx4 v[0:3], v[0:1], off
	v_subrev_co_u32_e32 v4, vcc, s28, v53
	v_subb_co_u32_e64 v5, s[4:5], 0, 0, vcc
	s_mov_b32 s8, 0
	s_waitcnt vmcnt(0)
	v_subrev_co_u32_e32 v26, vcc, s28, v2
	v_subbrev_co_u32_e32 v27, vcc, 0, v3, vcc
	v_add_co_u32_e32 v28, vcc, v0, v4
	v_addc_co_u32_e32 v29, vcc, v1, v5, vcc
	v_cmp_lt_i64_e32 vcc, v[28:29], v[26:27]
	s_and_saveexec_b64 s[4:5], vcc
	s_cbranch_execz .LBB148_66
; %bb.13:
	s_waitcnt lgkmcnt(0)
	s_cmp_eq_u32 s33, 0
	s_mov_b32 s54, s28
	s_mov_b32 s55, s29
	;; [unrolled: 1-line block ×3, first 2 shown]
	s_cselect_b32 s57, 1, 2
	s_cselect_b32 s58, 2, 1
	s_mov_b64 s[6:7], 0
	v_mov_b32_e32 v65, s23
	v_mov_b32_e32 v66, s8
	;; [unrolled: 1-line block ×3, first 2 shown]
	s_branch .LBB148_15
.LBB148_14:                             ;   in Loop: Header=BB148_15 Depth=1
	s_or_b64 exec, exec, s[8:9]
	v_add_co_u32_e32 v28, vcc, 16, v28
	v_addc_co_u32_e32 v29, vcc, 0, v29, vcc
	v_cmp_ge_i64_e32 vcc, v[28:29], v[26:27]
	s_or_b64 s[6:7], vcc, s[6:7]
	s_andn2_b64 exec, exec, s[6:7]
	s_cbranch_execz .LBB148_66
.LBB148_15:                             ; =>This Loop Header: Depth=1
                                        ;     Child Loop BB148_18 Depth 2
                                        ;       Child Loop BB148_20 Depth 3
                                        ;       Child Loop BB148_32 Depth 3
	;; [unrolled: 1-line block ×4, first 2 shown]
	v_lshlrev_b64 v[0:1], 3, v[28:29]
	v_add_co_u32_e32 v0, vcc, s22, v0
	v_addc_co_u32_e32 v1, vcc, v65, v1, vcc
	global_load_dwordx2 v[0:1], v[0:1], off
	s_waitcnt vmcnt(0)
	v_subrev_co_u32_e32 v0, vcc, s54, v0
	v_subb_co_u32_e32 v1, vcc, v1, v66, vcc
	v_lshlrev_b64 v[0:1], 3, v[0:1]
	v_add_co_u32_e32 v0, vcc, s26, v0
	v_addc_co_u32_e32 v1, vcc, v67, v1, vcc
	global_load_dwordx4 v[0:3], v[0:1], off
	s_waitcnt vmcnt(0)
	v_cmp_lt_i64_e32 vcc, v[0:1], v[2:3]
	s_and_saveexec_b64 s[8:9], vcc
	s_cbranch_execz .LBB148_14
; %bb.16:                               ;   in Loop: Header=BB148_15 Depth=1
	v_lshlrev_b64 v[4:5], 6, v[28:29]
	v_mov_b32_e32 v32, s25
	v_add_co_u32_e32 v12, vcc, s24, v4
	v_lshlrev_b64 v[30:31], 2, v[28:29]
	v_addc_co_u32_e32 v13, vcc, v32, v5, vcc
	global_load_dwordx4 v[4:7], v[12:13], off
	global_load_dwordx4 v[8:11], v[12:13], off offset:48
	v_or_b32_e32 v13, 0, v31
	v_or_b32_e32 v12, s57, v30
	v_lshlrev_b64 v[12:13], 4, v[12:13]
	v_add_co_u32_e32 v12, vcc, s24, v12
	v_or_b32_e32 v31, 0, v31
	v_or_b32_e32 v30, s58, v30
	v_addc_co_u32_e32 v13, vcc, v32, v13, vcc
	v_lshlrev_b64 v[30:31], 4, v[30:31]
	v_add_co_u32_e32 v30, vcc, s24, v30
	v_addc_co_u32_e32 v31, vcc, v32, v31, vcc
	global_load_dwordx4 v[12:15], v[12:13], off
	v_mov_b32_e32 v33, s56
	global_load_dwordx4 v[54:57], v[30:31], off
	v_subrev_co_u32_e32 v30, vcc, s55, v2
	v_subb_co_u32_e32 v31, vcc, v3, v33, vcc
	v_subrev_co_u32_e32 v32, vcc, s55, v0
	v_subb_co_u32_e32 v33, vcc, v1, v33, vcc
	s_mov_b64 s[10:11], 0
	s_waitcnt vmcnt(3)
	v_mul_f64 v[34:35], v[6:7], -v[24:25]
	v_mul_f64 v[36:37], v[22:23], v[6:7]
	s_waitcnt vmcnt(2)
	v_mul_f64 v[38:39], v[10:11], -v[24:25]
	v_mul_f64 v[40:41], v[22:23], v[10:11]
	v_fmac_f64_e32 v[34:35], v[22:23], v[4:5]
	v_fmac_f64_e32 v[36:37], v[24:25], v[4:5]
	;; [unrolled: 1-line block ×4, first 2 shown]
	s_waitcnt vmcnt(1)
	v_mul_f64 v[42:43], v[14:15], -v[24:25]
	v_mul_f64 v[44:45], v[22:23], v[14:15]
	s_waitcnt vmcnt(0)
	v_mul_f64 v[46:47], v[56:57], -v[24:25]
	v_mul_f64 v[48:49], v[22:23], v[56:57]
	v_fmac_f64_e32 v[42:43], v[22:23], v[12:13]
	v_fmac_f64_e32 v[44:45], v[24:25], v[12:13]
	v_fmac_f64_e32 v[46:47], v[22:23], v[54:55]
	v_fmac_f64_e32 v[48:49], v[24:25], v[54:55]
	s_branch .LBB148_18
.LBB148_17:                             ;   in Loop: Header=BB148_18 Depth=2
	s_or_b64 exec, exec, s[20:21]
	v_add_co_u32_e32 v32, vcc, 1, v32
	v_addc_co_u32_e32 v33, vcc, 0, v33, vcc
	v_cmp_ge_i64_e32 vcc, v[32:33], v[30:31]
	s_or_b64 s[10:11], vcc, s[10:11]
	s_andn2_b64 exec, exec, s[10:11]
	s_cbranch_execz .LBB148_14
.LBB148_18:                             ;   Parent Loop BB148_15 Depth=1
                                        ; =>  This Loop Header: Depth=2
                                        ;       Child Loop BB148_20 Depth 3
                                        ;       Child Loop BB148_32 Depth 3
	;; [unrolled: 1-line block ×4, first 2 shown]
	v_lshlrev_b64 v[0:1], 3, v[32:33]
	v_mov_b32_e32 v2, s45
	v_add_co_u32_e32 v0, vcc, s44, v0
	v_addc_co_u32_e32 v1, vcc, v2, v1, vcc
	global_load_dwordx2 v[50:51], v[0:1], off
	v_lshlrev_b64 v[0:1], 2, v[32:33]
	v_or_b32_e32 v3, 0, v1
	v_or_b32_e32 v2, s57, v0
	v_or_b32_e32 v1, 0, v1
	v_or_b32_e32 v0, s58, v0
	v_lshlrev_b64 v[0:1], 4, v[0:1]
	v_mov_b32_e32 v6, s47
	v_add_co_u32_e32 v0, vcc, s46, v0
	v_lshlrev_b64 v[4:5], 6, v[32:33]
	v_addc_co_u32_e32 v1, vcc, v6, v1, vcc
	v_add_co_u32_e32 v54, vcc, s46, v4
	global_load_dwordx4 v[12:15], v[0:1], off
	v_addc_co_u32_e32 v55, vcc, v6, v5, vcc
	global_load_dwordx4 v[8:11], v[54:55], off
	v_lshlrev_b64 v[0:1], 4, v[2:3]
	v_add_co_u32_e32 v56, vcc, s46, v0
	v_addc_co_u32_e32 v57, vcc, v6, v1, vcc
	global_load_dwordx4 v[0:3], v[56:57], off
	global_load_dwordx4 v[4:7], v[54:55], off offset:48
	v_mov_b32_e32 v52, s56
	s_mov_b64 s[20:21], 0
	s_waitcnt vmcnt(4)
	v_subrev_co_u32_e32 v50, vcc, s55, v50
	v_subb_co_u32_e32 v51, vcc, v51, v52, vcc
	v_lshl_add_u32 v52, v50, 3, v50
	v_and_b32_e32 v52, 15, v52
	v_pk_mov_b32 v[58:59], v[52:53], v[52:53] op_sel:[0,1]
	s_waitcnt vmcnt(3)
	v_mul_f64 v[56:57], v[14:15], -v[44:45]
	v_mul_f64 v[54:55], v[42:43], v[14:15]
	v_fmac_f64_e32 v[56:57], v[42:43], v[12:13]
	v_fmac_f64_e32 v[54:55], v[44:45], v[12:13]
	s_waitcnt vmcnt(2)
	v_fmac_f64_e32 v[56:57], v[34:35], v[8:9]
	v_fmac_f64_e32 v[54:55], v[36:37], v[8:9]
	v_fma_f64 v[56:57], -v[36:37], v[10:11], v[56:57]
	v_fmac_f64_e32 v[54:55], v[34:35], v[10:11]
	s_branch .LBB148_20
.LBB148_19:                             ;   in Loop: Header=BB148_20 Depth=3
	s_or_b64 exec, exec, s[28:29]
	s_xor_b64 s[28:29], s[40:41], -1
	s_and_b64 s[28:29], exec, s[28:29]
	s_or_b64 s[20:21], s[28:29], s[20:21]
	s_andn2_b64 exec, exec, s[20:21]
	s_cbranch_execz .LBB148_30
.LBB148_20:                             ;   Parent Loop BB148_15 Depth=1
                                        ;     Parent Loop BB148_18 Depth=2
                                        ; =>    This Inner Loop Header: Depth=3
	v_lshl_add_u32 v59, v58, 3, v63
	ds_read_b64 v[60:61], v59
                                        ; implicit-def: $sgpr40_sgpr41
	s_waitcnt lgkmcnt(0)
	v_cmp_ne_u64_e32 vcc, v[60:61], v[50:51]
	s_and_saveexec_b64 s[28:29], vcc
	s_xor_b64 s[28:29], exec, s[28:29]
	s_cbranch_execz .LBB148_28
; %bb.21:                               ;   in Loop: Header=BB148_20 Depth=3
	v_cmp_ne_u64_e32 vcc, s[42:43], v[60:61]
                                        ; implicit-def: $sgpr40_sgpr41
	s_and_saveexec_b64 s[48:49], vcc
	s_xor_b64 s[48:49], exec, s[48:49]
; %bb.22:                               ;   in Loop: Header=BB148_20 Depth=3
	v_add_u32_e32 v58, 1, v58
	v_and_b32_e32 v58, 15, v58
	s_mov_b64 s[40:41], -1
                                        ; implicit-def: $vgpr59
; %bb.23:                               ;   in Loop: Header=BB148_20 Depth=3
	s_andn2_saveexec_b64 s[48:49], s[48:49]
	s_cbranch_execz .LBB148_27
; %bb.24:                               ;   in Loop: Header=BB148_20 Depth=3
	v_pk_mov_b32 v[60:61], s[42:43], s[42:43] op_sel:[0,1]
	ds_cmpst_rtn_b64 v[60:61], v59, v[60:61], v[50:51]
	s_mov_b64 s[50:51], -1
	s_waitcnt lgkmcnt(0)
	v_cmp_eq_u64_e32 vcc, s[42:43], v[60:61]
	s_and_saveexec_b64 s[52:53], vcc
	s_cbranch_execz .LBB148_26
; %bb.25:                               ;   in Loop: Header=BB148_20 Depth=3
	v_lshl_add_u32 v59, v58, 6, v62
	ds_add_f64 v59, v[56:57]
	ds_add_f64 v59, v[54:55] offset:8
	s_xor_b64 s[50:51], exec, -1
.LBB148_26:                             ;   in Loop: Header=BB148_20 Depth=3
	s_or_b64 exec, exec, s[52:53]
	s_andn2_b64 s[40:41], s[40:41], exec
	s_and_b64 s[50:51], s[50:51], exec
	s_or_b64 s[40:41], s[40:41], s[50:51]
.LBB148_27:                             ;   in Loop: Header=BB148_20 Depth=3
	s_or_b64 exec, exec, s[48:49]
	s_and_b64 s[40:41], s[40:41], exec
.LBB148_28:                             ;   in Loop: Header=BB148_20 Depth=3
	s_andn2_saveexec_b64 s[28:29], s[28:29]
	s_cbranch_execz .LBB148_19
; %bb.29:                               ;   in Loop: Header=BB148_20 Depth=3
	v_lshl_add_u32 v59, v58, 6, v62
	ds_add_f64 v59, v[56:57]
	ds_add_f64 v59, v[54:55] offset:8
	s_andn2_b64 s[40:41], s[40:41], exec
	s_branch .LBB148_19
.LBB148_30:                             ;   in Loop: Header=BB148_18 Depth=2
	s_or_b64 exec, exec, s[20:21]
	s_waitcnt vmcnt(0)
	v_mul_f64 v[56:57], v[6:7], -v[44:45]
	v_mul_f64 v[54:55], v[42:43], v[6:7]
	v_fmac_f64_e32 v[56:57], v[42:43], v[4:5]
	v_fmac_f64_e32 v[54:55], v[44:45], v[4:5]
	;; [unrolled: 1-line block ×4, first 2 shown]
	v_fma_f64 v[56:57], -v[36:37], v[2:3], v[56:57]
	v_fmac_f64_e32 v[54:55], v[34:35], v[2:3]
	s_mov_b64 s[20:21], 0
	v_pk_mov_b32 v[58:59], v[52:53], v[52:53] op_sel:[0,1]
	s_branch .LBB148_32
.LBB148_31:                             ;   in Loop: Header=BB148_32 Depth=3
	s_or_b64 exec, exec, s[28:29]
	s_xor_b64 s[28:29], s[40:41], -1
	s_and_b64 s[28:29], exec, s[28:29]
	s_or_b64 s[20:21], s[28:29], s[20:21]
	s_andn2_b64 exec, exec, s[20:21]
	s_cbranch_execz .LBB148_42
.LBB148_32:                             ;   Parent Loop BB148_15 Depth=1
                                        ;     Parent Loop BB148_18 Depth=2
                                        ; =>    This Inner Loop Header: Depth=3
	v_lshl_add_u32 v59, v58, 3, v63
	ds_read_b64 v[60:61], v59
                                        ; implicit-def: $sgpr40_sgpr41
	s_waitcnt lgkmcnt(0)
	v_cmp_ne_u64_e32 vcc, v[60:61], v[50:51]
	s_and_saveexec_b64 s[28:29], vcc
	s_xor_b64 s[28:29], exec, s[28:29]
	s_cbranch_execz .LBB148_40
; %bb.33:                               ;   in Loop: Header=BB148_32 Depth=3
	v_cmp_ne_u64_e32 vcc, s[42:43], v[60:61]
                                        ; implicit-def: $sgpr40_sgpr41
	s_and_saveexec_b64 s[48:49], vcc
	s_xor_b64 s[48:49], exec, s[48:49]
; %bb.34:                               ;   in Loop: Header=BB148_32 Depth=3
	v_add_u32_e32 v58, 1, v58
	v_and_b32_e32 v58, 15, v58
	s_mov_b64 s[40:41], -1
                                        ; implicit-def: $vgpr59
; %bb.35:                               ;   in Loop: Header=BB148_32 Depth=3
	s_andn2_saveexec_b64 s[48:49], s[48:49]
	s_cbranch_execz .LBB148_39
; %bb.36:                               ;   in Loop: Header=BB148_32 Depth=3
	v_pk_mov_b32 v[60:61], s[42:43], s[42:43] op_sel:[0,1]
	ds_cmpst_rtn_b64 v[60:61], v59, v[60:61], v[50:51]
	s_mov_b64 s[50:51], -1
	s_waitcnt lgkmcnt(0)
	v_cmp_eq_u64_e32 vcc, s[42:43], v[60:61]
	s_and_saveexec_b64 s[52:53], vcc
	s_cbranch_execz .LBB148_38
; %bb.37:                               ;   in Loop: Header=BB148_32 Depth=3
	v_lshl_add_u32 v59, v58, 6, v62
	ds_add_f64 v59, v[56:57] offset:16
	ds_add_f64 v59, v[54:55] offset:24
	s_xor_b64 s[50:51], exec, -1
.LBB148_38:                             ;   in Loop: Header=BB148_32 Depth=3
	s_or_b64 exec, exec, s[52:53]
	s_andn2_b64 s[40:41], s[40:41], exec
	s_and_b64 s[50:51], s[50:51], exec
	s_or_b64 s[40:41], s[40:41], s[50:51]
.LBB148_39:                             ;   in Loop: Header=BB148_32 Depth=3
	s_or_b64 exec, exec, s[48:49]
	s_and_b64 s[40:41], s[40:41], exec
.LBB148_40:                             ;   in Loop: Header=BB148_32 Depth=3
	s_andn2_saveexec_b64 s[28:29], s[28:29]
	s_cbranch_execz .LBB148_31
; %bb.41:                               ;   in Loop: Header=BB148_32 Depth=3
	v_lshl_add_u32 v59, v58, 6, v62
	ds_add_f64 v59, v[56:57] offset:16
	ds_add_f64 v59, v[54:55] offset:24
	s_andn2_b64 s[40:41], s[40:41], exec
	s_branch .LBB148_31
.LBB148_42:                             ;   in Loop: Header=BB148_18 Depth=2
	s_or_b64 exec, exec, s[20:21]
	v_mul_f64 v[54:55], v[14:15], -v[40:41]
	v_mul_f64 v[14:15], v[38:39], v[14:15]
	v_fmac_f64_e32 v[54:55], v[38:39], v[12:13]
	v_fmac_f64_e32 v[14:15], v[40:41], v[12:13]
	;; [unrolled: 1-line block ×4, first 2 shown]
	v_fma_f64 v[12:13], -v[48:49], v[10:11], v[54:55]
	v_fmac_f64_e32 v[14:15], v[46:47], v[10:11]
	s_mov_b64 s[20:21], 0
	v_pk_mov_b32 v[8:9], v[52:53], v[52:53] op_sel:[0,1]
	s_branch .LBB148_44
.LBB148_43:                             ;   in Loop: Header=BB148_44 Depth=3
	s_or_b64 exec, exec, s[28:29]
	s_xor_b64 s[28:29], s[40:41], -1
	s_and_b64 s[28:29], exec, s[28:29]
	s_or_b64 s[20:21], s[28:29], s[20:21]
	s_andn2_b64 exec, exec, s[20:21]
	s_cbranch_execz .LBB148_54
.LBB148_44:                             ;   Parent Loop BB148_15 Depth=1
                                        ;     Parent Loop BB148_18 Depth=2
                                        ; =>    This Inner Loop Header: Depth=3
	v_lshl_add_u32 v9, v8, 3, v63
	ds_read_b64 v[10:11], v9
                                        ; implicit-def: $sgpr40_sgpr41
	s_waitcnt lgkmcnt(0)
	v_cmp_ne_u64_e32 vcc, v[10:11], v[50:51]
	s_and_saveexec_b64 s[28:29], vcc
	s_xor_b64 s[28:29], exec, s[28:29]
	s_cbranch_execz .LBB148_52
; %bb.45:                               ;   in Loop: Header=BB148_44 Depth=3
	v_cmp_ne_u64_e32 vcc, s[42:43], v[10:11]
                                        ; implicit-def: $sgpr40_sgpr41
	s_and_saveexec_b64 s[48:49], vcc
	s_xor_b64 s[48:49], exec, s[48:49]
; %bb.46:                               ;   in Loop: Header=BB148_44 Depth=3
	v_add_u32_e32 v8, 1, v8
	v_and_b32_e32 v8, 15, v8
	s_mov_b64 s[40:41], -1
                                        ; implicit-def: $vgpr9
; %bb.47:                               ;   in Loop: Header=BB148_44 Depth=3
	s_andn2_saveexec_b64 s[48:49], s[48:49]
	s_cbranch_execz .LBB148_51
; %bb.48:                               ;   in Loop: Header=BB148_44 Depth=3
	v_pk_mov_b32 v[10:11], s[42:43], s[42:43] op_sel:[0,1]
	ds_cmpst_rtn_b64 v[10:11], v9, v[10:11], v[50:51]
	s_mov_b64 s[50:51], -1
	s_waitcnt lgkmcnt(0)
	v_cmp_eq_u64_e32 vcc, s[42:43], v[10:11]
	s_and_saveexec_b64 s[52:53], vcc
	s_cbranch_execz .LBB148_50
; %bb.49:                               ;   in Loop: Header=BB148_44 Depth=3
	v_lshl_add_u32 v9, v8, 6, v62
	ds_add_f64 v9, v[12:13] offset:32
	ds_add_f64 v9, v[14:15] offset:40
	s_xor_b64 s[50:51], exec, -1
.LBB148_50:                             ;   in Loop: Header=BB148_44 Depth=3
	s_or_b64 exec, exec, s[52:53]
	s_andn2_b64 s[40:41], s[40:41], exec
	s_and_b64 s[50:51], s[50:51], exec
	s_or_b64 s[40:41], s[40:41], s[50:51]
.LBB148_51:                             ;   in Loop: Header=BB148_44 Depth=3
	s_or_b64 exec, exec, s[48:49]
	s_and_b64 s[40:41], s[40:41], exec
.LBB148_52:                             ;   in Loop: Header=BB148_44 Depth=3
	s_andn2_saveexec_b64 s[28:29], s[28:29]
	s_cbranch_execz .LBB148_43
; %bb.53:                               ;   in Loop: Header=BB148_44 Depth=3
	v_lshl_add_u32 v9, v8, 6, v62
	ds_add_f64 v9, v[12:13] offset:32
	ds_add_f64 v9, v[14:15] offset:40
	s_andn2_b64 s[40:41], s[40:41], exec
	s_branch .LBB148_43
.LBB148_54:                             ;   in Loop: Header=BB148_18 Depth=2
	s_or_b64 exec, exec, s[20:21]
	v_mul_f64 v[8:9], v[6:7], -v[40:41]
	v_mul_f64 v[6:7], v[38:39], v[6:7]
	v_fmac_f64_e32 v[8:9], v[38:39], v[4:5]
	v_fmac_f64_e32 v[6:7], v[40:41], v[4:5]
	;; [unrolled: 1-line block ×4, first 2 shown]
	v_fma_f64 v[4:5], -v[48:49], v[2:3], v[8:9]
	v_fmac_f64_e32 v[6:7], v[46:47], v[2:3]
	s_mov_b64 s[20:21], 0
	s_branch .LBB148_56
.LBB148_55:                             ;   in Loop: Header=BB148_56 Depth=3
	s_or_b64 exec, exec, s[28:29]
	s_xor_b64 s[28:29], s[40:41], -1
	s_and_b64 s[28:29], exec, s[28:29]
	s_or_b64 s[20:21], s[28:29], s[20:21]
	s_andn2_b64 exec, exec, s[20:21]
	s_cbranch_execz .LBB148_17
.LBB148_56:                             ;   Parent Loop BB148_15 Depth=1
                                        ;     Parent Loop BB148_18 Depth=2
                                        ; =>    This Inner Loop Header: Depth=3
	v_lshl_add_u32 v2, v52, 3, v63
	ds_read_b64 v[0:1], v2
                                        ; implicit-def: $sgpr40_sgpr41
	s_waitcnt lgkmcnt(0)
	v_cmp_ne_u64_e32 vcc, v[0:1], v[50:51]
	s_and_saveexec_b64 s[28:29], vcc
	s_xor_b64 s[28:29], exec, s[28:29]
	s_cbranch_execz .LBB148_64
; %bb.57:                               ;   in Loop: Header=BB148_56 Depth=3
	v_cmp_ne_u64_e32 vcc, s[42:43], v[0:1]
                                        ; implicit-def: $sgpr40_sgpr41
	s_and_saveexec_b64 s[48:49], vcc
	s_xor_b64 s[48:49], exec, s[48:49]
; %bb.58:                               ;   in Loop: Header=BB148_56 Depth=3
	v_add_u32_e32 v0, 1, v52
	v_and_b32_e32 v52, 15, v0
	s_mov_b64 s[40:41], -1
                                        ; implicit-def: $vgpr2
; %bb.59:                               ;   in Loop: Header=BB148_56 Depth=3
	s_andn2_saveexec_b64 s[48:49], s[48:49]
	s_cbranch_execz .LBB148_63
; %bb.60:                               ;   in Loop: Header=BB148_56 Depth=3
	v_pk_mov_b32 v[0:1], s[42:43], s[42:43] op_sel:[0,1]
	ds_cmpst_rtn_b64 v[0:1], v2, v[0:1], v[50:51]
	s_mov_b64 s[50:51], -1
	s_waitcnt lgkmcnt(0)
	v_cmp_eq_u64_e32 vcc, s[42:43], v[0:1]
	s_and_saveexec_b64 s[52:53], vcc
	s_cbranch_execz .LBB148_62
; %bb.61:                               ;   in Loop: Header=BB148_56 Depth=3
	v_lshl_add_u32 v0, v52, 6, v62
	ds_add_f64 v0, v[4:5] offset:48
	ds_add_f64 v0, v[6:7] offset:56
	s_xor_b64 s[50:51], exec, -1
.LBB148_62:                             ;   in Loop: Header=BB148_56 Depth=3
	s_or_b64 exec, exec, s[52:53]
	s_andn2_b64 s[40:41], s[40:41], exec
	s_and_b64 s[50:51], s[50:51], exec
	s_or_b64 s[40:41], s[40:41], s[50:51]
.LBB148_63:                             ;   in Loop: Header=BB148_56 Depth=3
	s_or_b64 exec, exec, s[48:49]
	s_and_b64 s[40:41], s[40:41], exec
.LBB148_64:                             ;   in Loop: Header=BB148_56 Depth=3
	s_andn2_saveexec_b64 s[28:29], s[28:29]
	s_cbranch_execz .LBB148_55
; %bb.65:                               ;   in Loop: Header=BB148_56 Depth=3
	v_lshl_add_u32 v0, v52, 6, v62
	ds_add_f64 v0, v[4:5] offset:48
	ds_add_f64 v0, v[6:7] offset:56
	s_andn2_b64 s[40:41], s[40:41], exec
	s_branch .LBB148_55
.LBB148_66:
	s_or_b64 exec, exec, s[4:5]
.LBB148_67:
	s_andn2_b64 vcc, exec, s[34:35]
	s_waitcnt lgkmcnt(0)
	s_cbranch_vccnz .LBB148_120
; %bb.68:
	v_mov_b32_e32 v1, s13
	v_add_co_u32_e32 v0, vcc, s12, v20
	v_addc_co_u32_e32 v1, vcc, v1, v21, vcc
	global_load_dwordx4 v[0:3], v[0:1], off
	v_subrev_co_u32_e32 v4, vcc, s31, v53
	v_subb_co_u32_e64 v5, s[4:5], 0, 0, vcc
	s_mov_b32 s8, 0
	s_waitcnt vmcnt(0)
	v_subrev_co_u32_e32 v12, vcc, s31, v2
	v_subbrev_co_u32_e32 v13, vcc, 0, v3, vcc
	v_add_co_u32_e32 v14, vcc, v0, v4
	v_addc_co_u32_e32 v15, vcc, v1, v5, vcc
	v_cmp_lt_i64_e32 vcc, v[14:15], v[12:13]
	s_and_saveexec_b64 s[4:5], vcc
	s_cbranch_execz .LBB148_119
; %bb.69:
	s_cmp_eq_u32 s33, 0
	s_mov_b32 s26, s31
	s_cselect_b32 s27, 1, 2
	s_cselect_b32 s28, 2, 1
	s_mov_b64 s[6:7], 0
	v_mov_b32_e32 v25, s17
	v_mov_b32_e32 v34, s15
	;; [unrolled: 1-line block ×3, first 2 shown]
	s_branch .LBB148_71
.LBB148_70:                             ;   in Loop: Header=BB148_71 Depth=1
	s_or_b64 exec, exec, s[8:9]
	v_add_co_u32_e32 v14, vcc, 16, v14
	v_addc_co_u32_e32 v15, vcc, 0, v15, vcc
	v_cmp_ge_i64_e32 vcc, v[14:15], v[12:13]
	s_or_b64 s[6:7], vcc, s[6:7]
	s_andn2_b64 exec, exec, s[6:7]
	s_cbranch_execz .LBB148_119
.LBB148_71:                             ; =>This Loop Header: Depth=1
                                        ;     Child Loop BB148_73 Depth 2
                                        ;     Child Loop BB148_85 Depth 2
	;; [unrolled: 1-line block ×4, first 2 shown]
	v_lshlrev_b64 v[0:1], 6, v[14:15]
	v_add_co_u32_e32 v6, vcc, s16, v0
	v_lshlrev_b64 v[4:5], 2, v[14:15]
	v_addc_co_u32_e32 v7, vcc, v25, v1, vcc
	global_load_dwordx4 v[30:33], v[6:7], off
	global_load_dwordx4 v[0:3], v[6:7], off offset:48
	v_or_b32_e32 v7, 0, v5
	v_or_b32_e32 v6, s27, v4
	v_lshlrev_b64 v[6:7], 4, v[6:7]
	v_add_co_u32_e32 v22, vcc, s16, v6
	v_addc_co_u32_e32 v23, vcc, v25, v7, vcc
	v_lshlrev_b64 v[6:7], 3, v[14:15]
	v_add_co_u32_e32 v6, vcc, s14, v6
	v_addc_co_u32_e32 v7, vcc, v34, v7, vcc
	global_load_dwordx2 v[36:37], v[6:7], off
	v_or_b32_e32 v5, 0, v5
	v_or_b32_e32 v4, s28, v4
	v_lshlrev_b64 v[4:5], 4, v[4:5]
	v_add_co_u32_e32 v26, vcc, s16, v4
	v_addc_co_u32_e32 v27, vcc, v25, v5, vcc
	global_load_dwordx4 v[8:11], v[22:23], off
	global_load_dwordx4 v[4:7], v[26:27], off
	s_mov_b64 s[8:9], 0
	s_waitcnt vmcnt(4)
	v_mul_f64 v[26:27], v[32:33], -v[16:17]
	v_mul_f64 v[28:29], v[18:19], v[32:33]
	v_fmac_f64_e32 v[26:27], v[18:19], v[30:31]
	v_fmac_f64_e32 v[28:29], v[16:17], v[30:31]
	s_waitcnt vmcnt(2)
	v_subrev_co_u32_e32 v22, vcc, s26, v36
	v_lshl_add_u32 v24, v22, 3, v22
	v_and_b32_e32 v24, 15, v24
	v_subb_co_u32_e32 v23, vcc, v37, v35, vcc
	v_pk_mov_b32 v[30:31], v[24:25], v[24:25] op_sel:[0,1]
	s_branch .LBB148_73
.LBB148_72:                             ;   in Loop: Header=BB148_73 Depth=2
	s_or_b64 exec, exec, s[10:11]
	s_xor_b64 s[10:11], s[12:13], -1
	s_and_b64 s[10:11], exec, s[10:11]
	s_or_b64 s[8:9], s[10:11], s[8:9]
	s_andn2_b64 exec, exec, s[8:9]
	s_cbranch_execz .LBB148_83
.LBB148_73:                             ;   Parent Loop BB148_71 Depth=1
                                        ; =>  This Inner Loop Header: Depth=2
	v_lshl_add_u32 v31, v30, 3, v63
	ds_read_b64 v[32:33], v31
                                        ; implicit-def: $sgpr12_sgpr13
	s_waitcnt lgkmcnt(0)
	v_cmp_ne_u64_e32 vcc, v[32:33], v[22:23]
	s_and_saveexec_b64 s[10:11], vcc
	s_xor_b64 s[10:11], exec, s[10:11]
	s_cbranch_execz .LBB148_81
; %bb.74:                               ;   in Loop: Header=BB148_73 Depth=2
	v_cmp_ne_u64_e32 vcc, s[42:43], v[32:33]
                                        ; implicit-def: $sgpr12_sgpr13
	s_and_saveexec_b64 s[20:21], vcc
	s_xor_b64 s[20:21], exec, s[20:21]
; %bb.75:                               ;   in Loop: Header=BB148_73 Depth=2
	v_add_u32_e32 v30, 1, v30
	v_and_b32_e32 v30, 15, v30
	s_mov_b64 s[12:13], -1
                                        ; implicit-def: $vgpr31
; %bb.76:                               ;   in Loop: Header=BB148_73 Depth=2
	s_andn2_saveexec_b64 s[20:21], s[20:21]
	s_cbranch_execz .LBB148_80
; %bb.77:                               ;   in Loop: Header=BB148_73 Depth=2
	v_pk_mov_b32 v[32:33], s[42:43], s[42:43] op_sel:[0,1]
	ds_cmpst_rtn_b64 v[32:33], v31, v[32:33], v[22:23]
	s_mov_b64 s[22:23], -1
	s_waitcnt lgkmcnt(0)
	v_cmp_eq_u64_e32 vcc, s[42:43], v[32:33]
	s_and_saveexec_b64 s[24:25], vcc
	s_cbranch_execz .LBB148_79
; %bb.78:                               ;   in Loop: Header=BB148_73 Depth=2
	v_lshl_add_u32 v31, v30, 6, v62
	ds_add_f64 v31, v[26:27]
	ds_add_f64 v31, v[28:29] offset:8
	s_xor_b64 s[22:23], exec, -1
.LBB148_79:                             ;   in Loop: Header=BB148_73 Depth=2
	s_or_b64 exec, exec, s[24:25]
	s_andn2_b64 s[12:13], s[12:13], exec
	s_and_b64 s[22:23], s[22:23], exec
	s_or_b64 s[12:13], s[12:13], s[22:23]
.LBB148_80:                             ;   in Loop: Header=BB148_73 Depth=2
	s_or_b64 exec, exec, s[20:21]
	s_and_b64 s[12:13], s[12:13], exec
.LBB148_81:                             ;   in Loop: Header=BB148_73 Depth=2
	s_andn2_saveexec_b64 s[10:11], s[10:11]
	s_cbranch_execz .LBB148_72
; %bb.82:                               ;   in Loop: Header=BB148_73 Depth=2
	v_lshl_add_u32 v31, v30, 6, v62
	ds_add_f64 v31, v[26:27]
	ds_add_f64 v31, v[28:29] offset:8
	s_andn2_b64 s[12:13], s[12:13], exec
	s_branch .LBB148_72
.LBB148_83:                             ;   in Loop: Header=BB148_71 Depth=1
	s_or_b64 exec, exec, s[8:9]
	s_waitcnt vmcnt(1)
	v_mul_f64 v[26:27], v[10:11], -v[16:17]
	v_mul_f64 v[10:11], v[18:19], v[10:11]
	v_fmac_f64_e32 v[26:27], v[18:19], v[8:9]
	v_fmac_f64_e32 v[10:11], v[16:17], v[8:9]
	s_mov_b64 s[8:9], 0
	v_pk_mov_b32 v[8:9], v[24:25], v[24:25] op_sel:[0,1]
	s_branch .LBB148_85
.LBB148_84:                             ;   in Loop: Header=BB148_85 Depth=2
	s_or_b64 exec, exec, s[10:11]
	s_xor_b64 s[10:11], s[12:13], -1
	s_and_b64 s[10:11], exec, s[10:11]
	s_or_b64 s[8:9], s[10:11], s[8:9]
	s_andn2_b64 exec, exec, s[8:9]
	s_cbranch_execz .LBB148_95
.LBB148_85:                             ;   Parent Loop BB148_71 Depth=1
                                        ; =>  This Inner Loop Header: Depth=2
	v_lshl_add_u32 v9, v8, 3, v63
	ds_read_b64 v[28:29], v9
                                        ; implicit-def: $sgpr12_sgpr13
	s_waitcnt lgkmcnt(0)
	v_cmp_ne_u64_e32 vcc, v[28:29], v[22:23]
	s_and_saveexec_b64 s[10:11], vcc
	s_xor_b64 s[10:11], exec, s[10:11]
	s_cbranch_execz .LBB148_93
; %bb.86:                               ;   in Loop: Header=BB148_85 Depth=2
	v_cmp_ne_u64_e32 vcc, s[42:43], v[28:29]
                                        ; implicit-def: $sgpr12_sgpr13
	s_and_saveexec_b64 s[20:21], vcc
	s_xor_b64 s[20:21], exec, s[20:21]
; %bb.87:                               ;   in Loop: Header=BB148_85 Depth=2
	v_add_u32_e32 v8, 1, v8
	v_and_b32_e32 v8, 15, v8
	s_mov_b64 s[12:13], -1
                                        ; implicit-def: $vgpr9
; %bb.88:                               ;   in Loop: Header=BB148_85 Depth=2
	s_andn2_saveexec_b64 s[20:21], s[20:21]
	s_cbranch_execz .LBB148_92
; %bb.89:                               ;   in Loop: Header=BB148_85 Depth=2
	v_pk_mov_b32 v[28:29], s[42:43], s[42:43] op_sel:[0,1]
	ds_cmpst_rtn_b64 v[28:29], v9, v[28:29], v[22:23]
	s_mov_b64 s[22:23], -1
	s_waitcnt lgkmcnt(0)
	v_cmp_eq_u64_e32 vcc, s[42:43], v[28:29]
	s_and_saveexec_b64 s[24:25], vcc
	s_cbranch_execz .LBB148_91
; %bb.90:                               ;   in Loop: Header=BB148_85 Depth=2
	v_lshl_add_u32 v9, v8, 6, v62
	ds_add_f64 v9, v[26:27] offset:16
	ds_add_f64 v9, v[10:11] offset:24
	s_xor_b64 s[22:23], exec, -1
.LBB148_91:                             ;   in Loop: Header=BB148_85 Depth=2
	s_or_b64 exec, exec, s[24:25]
	s_andn2_b64 s[12:13], s[12:13], exec
	s_and_b64 s[22:23], s[22:23], exec
	s_or_b64 s[12:13], s[12:13], s[22:23]
.LBB148_92:                             ;   in Loop: Header=BB148_85 Depth=2
	s_or_b64 exec, exec, s[20:21]
	s_and_b64 s[12:13], s[12:13], exec
.LBB148_93:                             ;   in Loop: Header=BB148_85 Depth=2
	s_andn2_saveexec_b64 s[10:11], s[10:11]
	s_cbranch_execz .LBB148_84
; %bb.94:                               ;   in Loop: Header=BB148_85 Depth=2
	v_lshl_add_u32 v9, v8, 6, v62
	ds_add_f64 v9, v[26:27] offset:16
	ds_add_f64 v9, v[10:11] offset:24
	s_andn2_b64 s[12:13], s[12:13], exec
	s_branch .LBB148_84
.LBB148_95:                             ;   in Loop: Header=BB148_71 Depth=1
	s_or_b64 exec, exec, s[8:9]
	s_waitcnt vmcnt(0)
	v_mul_f64 v[8:9], v[6:7], -v[16:17]
	v_mul_f64 v[6:7], v[18:19], v[6:7]
	v_fmac_f64_e32 v[8:9], v[18:19], v[4:5]
	v_fmac_f64_e32 v[6:7], v[16:17], v[4:5]
	s_mov_b64 s[8:9], 0
	v_pk_mov_b32 v[4:5], v[24:25], v[24:25] op_sel:[0,1]
	s_branch .LBB148_97
.LBB148_96:                             ;   in Loop: Header=BB148_97 Depth=2
	s_or_b64 exec, exec, s[10:11]
	s_xor_b64 s[10:11], s[12:13], -1
	s_and_b64 s[10:11], exec, s[10:11]
	s_or_b64 s[8:9], s[10:11], s[8:9]
	s_andn2_b64 exec, exec, s[8:9]
	s_cbranch_execz .LBB148_107
.LBB148_97:                             ;   Parent Loop BB148_71 Depth=1
                                        ; =>  This Inner Loop Header: Depth=2
	v_lshl_add_u32 v5, v4, 3, v63
	ds_read_b64 v[10:11], v5
                                        ; implicit-def: $sgpr12_sgpr13
	s_waitcnt lgkmcnt(0)
	v_cmp_ne_u64_e32 vcc, v[10:11], v[22:23]
	s_and_saveexec_b64 s[10:11], vcc
	s_xor_b64 s[10:11], exec, s[10:11]
	s_cbranch_execz .LBB148_105
; %bb.98:                               ;   in Loop: Header=BB148_97 Depth=2
	v_cmp_ne_u64_e32 vcc, s[42:43], v[10:11]
                                        ; implicit-def: $sgpr12_sgpr13
	s_and_saveexec_b64 s[20:21], vcc
	s_xor_b64 s[20:21], exec, s[20:21]
; %bb.99:                               ;   in Loop: Header=BB148_97 Depth=2
	v_add_u32_e32 v4, 1, v4
	v_and_b32_e32 v4, 15, v4
	s_mov_b64 s[12:13], -1
                                        ; implicit-def: $vgpr5
; %bb.100:                              ;   in Loop: Header=BB148_97 Depth=2
	s_andn2_saveexec_b64 s[20:21], s[20:21]
	s_cbranch_execz .LBB148_104
; %bb.101:                              ;   in Loop: Header=BB148_97 Depth=2
	v_pk_mov_b32 v[10:11], s[42:43], s[42:43] op_sel:[0,1]
	ds_cmpst_rtn_b64 v[10:11], v5, v[10:11], v[22:23]
	s_mov_b64 s[22:23], -1
	s_waitcnt lgkmcnt(0)
	v_cmp_eq_u64_e32 vcc, s[42:43], v[10:11]
	s_and_saveexec_b64 s[24:25], vcc
	s_cbranch_execz .LBB148_103
; %bb.102:                              ;   in Loop: Header=BB148_97 Depth=2
	v_lshl_add_u32 v5, v4, 6, v62
	ds_add_f64 v5, v[8:9] offset:32
	ds_add_f64 v5, v[6:7] offset:40
	s_xor_b64 s[22:23], exec, -1
.LBB148_103:                            ;   in Loop: Header=BB148_97 Depth=2
	s_or_b64 exec, exec, s[24:25]
	s_andn2_b64 s[12:13], s[12:13], exec
	s_and_b64 s[22:23], s[22:23], exec
	s_or_b64 s[12:13], s[12:13], s[22:23]
.LBB148_104:                            ;   in Loop: Header=BB148_97 Depth=2
	s_or_b64 exec, exec, s[20:21]
	s_and_b64 s[12:13], s[12:13], exec
.LBB148_105:                            ;   in Loop: Header=BB148_97 Depth=2
	s_andn2_saveexec_b64 s[10:11], s[10:11]
	s_cbranch_execz .LBB148_96
; %bb.106:                              ;   in Loop: Header=BB148_97 Depth=2
	v_lshl_add_u32 v5, v4, 6, v62
	ds_add_f64 v5, v[8:9] offset:32
	ds_add_f64 v5, v[6:7] offset:40
	s_andn2_b64 s[12:13], s[12:13], exec
	s_branch .LBB148_96
.LBB148_107:                            ;   in Loop: Header=BB148_71 Depth=1
	s_or_b64 exec, exec, s[8:9]
	v_mul_f64 v[4:5], v[2:3], -v[16:17]
	v_mul_f64 v[2:3], v[18:19], v[2:3]
	v_fmac_f64_e32 v[4:5], v[18:19], v[0:1]
	v_fmac_f64_e32 v[2:3], v[16:17], v[0:1]
	s_mov_b64 s[8:9], 0
	s_branch .LBB148_109
.LBB148_108:                            ;   in Loop: Header=BB148_109 Depth=2
	s_or_b64 exec, exec, s[10:11]
	s_xor_b64 s[10:11], s[12:13], -1
	s_and_b64 s[10:11], exec, s[10:11]
	s_or_b64 s[8:9], s[10:11], s[8:9]
	s_andn2_b64 exec, exec, s[8:9]
	s_cbranch_execz .LBB148_70
.LBB148_109:                            ;   Parent Loop BB148_71 Depth=1
                                        ; =>  This Inner Loop Header: Depth=2
	v_lshl_add_u32 v6, v24, 3, v63
	ds_read_b64 v[0:1], v6
                                        ; implicit-def: $sgpr12_sgpr13
	s_waitcnt lgkmcnt(0)
	v_cmp_ne_u64_e32 vcc, v[0:1], v[22:23]
	s_and_saveexec_b64 s[10:11], vcc
	s_xor_b64 s[10:11], exec, s[10:11]
	s_cbranch_execz .LBB148_117
; %bb.110:                              ;   in Loop: Header=BB148_109 Depth=2
	v_cmp_ne_u64_e32 vcc, s[42:43], v[0:1]
                                        ; implicit-def: $sgpr12_sgpr13
	s_and_saveexec_b64 s[20:21], vcc
	s_xor_b64 s[20:21], exec, s[20:21]
; %bb.111:                              ;   in Loop: Header=BB148_109 Depth=2
	v_add_u32_e32 v0, 1, v24
	v_and_b32_e32 v24, 15, v0
	s_mov_b64 s[12:13], -1
                                        ; implicit-def: $vgpr6
; %bb.112:                              ;   in Loop: Header=BB148_109 Depth=2
	s_andn2_saveexec_b64 s[20:21], s[20:21]
	s_cbranch_execz .LBB148_116
; %bb.113:                              ;   in Loop: Header=BB148_109 Depth=2
	v_pk_mov_b32 v[0:1], s[42:43], s[42:43] op_sel:[0,1]
	ds_cmpst_rtn_b64 v[0:1], v6, v[0:1], v[22:23]
	s_mov_b64 s[22:23], -1
	s_waitcnt lgkmcnt(0)
	v_cmp_eq_u64_e32 vcc, s[42:43], v[0:1]
	s_and_saveexec_b64 s[24:25], vcc
	s_cbranch_execz .LBB148_115
; %bb.114:                              ;   in Loop: Header=BB148_109 Depth=2
	v_lshl_add_u32 v0, v24, 6, v62
	ds_add_f64 v0, v[4:5] offset:48
	ds_add_f64 v0, v[2:3] offset:56
	s_xor_b64 s[22:23], exec, -1
.LBB148_115:                            ;   in Loop: Header=BB148_109 Depth=2
	s_or_b64 exec, exec, s[24:25]
	s_andn2_b64 s[12:13], s[12:13], exec
	s_and_b64 s[22:23], s[22:23], exec
	s_or_b64 s[12:13], s[12:13], s[22:23]
.LBB148_116:                            ;   in Loop: Header=BB148_109 Depth=2
	s_or_b64 exec, exec, s[20:21]
	s_and_b64 s[12:13], s[12:13], exec
.LBB148_117:                            ;   in Loop: Header=BB148_109 Depth=2
	s_andn2_saveexec_b64 s[10:11], s[10:11]
	s_cbranch_execz .LBB148_108
; %bb.118:                              ;   in Loop: Header=BB148_109 Depth=2
	v_lshl_add_u32 v0, v24, 6, v62
	ds_add_f64 v0, v[4:5] offset:48
	ds_add_f64 v0, v[2:3] offset:56
	s_andn2_b64 s[12:13], s[12:13], exec
	s_branch .LBB148_108
.LBB148_119:
	s_or_b64 exec, exec, s[4:5]
.LBB148_120:
	s_waitcnt lgkmcnt(0)
	ds_read_b64 v[0:1], v64
	s_waitcnt lgkmcnt(0)
	v_cmp_gt_i64_e32 vcc, s[42:43], v[0:1]
	s_and_b64 exec, exec, vcc
	s_cbranch_execz .LBB148_122
; %bb.121:
	v_mov_b32_e32 v3, s19
	v_add_co_u32_e32 v2, vcc, s18, v20
	v_addc_co_u32_e32 v3, vcc, v3, v21, vcc
	global_load_dwordx2 v[34:35], v[2:3], off
	ds_read_b128 v[2:5], v63
	ds_read_b128 v[6:9], v63 offset:16
	ds_read_b128 v[10:13], v63 offset:32
	ds_read_b128 v[14:17], v63 offset:48
	ds_read_b128 v[18:21], v63 offset:64
	ds_read_b128 v[22:25], v63 offset:80
	ds_read_b128 v[26:29], v63 offset:96
	ds_read_b128 v[30:33], v63 offset:112
	s_waitcnt lgkmcnt(7)
	v_cmp_gt_i64_e32 vcc, v[0:1], v[2:3]
	v_cndmask_b32_e64 v2, 0, 1, vcc
	v_cmp_gt_i64_e32 vcc, v[0:1], v[4:5]
	v_cndmask_b32_e64 v3, 0, 1, vcc
	s_waitcnt lgkmcnt(6)
	v_cmp_gt_i64_e32 vcc, v[0:1], v[6:7]
	v_cndmask_b32_e64 v4, 0, 1, vcc
	v_cmp_gt_i64_e32 vcc, v[0:1], v[8:9]
	v_cndmask_b32_e64 v5, 0, 1, vcc
	;; [unrolled: 5-line block ×6, first 2 shown]
	s_waitcnt lgkmcnt(1)
	v_cmp_gt_i64_e32 vcc, v[0:1], v[26:27]
	v_cndmask_b32_e64 v14, 0, 1, vcc
	s_cmp_eq_u32 s33, 0
	s_cselect_b32 s4, 1, 2
	s_cselect_b32 s5, 2, 1
	v_mov_b32_e32 v18, s39
	s_waitcnt vmcnt(0)
	v_subrev_co_u32_e32 v15, vcc, s30, v34
	v_subbrev_co_u32_e32 v16, vcc, 0, v35, vcc
	v_add_co_u32_e32 v2, vcc, v15, v2
	v_addc_co_u32_e32 v15, vcc, 0, v16, vcc
	v_add_co_u32_e32 v2, vcc, v2, v3
	v_addc_co_u32_e32 v3, vcc, 0, v15, vcc
	;; [unrolled: 2-line block ×13, first 2 shown]
	v_cmp_gt_i64_e32 vcc, v[0:1], v[28:29]
	v_cndmask_b32_e64 v4, 0, 1, vcc
	v_add_co_u32_e32 v2, vcc, v2, v4
	v_addc_co_u32_e32 v3, vcc, 0, v3, vcc
	s_waitcnt lgkmcnt(0)
	v_cmp_gt_i64_e32 vcc, v[0:1], v[30:31]
	v_cndmask_b32_e64 v4, 0, 1, vcc
	v_add_co_u32_e32 v2, vcc, v2, v4
	v_addc_co_u32_e32 v3, vcc, 0, v3, vcc
	v_cmp_gt_i64_e32 vcc, v[0:1], v[32:33]
	v_cndmask_b32_e64 v4, 0, 1, vcc
	v_add_co_u32_e32 v2, vcc, v2, v4
	v_addc_co_u32_e32 v3, vcc, 0, v3, vcc
	v_add_co_u32_e32 v0, vcc, s30, v0
	v_addc_co_u32_e32 v1, vcc, 0, v1, vcc
	v_lshlrev_b64 v[4:5], 3, v[2:3]
	v_mov_b32_e32 v6, s37
	v_add_co_u32_e32 v4, vcc, s36, v4
	v_addc_co_u32_e32 v5, vcc, v6, v5, vcc
	global_store_dwordx2 v[4:5], v[0:1], off
	v_lshlrev_b32_e32 v0, 2, v53
	v_or_b32_e32 v1, s4, v0
	v_or_b32_e32 v0, s5, v0
	v_lshl_add_u32 v12, v53, 6, v62
	v_lshl_add_u32 v1, v1, 4, v62
	;; [unrolled: 1-line block ×3, first 2 shown]
	v_lshlrev_b64 v[16:17], 6, v[2:3]
	ds_read2_b64 v[0:3], v1 offset1:1
	ds_read2_b64 v[4:7], v4 offset1:1
	;; [unrolled: 1-line block ×3, first 2 shown]
	ds_read2_b64 v[12:15], v12 offset0:6 offset1:7
	v_add_co_u32_e32 v16, vcc, s38, v16
	v_addc_co_u32_e32 v17, vcc, v18, v17, vcc
	s_waitcnt lgkmcnt(1)
	global_store_dwordx4 v[16:17], v[8:11], off
	global_store_dwordx4 v[16:17], v[0:3], off offset:16
	global_store_dwordx4 v[16:17], v[4:7], off offset:32
	s_waitcnt lgkmcnt(0)
	global_store_dwordx4 v[16:17], v[12:15], off offset:48
.LBB148_122:
	s_endpgm
	.section	.rodata,"a",@progbits
	.p2align	6, 0x0
	.amdhsa_kernel _ZN9rocsparseL27bsrgemm_fill_wf_per_row_2x2ILj256ELj16ELj16ELj137Ell21rocsparse_complex_numIdEEEv20rocsparse_direction_T4_S4_PKS4_S6_NS_24const_host_device_scalarIT5_EEPKT3_S6_PKS8_SC_S6_SE_S9_SC_S6_SE_SC_PS4_PS8_21rocsparse_index_base_SH_SH_SH_bbb
		.amdhsa_group_segment_fixed_size 20480
		.amdhsa_private_segment_fixed_size 16
		.amdhsa_kernarg_size 188
		.amdhsa_user_sgpr_count 10
		.amdhsa_user_sgpr_private_segment_buffer 1
		.amdhsa_user_sgpr_dispatch_ptr 1
		.amdhsa_user_sgpr_queue_ptr 0
		.amdhsa_user_sgpr_kernarg_segment_ptr 1
		.amdhsa_user_sgpr_dispatch_id 0
		.amdhsa_user_sgpr_flat_scratch_init 1
		.amdhsa_user_sgpr_kernarg_preload_length 0
		.amdhsa_user_sgpr_kernarg_preload_offset 0
		.amdhsa_user_sgpr_private_segment_size 0
		.amdhsa_uses_dynamic_stack 0
		.amdhsa_system_sgpr_private_segment_wavefront_offset 1
		.amdhsa_system_sgpr_workgroup_id_x 1
		.amdhsa_system_sgpr_workgroup_id_y 0
		.amdhsa_system_sgpr_workgroup_id_z 0
		.amdhsa_system_sgpr_workgroup_info 0
		.amdhsa_system_vgpr_workitem_id 2
		.amdhsa_next_free_vgpr 68
		.amdhsa_next_free_sgpr 60
		.amdhsa_accum_offset 68
		.amdhsa_reserve_vcc 1
		.amdhsa_reserve_flat_scratch 1
		.amdhsa_float_round_mode_32 0
		.amdhsa_float_round_mode_16_64 0
		.amdhsa_float_denorm_mode_32 3
		.amdhsa_float_denorm_mode_16_64 3
		.amdhsa_dx10_clamp 1
		.amdhsa_ieee_mode 1
		.amdhsa_fp16_overflow 0
		.amdhsa_tg_split 0
		.amdhsa_exception_fp_ieee_invalid_op 0
		.amdhsa_exception_fp_denorm_src 0
		.amdhsa_exception_fp_ieee_div_zero 0
		.amdhsa_exception_fp_ieee_overflow 0
		.amdhsa_exception_fp_ieee_underflow 0
		.amdhsa_exception_fp_ieee_inexact 0
		.amdhsa_exception_int_div_zero 0
	.end_amdhsa_kernel
	.section	.text._ZN9rocsparseL27bsrgemm_fill_wf_per_row_2x2ILj256ELj16ELj16ELj137Ell21rocsparse_complex_numIdEEEv20rocsparse_direction_T4_S4_PKS4_S6_NS_24const_host_device_scalarIT5_EEPKT3_S6_PKS8_SC_S6_SE_S9_SC_S6_SE_SC_PS4_PS8_21rocsparse_index_base_SH_SH_SH_bbb,"axG",@progbits,_ZN9rocsparseL27bsrgemm_fill_wf_per_row_2x2ILj256ELj16ELj16ELj137Ell21rocsparse_complex_numIdEEEv20rocsparse_direction_T4_S4_PKS4_S6_NS_24const_host_device_scalarIT5_EEPKT3_S6_PKS8_SC_S6_SE_S9_SC_S6_SE_SC_PS4_PS8_21rocsparse_index_base_SH_SH_SH_bbb,comdat
.Lfunc_end148:
	.size	_ZN9rocsparseL27bsrgemm_fill_wf_per_row_2x2ILj256ELj16ELj16ELj137Ell21rocsparse_complex_numIdEEEv20rocsparse_direction_T4_S4_PKS4_S6_NS_24const_host_device_scalarIT5_EEPKT3_S6_PKS8_SC_S6_SE_S9_SC_S6_SE_SC_PS4_PS8_21rocsparse_index_base_SH_SH_SH_bbb, .Lfunc_end148-_ZN9rocsparseL27bsrgemm_fill_wf_per_row_2x2ILj256ELj16ELj16ELj137Ell21rocsparse_complex_numIdEEEv20rocsparse_direction_T4_S4_PKS4_S6_NS_24const_host_device_scalarIT5_EEPKT3_S6_PKS8_SC_S6_SE_S9_SC_S6_SE_SC_PS4_PS8_21rocsparse_index_base_SH_SH_SH_bbb
                                        ; -- End function
	.section	.AMDGPU.csdata,"",@progbits
; Kernel info:
; codeLenInByte = 4524
; NumSgprs: 66
; NumVgprs: 68
; NumAgprs: 0
; TotalNumVgprs: 68
; ScratchSize: 16
; MemoryBound: 0
; FloatMode: 240
; IeeeMode: 1
; LDSByteSize: 20480 bytes/workgroup (compile time only)
; SGPRBlocks: 8
; VGPRBlocks: 8
; NumSGPRsForWavesPerEU: 66
; NumVGPRsForWavesPerEU: 68
; AccumOffset: 68
; Occupancy: 3
; WaveLimiterHint : 1
; COMPUTE_PGM_RSRC2:SCRATCH_EN: 1
; COMPUTE_PGM_RSRC2:USER_SGPR: 10
; COMPUTE_PGM_RSRC2:TRAP_HANDLER: 0
; COMPUTE_PGM_RSRC2:TGID_X_EN: 1
; COMPUTE_PGM_RSRC2:TGID_Y_EN: 0
; COMPUTE_PGM_RSRC2:TGID_Z_EN: 0
; COMPUTE_PGM_RSRC2:TIDIG_COMP_CNT: 2
; COMPUTE_PGM_RSRC3_GFX90A:ACCUM_OFFSET: 16
; COMPUTE_PGM_RSRC3_GFX90A:TG_SPLIT: 0
	.section	.text._ZN9rocsparseL27bsrgemm_fill_wf_per_row_2x2ILj256ELj16ELj32ELj137Ell21rocsparse_complex_numIdEEEv20rocsparse_direction_T4_S4_PKS4_S6_NS_24const_host_device_scalarIT5_EEPKT3_S6_PKS8_SC_S6_SE_S9_SC_S6_SE_SC_PS4_PS8_21rocsparse_index_base_SH_SH_SH_bbb,"axG",@progbits,_ZN9rocsparseL27bsrgemm_fill_wf_per_row_2x2ILj256ELj16ELj32ELj137Ell21rocsparse_complex_numIdEEEv20rocsparse_direction_T4_S4_PKS4_S6_NS_24const_host_device_scalarIT5_EEPKT3_S6_PKS8_SC_S6_SE_S9_SC_S6_SE_SC_PS4_PS8_21rocsparse_index_base_SH_SH_SH_bbb,comdat
	.globl	_ZN9rocsparseL27bsrgemm_fill_wf_per_row_2x2ILj256ELj16ELj32ELj137Ell21rocsparse_complex_numIdEEEv20rocsparse_direction_T4_S4_PKS4_S6_NS_24const_host_device_scalarIT5_EEPKT3_S6_PKS8_SC_S6_SE_S9_SC_S6_SE_SC_PS4_PS8_21rocsparse_index_base_SH_SH_SH_bbb ; -- Begin function _ZN9rocsparseL27bsrgemm_fill_wf_per_row_2x2ILj256ELj16ELj32ELj137Ell21rocsparse_complex_numIdEEEv20rocsparse_direction_T4_S4_PKS4_S6_NS_24const_host_device_scalarIT5_EEPKT3_S6_PKS8_SC_S6_SE_S9_SC_S6_SE_SC_PS4_PS8_21rocsparse_index_base_SH_SH_SH_bbb
	.p2align	8
	.type	_ZN9rocsparseL27bsrgemm_fill_wf_per_row_2x2ILj256ELj16ELj32ELj137Ell21rocsparse_complex_numIdEEEv20rocsparse_direction_T4_S4_PKS4_S6_NS_24const_host_device_scalarIT5_EEPKT3_S6_PKS8_SC_S6_SE_S9_SC_S6_SE_SC_PS4_PS8_21rocsparse_index_base_SH_SH_SH_bbb,@function
_ZN9rocsparseL27bsrgemm_fill_wf_per_row_2x2ILj256ELj16ELj32ELj137Ell21rocsparse_complex_numIdEEEv20rocsparse_direction_T4_S4_PKS4_S6_NS_24const_host_device_scalarIT5_EEPKT3_S6_PKS8_SC_S6_SE_S9_SC_S6_SE_SC_PS4_PS8_21rocsparse_index_base_SH_SH_SH_bbb: ; @_ZN9rocsparseL27bsrgemm_fill_wf_per_row_2x2ILj256ELj16ELj32ELj137Ell21rocsparse_complex_numIdEEEv20rocsparse_direction_T4_S4_PKS4_S6_NS_24const_host_device_scalarIT5_EEPKT3_S6_PKS8_SC_S6_SE_S9_SC_S6_SE_SC_PS4_PS8_21rocsparse_index_base_SH_SH_SH_bbb
; %bb.0:
	s_load_dword s9, s[6:7], 0xb8
	s_load_dwordx4 s[28:31], s[6:7], 0xa8
	s_load_dwordx2 s[2:3], s[4:5], 0x4
	s_load_dwordx4 s[12:15], s[6:7], 0x28
	s_load_dwordx4 s[48:51], s[6:7], 0x68
	v_and_b32_e32 v1, 0x3ff, v0
	s_waitcnt lgkmcnt(0)
	s_bitcmp1_b32 s9, 0
	s_cselect_b64 s[10:11], -1, 0
	s_bitcmp1_b32 s9, 16
	s_cselect_b64 s[0:1], -1, 0
	s_lshr_b32 s2, s2, 16
	s_mul_i32 s2, s2, s3
	v_mul_lo_u32 v2, s2, v1
	v_bfe_u32 v3, v0, 10, 10
	v_mad_u32_u24 v2, v3, s3, v2
	v_bfe_u32 v0, v0, 20, 10
	v_add_lshl_u32 v0, v2, v0, 3
	v_pk_mov_b32 v[2:3], s[12:13], s[12:13] op_sel:[0,1]
	v_pk_mov_b32 v[4:5], s[48:49], s[48:49] op_sel:[0,1]
	s_xor_b64 s[2:3], s[0:1], -1
	ds_write2st64_b64 v0, v[4:5], v[2:3] offset0:72 offset1:76
	v_pk_mov_b32 v[16:17], 0, 0
	v_cndmask_b32_e64 v2, 0, 1, s[2:3]
	s_bitcmp0_b32 s9, 0
	v_cmp_ne_u32_e64 s[2:3], 1, v2
	v_pk_mov_b32 v[22:23], v[16:17], v[16:17] op_sel:[0,1]
	v_pk_mov_b32 v[24:25], v[16:17], v[16:17] op_sel:[0,1]
	s_cbranch_scc1 .LBB149_3
; %bb.1:
	s_mov_b64 s[4:5], src_shared_base
	s_and_b64 s[16:17], s[0:1], exec
	v_add_u32_e32 v2, 0x9800, v0
	s_cselect_b32 s4, s5, s13
	v_mov_b32_e32 v3, s12
	v_cndmask_b32_e64 v2, v3, v2, s[0:1]
	v_mov_b32_e32 v3, s4
	flat_load_dwordx2 v[22:23], v[2:3]
	s_and_b64 vcc, exec, s[2:3]
	v_pk_mov_b32 v[24:25], s[14:15], s[14:15] op_sel:[0,1]
	s_cbranch_vccnz .LBB149_3
; %bb.2:
	v_pk_mov_b32 v[2:3], s[12:13], s[12:13] op_sel:[0,1]
	flat_load_dwordx2 v[24:25], v[2:3] offset:8
.LBB149_3:
	s_load_dwordx4 s[36:39], s[6:7], 0x98
	s_load_dwordx8 s[12:19], s[6:7], 0x78
	s_load_dwordx4 s[40:43], s[6:7], 0x58
	s_load_dwordx4 s[44:47], s[6:7], 0x18
	s_load_dwordx8 s[20:27], s[6:7], 0x38
	s_bitcmp1_b32 s9, 8
	s_cselect_b64 s[4:5], -1, 0
	s_bfe_u32 s9, s9, 0x10008
	s_mov_b64 s[34:35], 0
	s_cmp_eq_u32 s9, 0
	v_pk_mov_b32 v[18:19], v[16:17], v[16:17] op_sel:[0,1]
	s_cbranch_scc1 .LBB149_6
; %bb.4:
	s_mov_b64 s[52:53], src_shared_base
	s_and_b64 s[54:55], s[0:1], exec
	v_add_u32_e32 v0, 0x9000, v0
	s_cselect_b32 s9, s53, s49
	v_mov_b32_e32 v2, s48
	v_cndmask_b32_e64 v2, v2, v0, s[0:1]
	v_mov_b32_e32 v3, s9
	flat_load_dwordx2 v[18:19], v[2:3]
	s_and_b64 vcc, exec, s[2:3]
	v_pk_mov_b32 v[16:17], s[50:51], s[50:51] op_sel:[0,1]
	s_cbranch_vccnz .LBB149_6
; %bb.5:
	v_pk_mov_b32 v[2:3], s[48:49], s[48:49] op_sel:[0,1]
	flat_load_dwordx2 v[16:17], v[2:3] offset:8
.LBB149_6:
	s_load_dwordx4 s[0:3], s[6:7], 0x8
	v_and_b32_e32 v64, 15, v1
	v_lshrrev_b32_e32 v4, 4, v1
	v_lshlrev_b32_e32 v0, 8, v4
	v_lshlrev_b32_e32 v1, 3, v64
	s_mov_b32 s9, 0x8000
	v_or_b32_e32 v53, -16, v64
	v_or3_b32 v62, v0, v1, s9
	s_waitcnt lgkmcnt(0)
	v_pk_mov_b32 v[0:1], s[2:3], s[2:3] op_sel:[0,1]
	v_mov_b32_e32 v2, v62
	v_mov_b32_e32 v3, v53
.LBB149_7:                              ; =>This Inner Loop Header: Depth=1
	v_add_co_u32_e32 v3, vcc, 16, v3
	s_xor_b64 s[48:49], vcc, -1
	s_and_b64 s[48:49], exec, s[48:49]
	ds_write_b64 v2, v[0:1]
	s_or_b64 s[34:35], s[48:49], s[34:35]
	v_add_u32_e32 v2, 0x80, v2
	s_andn2_b64 exec, exec, s[34:35]
	s_cbranch_execnz .LBB149_7
; %bb.8:
	s_or_b64 exec, exec, s[34:35]
	v_lshlrev_b32_e32 v65, 11, v4
	v_mov_b32_e32 v0, 0
	v_lshl_or_b32 v5, v64, 4, v65
	s_mov_b64 s[34:35], 0
	v_mov_b32_e32 v1, v0
	v_mov_b32_e32 v2, v0
	;; [unrolled: 1-line block ×3, first 2 shown]
	s_movk_i32 s9, 0x6f
	v_mov_b32_e32 v6, v53
.LBB149_9:                              ; =>This Inner Loop Header: Depth=1
	v_add_u32_e32 v6, 16, v6
	v_cmp_lt_u32_e32 vcc, s9, v6
	ds_write_b128 v5, v[0:3]
	s_or_b64 s[34:35], vcc, s[34:35]
	v_add_u32_e32 v5, 0x100, v5
	s_andn2_b64 exec, exec, s[34:35]
	s_cbranch_execnz .LBB149_9
; %bb.10:
	s_or_b64 exec, exec, s[34:35]
	v_lshl_or_b32 v0, s8, 4, v4
	v_mov_b32_e32 v1, 0
	v_cmp_gt_i64_e32 vcc, s[0:1], v[0:1]
	s_waitcnt lgkmcnt(0)
	s_barrier
	s_and_saveexec_b64 s[0:1], vcc
	s_cbranch_execz .LBB149_126
; %bb.11:
	s_cmp_eq_u64 s[46:47], 0
	s_cbranch_scc1 .LBB149_13
; %bb.12:
	s_load_dwordx2 s[0:1], s[44:45], 0x0
	v_lshlrev_b64 v[0:1], 3, v[0:1]
	s_waitcnt lgkmcnt(0)
	s_lshl_b64 s[0:1], s[0:1], 3
	s_add_u32 s0, s46, s0
	s_addc_u32 s1, s47, s1
	v_mov_b32_e32 v2, s1
	v_add_co_u32_e32 v0, vcc, s0, v0
	v_addc_co_u32_e32 v1, vcc, v2, v1, vcc
	global_load_dwordx2 v[0:1], v[0:1], off
.LBB149_13:
	s_load_dword s33, s[6:7], 0x0
	v_mov_b32_e32 v2, 0x8000
	v_lshl_or_b32 v63, v4, 8, v2
	s_andn2_b64 vcc, exec, s[10:11]
	s_waitcnt vmcnt(0)
	v_lshlrev_b64 v[20:21], 3, v[0:1]
	s_cbranch_vccnz .LBB149_69
; %bb.14:
	v_mov_b32_e32 v1, s21
	v_add_co_u32_e32 v0, vcc, s20, v20
	v_addc_co_u32_e32 v1, vcc, v1, v21, vcc
	global_load_dwordx4 v[0:3], v[0:1], off
	v_subrev_co_u32_e32 v4, vcc, s28, v64
	v_subb_co_u32_e64 v5, s[0:1], 0, 0, vcc
	s_mov_b32 s8, 0
	s_waitcnt vmcnt(0)
	v_subrev_co_u32_e32 v26, vcc, s28, v2
	v_subbrev_co_u32_e32 v27, vcc, 0, v3, vcc
	v_add_co_u32_e32 v28, vcc, v0, v4
	v_addc_co_u32_e32 v29, vcc, v1, v5, vcc
	v_cmp_lt_i64_e32 vcc, v[28:29], v[26:27]
	s_and_saveexec_b64 s[0:1], vcc
	s_cbranch_execz .LBB149_68
; %bb.15:
	s_waitcnt lgkmcnt(0)
	s_cmp_eq_u32 s33, 0
	s_mov_b32 s50, s28
	s_mov_b32 s51, s29
	s_mov_b32 s52, s8
	s_cselect_b32 s53, 1, 2
	s_cselect_b32 s54, 2, 1
	s_mov_b64 s[6:7], 0
	v_mov_b32_e32 v66, s23
	v_mov_b32_e32 v67, s8
	;; [unrolled: 1-line block ×3, first 2 shown]
	s_branch .LBB149_17
.LBB149_16:                             ;   in Loop: Header=BB149_17 Depth=1
	s_or_b64 exec, exec, s[8:9]
	v_add_co_u32_e32 v28, vcc, 16, v28
	v_addc_co_u32_e32 v29, vcc, 0, v29, vcc
	v_cmp_ge_i64_e32 vcc, v[28:29], v[26:27]
	s_or_b64 s[6:7], vcc, s[6:7]
	s_andn2_b64 exec, exec, s[6:7]
	s_cbranch_execz .LBB149_68
.LBB149_17:                             ; =>This Loop Header: Depth=1
                                        ;     Child Loop BB149_20 Depth 2
                                        ;       Child Loop BB149_22 Depth 3
                                        ;       Child Loop BB149_34 Depth 3
	;; [unrolled: 1-line block ×4, first 2 shown]
	v_lshlrev_b64 v[0:1], 3, v[28:29]
	v_add_co_u32_e32 v0, vcc, s22, v0
	v_addc_co_u32_e32 v1, vcc, v66, v1, vcc
	global_load_dwordx2 v[0:1], v[0:1], off
	s_waitcnt vmcnt(0)
	v_subrev_co_u32_e32 v0, vcc, s50, v0
	v_subb_co_u32_e32 v1, vcc, v1, v67, vcc
	v_lshlrev_b64 v[0:1], 3, v[0:1]
	v_add_co_u32_e32 v0, vcc, s26, v0
	v_addc_co_u32_e32 v1, vcc, v68, v1, vcc
	global_load_dwordx4 v[0:3], v[0:1], off
	s_waitcnt vmcnt(0)
	v_cmp_lt_i64_e32 vcc, v[0:1], v[2:3]
	s_and_saveexec_b64 s[8:9], vcc
	s_cbranch_execz .LBB149_16
; %bb.18:                               ;   in Loop: Header=BB149_17 Depth=1
	v_lshlrev_b64 v[4:5], 6, v[28:29]
	v_mov_b32_e32 v32, s25
	v_add_co_u32_e32 v12, vcc, s24, v4
	v_lshlrev_b64 v[30:31], 2, v[28:29]
	v_addc_co_u32_e32 v13, vcc, v32, v5, vcc
	global_load_dwordx4 v[4:7], v[12:13], off
	global_load_dwordx4 v[8:11], v[12:13], off offset:48
	v_or_b32_e32 v13, 0, v31
	v_or_b32_e32 v12, s53, v30
	v_lshlrev_b64 v[12:13], 4, v[12:13]
	v_add_co_u32_e32 v12, vcc, s24, v12
	v_or_b32_e32 v31, 0, v31
	v_or_b32_e32 v30, s54, v30
	v_addc_co_u32_e32 v13, vcc, v32, v13, vcc
	v_lshlrev_b64 v[30:31], 4, v[30:31]
	v_add_co_u32_e32 v30, vcc, s24, v30
	v_addc_co_u32_e32 v31, vcc, v32, v31, vcc
	global_load_dwordx4 v[12:15], v[12:13], off
	v_mov_b32_e32 v33, s52
	global_load_dwordx4 v[54:57], v[30:31], off
	v_subrev_co_u32_e32 v30, vcc, s51, v2
	v_subb_co_u32_e32 v31, vcc, v3, v33, vcc
	v_subrev_co_u32_e32 v32, vcc, s51, v0
	v_subb_co_u32_e32 v33, vcc, v1, v33, vcc
	s_mov_b64 s[10:11], 0
	s_waitcnt vmcnt(3)
	v_mul_f64 v[34:35], v[6:7], -v[24:25]
	v_mul_f64 v[36:37], v[22:23], v[6:7]
	s_waitcnt vmcnt(2)
	v_mul_f64 v[38:39], v[10:11], -v[24:25]
	v_mul_f64 v[40:41], v[22:23], v[10:11]
	v_fmac_f64_e32 v[34:35], v[22:23], v[4:5]
	v_fmac_f64_e32 v[36:37], v[24:25], v[4:5]
	;; [unrolled: 1-line block ×4, first 2 shown]
	s_waitcnt vmcnt(1)
	v_mul_f64 v[42:43], v[14:15], -v[24:25]
	v_mul_f64 v[44:45], v[22:23], v[14:15]
	s_waitcnt vmcnt(0)
	v_mul_f64 v[46:47], v[56:57], -v[24:25]
	v_mul_f64 v[48:49], v[22:23], v[56:57]
	v_fmac_f64_e32 v[42:43], v[22:23], v[12:13]
	v_fmac_f64_e32 v[44:45], v[24:25], v[12:13]
	;; [unrolled: 1-line block ×4, first 2 shown]
	s_branch .LBB149_20
.LBB149_19:                             ;   in Loop: Header=BB149_20 Depth=2
	s_or_b64 exec, exec, s[20:21]
	v_add_co_u32_e32 v32, vcc, 1, v32
	v_addc_co_u32_e32 v33, vcc, 0, v33, vcc
	v_cmp_ge_i64_e32 vcc, v[32:33], v[30:31]
	s_or_b64 s[10:11], vcc, s[10:11]
	s_andn2_b64 exec, exec, s[10:11]
	s_cbranch_execz .LBB149_16
.LBB149_20:                             ;   Parent Loop BB149_17 Depth=1
                                        ; =>  This Loop Header: Depth=2
                                        ;       Child Loop BB149_22 Depth 3
                                        ;       Child Loop BB149_34 Depth 3
	;; [unrolled: 1-line block ×4, first 2 shown]
	v_lshlrev_b64 v[0:1], 3, v[32:33]
	v_mov_b32_e32 v2, s41
	v_add_co_u32_e32 v0, vcc, s40, v0
	v_addc_co_u32_e32 v1, vcc, v2, v1, vcc
	global_load_dwordx2 v[50:51], v[0:1], off
	v_lshlrev_b64 v[0:1], 2, v[32:33]
	v_or_b32_e32 v3, 0, v1
	v_or_b32_e32 v2, s53, v0
	;; [unrolled: 1-line block ×4, first 2 shown]
	v_lshlrev_b64 v[0:1], 4, v[0:1]
	v_mov_b32_e32 v6, s43
	v_add_co_u32_e32 v0, vcc, s42, v0
	v_lshlrev_b64 v[4:5], 6, v[32:33]
	v_addc_co_u32_e32 v1, vcc, v6, v1, vcc
	v_add_co_u32_e32 v54, vcc, s42, v4
	global_load_dwordx4 v[12:15], v[0:1], off
	v_addc_co_u32_e32 v55, vcc, v6, v5, vcc
	global_load_dwordx4 v[8:11], v[54:55], off
	v_lshlrev_b64 v[0:1], 4, v[2:3]
	v_add_co_u32_e32 v56, vcc, s42, v0
	v_addc_co_u32_e32 v57, vcc, v6, v1, vcc
	global_load_dwordx4 v[0:3], v[56:57], off
	global_load_dwordx4 v[4:7], v[54:55], off offset:48
	v_mov_b32_e32 v52, s52
	s_mov_b64 s[20:21], 0
	s_waitcnt vmcnt(4)
	v_subrev_co_u32_e32 v50, vcc, s51, v50
	v_subb_co_u32_e32 v51, vcc, v51, v52, vcc
	v_lshl_add_u32 v52, v50, 3, v50
	v_and_b32_e32 v52, 31, v52
	v_pk_mov_b32 v[58:59], v[52:53], v[52:53] op_sel:[0,1]
	s_waitcnt vmcnt(3)
	v_mul_f64 v[56:57], v[14:15], -v[44:45]
	v_mul_f64 v[54:55], v[42:43], v[14:15]
	v_fmac_f64_e32 v[56:57], v[42:43], v[12:13]
	v_fmac_f64_e32 v[54:55], v[44:45], v[12:13]
	s_waitcnt vmcnt(2)
	v_fmac_f64_e32 v[56:57], v[34:35], v[8:9]
	v_fmac_f64_e32 v[54:55], v[36:37], v[8:9]
	v_fma_f64 v[56:57], -v[36:37], v[10:11], v[56:57]
	v_fmac_f64_e32 v[54:55], v[34:35], v[10:11]
	s_branch .LBB149_22
.LBB149_21:                             ;   in Loop: Header=BB149_22 Depth=3
	s_or_b64 exec, exec, s[28:29]
	s_xor_b64 s[28:29], s[34:35], -1
	s_and_b64 s[28:29], exec, s[28:29]
	s_or_b64 s[20:21], s[28:29], s[20:21]
	s_andn2_b64 exec, exec, s[20:21]
	s_cbranch_execz .LBB149_32
.LBB149_22:                             ;   Parent Loop BB149_17 Depth=1
                                        ;     Parent Loop BB149_20 Depth=2
                                        ; =>    This Inner Loop Header: Depth=3
	v_lshl_add_u32 v59, v58, 3, v63
	ds_read_b64 v[60:61], v59
                                        ; implicit-def: $sgpr34_sgpr35
	s_waitcnt lgkmcnt(0)
	v_cmp_ne_u64_e32 vcc, v[60:61], v[50:51]
	s_and_saveexec_b64 s[28:29], vcc
	s_xor_b64 s[28:29], exec, s[28:29]
	s_cbranch_execz .LBB149_30
; %bb.23:                               ;   in Loop: Header=BB149_22 Depth=3
	v_cmp_ne_u64_e32 vcc, s[2:3], v[60:61]
                                        ; implicit-def: $sgpr34_sgpr35
	s_and_saveexec_b64 s[44:45], vcc
	s_xor_b64 s[44:45], exec, s[44:45]
; %bb.24:                               ;   in Loop: Header=BB149_22 Depth=3
	v_add_u32_e32 v58, 1, v58
	v_and_b32_e32 v58, 31, v58
	s_mov_b64 s[34:35], -1
                                        ; implicit-def: $vgpr59
; %bb.25:                               ;   in Loop: Header=BB149_22 Depth=3
	s_andn2_saveexec_b64 s[44:45], s[44:45]
	s_cbranch_execz .LBB149_29
; %bb.26:                               ;   in Loop: Header=BB149_22 Depth=3
	v_pk_mov_b32 v[60:61], s[2:3], s[2:3] op_sel:[0,1]
	ds_cmpst_rtn_b64 v[60:61], v59, v[60:61], v[50:51]
	s_mov_b64 s[46:47], -1
	s_waitcnt lgkmcnt(0)
	v_cmp_eq_u64_e32 vcc, s[2:3], v[60:61]
	s_and_saveexec_b64 s[48:49], vcc
	s_cbranch_execz .LBB149_28
; %bb.27:                               ;   in Loop: Header=BB149_22 Depth=3
	v_lshl_add_u32 v59, v58, 6, v65
	ds_add_f64 v59, v[56:57]
	ds_add_f64 v59, v[54:55] offset:8
	s_xor_b64 s[46:47], exec, -1
.LBB149_28:                             ;   in Loop: Header=BB149_22 Depth=3
	s_or_b64 exec, exec, s[48:49]
	s_andn2_b64 s[34:35], s[34:35], exec
	s_and_b64 s[46:47], s[46:47], exec
	s_or_b64 s[34:35], s[34:35], s[46:47]
.LBB149_29:                             ;   in Loop: Header=BB149_22 Depth=3
	s_or_b64 exec, exec, s[44:45]
	s_and_b64 s[34:35], s[34:35], exec
.LBB149_30:                             ;   in Loop: Header=BB149_22 Depth=3
	s_andn2_saveexec_b64 s[28:29], s[28:29]
	s_cbranch_execz .LBB149_21
; %bb.31:                               ;   in Loop: Header=BB149_22 Depth=3
	v_lshl_add_u32 v59, v58, 6, v65
	ds_add_f64 v59, v[56:57]
	ds_add_f64 v59, v[54:55] offset:8
	s_andn2_b64 s[34:35], s[34:35], exec
	s_branch .LBB149_21
.LBB149_32:                             ;   in Loop: Header=BB149_20 Depth=2
	s_or_b64 exec, exec, s[20:21]
	s_waitcnt vmcnt(0)
	v_mul_f64 v[56:57], v[6:7], -v[44:45]
	v_mul_f64 v[54:55], v[42:43], v[6:7]
	v_fmac_f64_e32 v[56:57], v[42:43], v[4:5]
	v_fmac_f64_e32 v[54:55], v[44:45], v[4:5]
	v_fmac_f64_e32 v[56:57], v[34:35], v[0:1]
	v_fmac_f64_e32 v[54:55], v[36:37], v[0:1]
	v_fma_f64 v[56:57], -v[36:37], v[2:3], v[56:57]
	v_fmac_f64_e32 v[54:55], v[34:35], v[2:3]
	s_mov_b64 s[20:21], 0
	v_pk_mov_b32 v[58:59], v[52:53], v[52:53] op_sel:[0,1]
	s_branch .LBB149_34
.LBB149_33:                             ;   in Loop: Header=BB149_34 Depth=3
	s_or_b64 exec, exec, s[28:29]
	s_xor_b64 s[28:29], s[34:35], -1
	s_and_b64 s[28:29], exec, s[28:29]
	s_or_b64 s[20:21], s[28:29], s[20:21]
	s_andn2_b64 exec, exec, s[20:21]
	s_cbranch_execz .LBB149_44
.LBB149_34:                             ;   Parent Loop BB149_17 Depth=1
                                        ;     Parent Loop BB149_20 Depth=2
                                        ; =>    This Inner Loop Header: Depth=3
	v_lshl_add_u32 v59, v58, 3, v63
	ds_read_b64 v[60:61], v59
                                        ; implicit-def: $sgpr34_sgpr35
	s_waitcnt lgkmcnt(0)
	v_cmp_ne_u64_e32 vcc, v[60:61], v[50:51]
	s_and_saveexec_b64 s[28:29], vcc
	s_xor_b64 s[28:29], exec, s[28:29]
	s_cbranch_execz .LBB149_42
; %bb.35:                               ;   in Loop: Header=BB149_34 Depth=3
	v_cmp_ne_u64_e32 vcc, s[2:3], v[60:61]
                                        ; implicit-def: $sgpr34_sgpr35
	s_and_saveexec_b64 s[44:45], vcc
	s_xor_b64 s[44:45], exec, s[44:45]
; %bb.36:                               ;   in Loop: Header=BB149_34 Depth=3
	v_add_u32_e32 v58, 1, v58
	v_and_b32_e32 v58, 31, v58
	s_mov_b64 s[34:35], -1
                                        ; implicit-def: $vgpr59
; %bb.37:                               ;   in Loop: Header=BB149_34 Depth=3
	s_andn2_saveexec_b64 s[44:45], s[44:45]
	s_cbranch_execz .LBB149_41
; %bb.38:                               ;   in Loop: Header=BB149_34 Depth=3
	v_pk_mov_b32 v[60:61], s[2:3], s[2:3] op_sel:[0,1]
	ds_cmpst_rtn_b64 v[60:61], v59, v[60:61], v[50:51]
	s_mov_b64 s[46:47], -1
	s_waitcnt lgkmcnt(0)
	v_cmp_eq_u64_e32 vcc, s[2:3], v[60:61]
	s_and_saveexec_b64 s[48:49], vcc
	s_cbranch_execz .LBB149_40
; %bb.39:                               ;   in Loop: Header=BB149_34 Depth=3
	v_lshl_add_u32 v59, v58, 6, v65
	ds_add_f64 v59, v[56:57] offset:16
	ds_add_f64 v59, v[54:55] offset:24
	s_xor_b64 s[46:47], exec, -1
.LBB149_40:                             ;   in Loop: Header=BB149_34 Depth=3
	s_or_b64 exec, exec, s[48:49]
	s_andn2_b64 s[34:35], s[34:35], exec
	s_and_b64 s[46:47], s[46:47], exec
	s_or_b64 s[34:35], s[34:35], s[46:47]
.LBB149_41:                             ;   in Loop: Header=BB149_34 Depth=3
	s_or_b64 exec, exec, s[44:45]
	s_and_b64 s[34:35], s[34:35], exec
.LBB149_42:                             ;   in Loop: Header=BB149_34 Depth=3
	s_andn2_saveexec_b64 s[28:29], s[28:29]
	s_cbranch_execz .LBB149_33
; %bb.43:                               ;   in Loop: Header=BB149_34 Depth=3
	v_lshl_add_u32 v59, v58, 6, v65
	ds_add_f64 v59, v[56:57] offset:16
	ds_add_f64 v59, v[54:55] offset:24
	s_andn2_b64 s[34:35], s[34:35], exec
	s_branch .LBB149_33
.LBB149_44:                             ;   in Loop: Header=BB149_20 Depth=2
	s_or_b64 exec, exec, s[20:21]
	v_mul_f64 v[54:55], v[14:15], -v[40:41]
	v_mul_f64 v[14:15], v[38:39], v[14:15]
	v_fmac_f64_e32 v[54:55], v[38:39], v[12:13]
	v_fmac_f64_e32 v[14:15], v[40:41], v[12:13]
	;; [unrolled: 1-line block ×4, first 2 shown]
	v_fma_f64 v[12:13], -v[48:49], v[10:11], v[54:55]
	v_fmac_f64_e32 v[14:15], v[46:47], v[10:11]
	s_mov_b64 s[20:21], 0
	v_pk_mov_b32 v[8:9], v[52:53], v[52:53] op_sel:[0,1]
	s_branch .LBB149_46
.LBB149_45:                             ;   in Loop: Header=BB149_46 Depth=3
	s_or_b64 exec, exec, s[28:29]
	s_xor_b64 s[28:29], s[34:35], -1
	s_and_b64 s[28:29], exec, s[28:29]
	s_or_b64 s[20:21], s[28:29], s[20:21]
	s_andn2_b64 exec, exec, s[20:21]
	s_cbranch_execz .LBB149_56
.LBB149_46:                             ;   Parent Loop BB149_17 Depth=1
                                        ;     Parent Loop BB149_20 Depth=2
                                        ; =>    This Inner Loop Header: Depth=3
	v_lshl_add_u32 v9, v8, 3, v63
	ds_read_b64 v[10:11], v9
                                        ; implicit-def: $sgpr34_sgpr35
	s_waitcnt lgkmcnt(0)
	v_cmp_ne_u64_e32 vcc, v[10:11], v[50:51]
	s_and_saveexec_b64 s[28:29], vcc
	s_xor_b64 s[28:29], exec, s[28:29]
	s_cbranch_execz .LBB149_54
; %bb.47:                               ;   in Loop: Header=BB149_46 Depth=3
	v_cmp_ne_u64_e32 vcc, s[2:3], v[10:11]
                                        ; implicit-def: $sgpr34_sgpr35
	s_and_saveexec_b64 s[44:45], vcc
	s_xor_b64 s[44:45], exec, s[44:45]
; %bb.48:                               ;   in Loop: Header=BB149_46 Depth=3
	v_add_u32_e32 v8, 1, v8
	v_and_b32_e32 v8, 31, v8
	s_mov_b64 s[34:35], -1
                                        ; implicit-def: $vgpr9
; %bb.49:                               ;   in Loop: Header=BB149_46 Depth=3
	s_andn2_saveexec_b64 s[44:45], s[44:45]
	s_cbranch_execz .LBB149_53
; %bb.50:                               ;   in Loop: Header=BB149_46 Depth=3
	v_pk_mov_b32 v[10:11], s[2:3], s[2:3] op_sel:[0,1]
	ds_cmpst_rtn_b64 v[10:11], v9, v[10:11], v[50:51]
	s_mov_b64 s[46:47], -1
	s_waitcnt lgkmcnt(0)
	v_cmp_eq_u64_e32 vcc, s[2:3], v[10:11]
	s_and_saveexec_b64 s[48:49], vcc
	s_cbranch_execz .LBB149_52
; %bb.51:                               ;   in Loop: Header=BB149_46 Depth=3
	v_lshl_add_u32 v9, v8, 6, v65
	ds_add_f64 v9, v[12:13] offset:32
	ds_add_f64 v9, v[14:15] offset:40
	s_xor_b64 s[46:47], exec, -1
.LBB149_52:                             ;   in Loop: Header=BB149_46 Depth=3
	s_or_b64 exec, exec, s[48:49]
	s_andn2_b64 s[34:35], s[34:35], exec
	s_and_b64 s[46:47], s[46:47], exec
	s_or_b64 s[34:35], s[34:35], s[46:47]
.LBB149_53:                             ;   in Loop: Header=BB149_46 Depth=3
	s_or_b64 exec, exec, s[44:45]
	s_and_b64 s[34:35], s[34:35], exec
.LBB149_54:                             ;   in Loop: Header=BB149_46 Depth=3
	s_andn2_saveexec_b64 s[28:29], s[28:29]
	s_cbranch_execz .LBB149_45
; %bb.55:                               ;   in Loop: Header=BB149_46 Depth=3
	v_lshl_add_u32 v9, v8, 6, v65
	ds_add_f64 v9, v[12:13] offset:32
	ds_add_f64 v9, v[14:15] offset:40
	s_andn2_b64 s[34:35], s[34:35], exec
	s_branch .LBB149_45
.LBB149_56:                             ;   in Loop: Header=BB149_20 Depth=2
	s_or_b64 exec, exec, s[20:21]
	v_mul_f64 v[8:9], v[6:7], -v[40:41]
	v_mul_f64 v[6:7], v[38:39], v[6:7]
	v_fmac_f64_e32 v[8:9], v[38:39], v[4:5]
	v_fmac_f64_e32 v[6:7], v[40:41], v[4:5]
	;; [unrolled: 1-line block ×4, first 2 shown]
	v_fma_f64 v[4:5], -v[48:49], v[2:3], v[8:9]
	v_fmac_f64_e32 v[6:7], v[46:47], v[2:3]
	s_mov_b64 s[20:21], 0
	s_branch .LBB149_58
.LBB149_57:                             ;   in Loop: Header=BB149_58 Depth=3
	s_or_b64 exec, exec, s[28:29]
	s_xor_b64 s[28:29], s[34:35], -1
	s_and_b64 s[28:29], exec, s[28:29]
	s_or_b64 s[20:21], s[28:29], s[20:21]
	s_andn2_b64 exec, exec, s[20:21]
	s_cbranch_execz .LBB149_19
.LBB149_58:                             ;   Parent Loop BB149_17 Depth=1
                                        ;     Parent Loop BB149_20 Depth=2
                                        ; =>    This Inner Loop Header: Depth=3
	v_lshl_add_u32 v2, v52, 3, v63
	ds_read_b64 v[0:1], v2
                                        ; implicit-def: $sgpr34_sgpr35
	s_waitcnt lgkmcnt(0)
	v_cmp_ne_u64_e32 vcc, v[0:1], v[50:51]
	s_and_saveexec_b64 s[28:29], vcc
	s_xor_b64 s[28:29], exec, s[28:29]
	s_cbranch_execz .LBB149_66
; %bb.59:                               ;   in Loop: Header=BB149_58 Depth=3
	v_cmp_ne_u64_e32 vcc, s[2:3], v[0:1]
                                        ; implicit-def: $sgpr34_sgpr35
	s_and_saveexec_b64 s[44:45], vcc
	s_xor_b64 s[44:45], exec, s[44:45]
; %bb.60:                               ;   in Loop: Header=BB149_58 Depth=3
	v_add_u32_e32 v0, 1, v52
	v_and_b32_e32 v52, 31, v0
	s_mov_b64 s[34:35], -1
                                        ; implicit-def: $vgpr2
; %bb.61:                               ;   in Loop: Header=BB149_58 Depth=3
	s_andn2_saveexec_b64 s[44:45], s[44:45]
	s_cbranch_execz .LBB149_65
; %bb.62:                               ;   in Loop: Header=BB149_58 Depth=3
	v_pk_mov_b32 v[0:1], s[2:3], s[2:3] op_sel:[0,1]
	ds_cmpst_rtn_b64 v[0:1], v2, v[0:1], v[50:51]
	s_mov_b64 s[46:47], -1
	s_waitcnt lgkmcnt(0)
	v_cmp_eq_u64_e32 vcc, s[2:3], v[0:1]
	s_and_saveexec_b64 s[48:49], vcc
	s_cbranch_execz .LBB149_64
; %bb.63:                               ;   in Loop: Header=BB149_58 Depth=3
	v_lshl_add_u32 v0, v52, 6, v65
	ds_add_f64 v0, v[4:5] offset:48
	ds_add_f64 v0, v[6:7] offset:56
	s_xor_b64 s[46:47], exec, -1
.LBB149_64:                             ;   in Loop: Header=BB149_58 Depth=3
	s_or_b64 exec, exec, s[48:49]
	s_andn2_b64 s[34:35], s[34:35], exec
	s_and_b64 s[46:47], s[46:47], exec
	s_or_b64 s[34:35], s[34:35], s[46:47]
.LBB149_65:                             ;   in Loop: Header=BB149_58 Depth=3
	s_or_b64 exec, exec, s[44:45]
	s_and_b64 s[34:35], s[34:35], exec
.LBB149_66:                             ;   in Loop: Header=BB149_58 Depth=3
	s_andn2_saveexec_b64 s[28:29], s[28:29]
	s_cbranch_execz .LBB149_57
; %bb.67:                               ;   in Loop: Header=BB149_58 Depth=3
	v_lshl_add_u32 v0, v52, 6, v65
	ds_add_f64 v0, v[4:5] offset:48
	ds_add_f64 v0, v[6:7] offset:56
	s_andn2_b64 s[34:35], s[34:35], exec
	s_branch .LBB149_57
.LBB149_68:
	s_or_b64 exec, exec, s[0:1]
.LBB149_69:
	s_andn2_b64 vcc, exec, s[4:5]
	s_waitcnt lgkmcnt(0)
	s_cbranch_vccnz .LBB149_122
; %bb.70:
	v_mov_b32_e32 v1, s13
	v_add_co_u32_e32 v0, vcc, s12, v20
	v_addc_co_u32_e32 v1, vcc, v1, v21, vcc
	global_load_dwordx4 v[0:3], v[0:1], off
	v_subrev_co_u32_e32 v4, vcc, s31, v64
	v_subb_co_u32_e64 v5, s[0:1], 0, 0, vcc
	s_mov_b32 s6, 0
	s_waitcnt vmcnt(0)
	v_subrev_co_u32_e32 v12, vcc, s31, v2
	v_subbrev_co_u32_e32 v13, vcc, 0, v3, vcc
	v_add_co_u32_e32 v14, vcc, v0, v4
	v_addc_co_u32_e32 v15, vcc, v1, v5, vcc
	v_cmp_lt_i64_e32 vcc, v[14:15], v[12:13]
	s_and_saveexec_b64 s[0:1], vcc
	s_cbranch_execz .LBB149_121
; %bb.71:
	s_cmp_eq_u32 s33, 0
	s_mov_b32 s24, s31
	s_cselect_b32 s25, 1, 2
	s_cselect_b32 s26, 2, 1
	s_mov_b64 s[4:5], 0
	v_mov_b32_e32 v25, s17
	v_mov_b32_e32 v34, s15
	;; [unrolled: 1-line block ×3, first 2 shown]
	s_branch .LBB149_73
.LBB149_72:                             ;   in Loop: Header=BB149_73 Depth=1
	s_or_b64 exec, exec, s[6:7]
	v_add_co_u32_e32 v14, vcc, 16, v14
	v_addc_co_u32_e32 v15, vcc, 0, v15, vcc
	v_cmp_ge_i64_e32 vcc, v[14:15], v[12:13]
	s_or_b64 s[4:5], vcc, s[4:5]
	s_andn2_b64 exec, exec, s[4:5]
	s_cbranch_execz .LBB149_121
.LBB149_73:                             ; =>This Loop Header: Depth=1
                                        ;     Child Loop BB149_75 Depth 2
                                        ;     Child Loop BB149_87 Depth 2
	;; [unrolled: 1-line block ×4, first 2 shown]
	v_lshlrev_b64 v[0:1], 6, v[14:15]
	v_add_co_u32_e32 v6, vcc, s16, v0
	v_lshlrev_b64 v[4:5], 2, v[14:15]
	v_addc_co_u32_e32 v7, vcc, v25, v1, vcc
	global_load_dwordx4 v[30:33], v[6:7], off
	global_load_dwordx4 v[0:3], v[6:7], off offset:48
	v_or_b32_e32 v7, 0, v5
	v_or_b32_e32 v6, s25, v4
	v_lshlrev_b64 v[6:7], 4, v[6:7]
	v_add_co_u32_e32 v22, vcc, s16, v6
	v_addc_co_u32_e32 v23, vcc, v25, v7, vcc
	v_lshlrev_b64 v[6:7], 3, v[14:15]
	v_add_co_u32_e32 v6, vcc, s14, v6
	v_addc_co_u32_e32 v7, vcc, v34, v7, vcc
	global_load_dwordx2 v[36:37], v[6:7], off
	v_or_b32_e32 v5, 0, v5
	v_or_b32_e32 v4, s26, v4
	v_lshlrev_b64 v[4:5], 4, v[4:5]
	v_add_co_u32_e32 v26, vcc, s16, v4
	v_addc_co_u32_e32 v27, vcc, v25, v5, vcc
	global_load_dwordx4 v[8:11], v[22:23], off
	global_load_dwordx4 v[4:7], v[26:27], off
	s_mov_b64 s[6:7], 0
	s_waitcnt vmcnt(4)
	v_mul_f64 v[26:27], v[32:33], -v[16:17]
	v_mul_f64 v[28:29], v[18:19], v[32:33]
	v_fmac_f64_e32 v[26:27], v[18:19], v[30:31]
	v_fmac_f64_e32 v[28:29], v[16:17], v[30:31]
	s_waitcnt vmcnt(2)
	v_subrev_co_u32_e32 v22, vcc, s24, v36
	v_lshl_add_u32 v24, v22, 3, v22
	v_and_b32_e32 v24, 31, v24
	v_subb_co_u32_e32 v23, vcc, v37, v35, vcc
	v_pk_mov_b32 v[30:31], v[24:25], v[24:25] op_sel:[0,1]
	s_branch .LBB149_75
.LBB149_74:                             ;   in Loop: Header=BB149_75 Depth=2
	s_or_b64 exec, exec, s[8:9]
	s_xor_b64 s[8:9], s[10:11], -1
	s_and_b64 s[8:9], exec, s[8:9]
	s_or_b64 s[6:7], s[8:9], s[6:7]
	s_andn2_b64 exec, exec, s[6:7]
	s_cbranch_execz .LBB149_85
.LBB149_75:                             ;   Parent Loop BB149_73 Depth=1
                                        ; =>  This Inner Loop Header: Depth=2
	v_lshl_add_u32 v31, v30, 3, v63
	ds_read_b64 v[32:33], v31
                                        ; implicit-def: $sgpr10_sgpr11
	s_waitcnt lgkmcnt(0)
	v_cmp_ne_u64_e32 vcc, v[32:33], v[22:23]
	s_and_saveexec_b64 s[8:9], vcc
	s_xor_b64 s[8:9], exec, s[8:9]
	s_cbranch_execz .LBB149_83
; %bb.76:                               ;   in Loop: Header=BB149_75 Depth=2
	v_cmp_ne_u64_e32 vcc, s[2:3], v[32:33]
                                        ; implicit-def: $sgpr10_sgpr11
	s_and_saveexec_b64 s[12:13], vcc
	s_xor_b64 s[12:13], exec, s[12:13]
; %bb.77:                               ;   in Loop: Header=BB149_75 Depth=2
	v_add_u32_e32 v30, 1, v30
	v_and_b32_e32 v30, 31, v30
	s_mov_b64 s[10:11], -1
                                        ; implicit-def: $vgpr31
; %bb.78:                               ;   in Loop: Header=BB149_75 Depth=2
	s_andn2_saveexec_b64 s[12:13], s[12:13]
	s_cbranch_execz .LBB149_82
; %bb.79:                               ;   in Loop: Header=BB149_75 Depth=2
	v_pk_mov_b32 v[32:33], s[2:3], s[2:3] op_sel:[0,1]
	ds_cmpst_rtn_b64 v[32:33], v31, v[32:33], v[22:23]
	s_mov_b64 s[20:21], -1
	s_waitcnt lgkmcnt(0)
	v_cmp_eq_u64_e32 vcc, s[2:3], v[32:33]
	s_and_saveexec_b64 s[22:23], vcc
	s_cbranch_execz .LBB149_81
; %bb.80:                               ;   in Loop: Header=BB149_75 Depth=2
	v_lshl_add_u32 v31, v30, 6, v65
	ds_add_f64 v31, v[26:27]
	ds_add_f64 v31, v[28:29] offset:8
	s_xor_b64 s[20:21], exec, -1
.LBB149_81:                             ;   in Loop: Header=BB149_75 Depth=2
	s_or_b64 exec, exec, s[22:23]
	s_andn2_b64 s[10:11], s[10:11], exec
	s_and_b64 s[20:21], s[20:21], exec
	s_or_b64 s[10:11], s[10:11], s[20:21]
.LBB149_82:                             ;   in Loop: Header=BB149_75 Depth=2
	s_or_b64 exec, exec, s[12:13]
	s_and_b64 s[10:11], s[10:11], exec
.LBB149_83:                             ;   in Loop: Header=BB149_75 Depth=2
	s_andn2_saveexec_b64 s[8:9], s[8:9]
	s_cbranch_execz .LBB149_74
; %bb.84:                               ;   in Loop: Header=BB149_75 Depth=2
	v_lshl_add_u32 v31, v30, 6, v65
	ds_add_f64 v31, v[26:27]
	ds_add_f64 v31, v[28:29] offset:8
	s_andn2_b64 s[10:11], s[10:11], exec
	s_branch .LBB149_74
.LBB149_85:                             ;   in Loop: Header=BB149_73 Depth=1
	s_or_b64 exec, exec, s[6:7]
	s_waitcnt vmcnt(1)
	v_mul_f64 v[26:27], v[10:11], -v[16:17]
	v_mul_f64 v[10:11], v[18:19], v[10:11]
	v_fmac_f64_e32 v[26:27], v[18:19], v[8:9]
	v_fmac_f64_e32 v[10:11], v[16:17], v[8:9]
	s_mov_b64 s[6:7], 0
	v_pk_mov_b32 v[8:9], v[24:25], v[24:25] op_sel:[0,1]
	s_branch .LBB149_87
.LBB149_86:                             ;   in Loop: Header=BB149_87 Depth=2
	s_or_b64 exec, exec, s[8:9]
	s_xor_b64 s[8:9], s[10:11], -1
	s_and_b64 s[8:9], exec, s[8:9]
	s_or_b64 s[6:7], s[8:9], s[6:7]
	s_andn2_b64 exec, exec, s[6:7]
	s_cbranch_execz .LBB149_97
.LBB149_87:                             ;   Parent Loop BB149_73 Depth=1
                                        ; =>  This Inner Loop Header: Depth=2
	v_lshl_add_u32 v9, v8, 3, v63
	ds_read_b64 v[28:29], v9
                                        ; implicit-def: $sgpr10_sgpr11
	s_waitcnt lgkmcnt(0)
	v_cmp_ne_u64_e32 vcc, v[28:29], v[22:23]
	s_and_saveexec_b64 s[8:9], vcc
	s_xor_b64 s[8:9], exec, s[8:9]
	s_cbranch_execz .LBB149_95
; %bb.88:                               ;   in Loop: Header=BB149_87 Depth=2
	v_cmp_ne_u64_e32 vcc, s[2:3], v[28:29]
                                        ; implicit-def: $sgpr10_sgpr11
	s_and_saveexec_b64 s[12:13], vcc
	s_xor_b64 s[12:13], exec, s[12:13]
; %bb.89:                               ;   in Loop: Header=BB149_87 Depth=2
	v_add_u32_e32 v8, 1, v8
	v_and_b32_e32 v8, 31, v8
	s_mov_b64 s[10:11], -1
                                        ; implicit-def: $vgpr9
; %bb.90:                               ;   in Loop: Header=BB149_87 Depth=2
	s_andn2_saveexec_b64 s[12:13], s[12:13]
	s_cbranch_execz .LBB149_94
; %bb.91:                               ;   in Loop: Header=BB149_87 Depth=2
	v_pk_mov_b32 v[28:29], s[2:3], s[2:3] op_sel:[0,1]
	ds_cmpst_rtn_b64 v[28:29], v9, v[28:29], v[22:23]
	s_mov_b64 s[20:21], -1
	s_waitcnt lgkmcnt(0)
	v_cmp_eq_u64_e32 vcc, s[2:3], v[28:29]
	s_and_saveexec_b64 s[22:23], vcc
	s_cbranch_execz .LBB149_93
; %bb.92:                               ;   in Loop: Header=BB149_87 Depth=2
	v_lshl_add_u32 v9, v8, 6, v65
	ds_add_f64 v9, v[26:27] offset:16
	ds_add_f64 v9, v[10:11] offset:24
	s_xor_b64 s[20:21], exec, -1
.LBB149_93:                             ;   in Loop: Header=BB149_87 Depth=2
	s_or_b64 exec, exec, s[22:23]
	s_andn2_b64 s[10:11], s[10:11], exec
	s_and_b64 s[20:21], s[20:21], exec
	s_or_b64 s[10:11], s[10:11], s[20:21]
.LBB149_94:                             ;   in Loop: Header=BB149_87 Depth=2
	s_or_b64 exec, exec, s[12:13]
	s_and_b64 s[10:11], s[10:11], exec
.LBB149_95:                             ;   in Loop: Header=BB149_87 Depth=2
	s_andn2_saveexec_b64 s[8:9], s[8:9]
	s_cbranch_execz .LBB149_86
; %bb.96:                               ;   in Loop: Header=BB149_87 Depth=2
	v_lshl_add_u32 v9, v8, 6, v65
	ds_add_f64 v9, v[26:27] offset:16
	ds_add_f64 v9, v[10:11] offset:24
	s_andn2_b64 s[10:11], s[10:11], exec
	s_branch .LBB149_86
.LBB149_97:                             ;   in Loop: Header=BB149_73 Depth=1
	s_or_b64 exec, exec, s[6:7]
	s_waitcnt vmcnt(0)
	v_mul_f64 v[8:9], v[6:7], -v[16:17]
	v_mul_f64 v[6:7], v[18:19], v[6:7]
	v_fmac_f64_e32 v[8:9], v[18:19], v[4:5]
	v_fmac_f64_e32 v[6:7], v[16:17], v[4:5]
	s_mov_b64 s[6:7], 0
	v_pk_mov_b32 v[4:5], v[24:25], v[24:25] op_sel:[0,1]
	s_branch .LBB149_99
.LBB149_98:                             ;   in Loop: Header=BB149_99 Depth=2
	s_or_b64 exec, exec, s[8:9]
	s_xor_b64 s[8:9], s[10:11], -1
	s_and_b64 s[8:9], exec, s[8:9]
	s_or_b64 s[6:7], s[8:9], s[6:7]
	s_andn2_b64 exec, exec, s[6:7]
	s_cbranch_execz .LBB149_109
.LBB149_99:                             ;   Parent Loop BB149_73 Depth=1
                                        ; =>  This Inner Loop Header: Depth=2
	v_lshl_add_u32 v5, v4, 3, v63
	ds_read_b64 v[10:11], v5
                                        ; implicit-def: $sgpr10_sgpr11
	s_waitcnt lgkmcnt(0)
	v_cmp_ne_u64_e32 vcc, v[10:11], v[22:23]
	s_and_saveexec_b64 s[8:9], vcc
	s_xor_b64 s[8:9], exec, s[8:9]
	s_cbranch_execz .LBB149_107
; %bb.100:                              ;   in Loop: Header=BB149_99 Depth=2
	v_cmp_ne_u64_e32 vcc, s[2:3], v[10:11]
                                        ; implicit-def: $sgpr10_sgpr11
	s_and_saveexec_b64 s[12:13], vcc
	s_xor_b64 s[12:13], exec, s[12:13]
; %bb.101:                              ;   in Loop: Header=BB149_99 Depth=2
	v_add_u32_e32 v4, 1, v4
	v_and_b32_e32 v4, 31, v4
	s_mov_b64 s[10:11], -1
                                        ; implicit-def: $vgpr5
; %bb.102:                              ;   in Loop: Header=BB149_99 Depth=2
	s_andn2_saveexec_b64 s[12:13], s[12:13]
	s_cbranch_execz .LBB149_106
; %bb.103:                              ;   in Loop: Header=BB149_99 Depth=2
	v_pk_mov_b32 v[10:11], s[2:3], s[2:3] op_sel:[0,1]
	ds_cmpst_rtn_b64 v[10:11], v5, v[10:11], v[22:23]
	s_mov_b64 s[20:21], -1
	s_waitcnt lgkmcnt(0)
	v_cmp_eq_u64_e32 vcc, s[2:3], v[10:11]
	s_and_saveexec_b64 s[22:23], vcc
	s_cbranch_execz .LBB149_105
; %bb.104:                              ;   in Loop: Header=BB149_99 Depth=2
	v_lshl_add_u32 v5, v4, 6, v65
	ds_add_f64 v5, v[8:9] offset:32
	ds_add_f64 v5, v[6:7] offset:40
	s_xor_b64 s[20:21], exec, -1
.LBB149_105:                            ;   in Loop: Header=BB149_99 Depth=2
	s_or_b64 exec, exec, s[22:23]
	s_andn2_b64 s[10:11], s[10:11], exec
	s_and_b64 s[20:21], s[20:21], exec
	s_or_b64 s[10:11], s[10:11], s[20:21]
.LBB149_106:                            ;   in Loop: Header=BB149_99 Depth=2
	s_or_b64 exec, exec, s[12:13]
	s_and_b64 s[10:11], s[10:11], exec
.LBB149_107:                            ;   in Loop: Header=BB149_99 Depth=2
	s_andn2_saveexec_b64 s[8:9], s[8:9]
	s_cbranch_execz .LBB149_98
; %bb.108:                              ;   in Loop: Header=BB149_99 Depth=2
	v_lshl_add_u32 v5, v4, 6, v65
	ds_add_f64 v5, v[8:9] offset:32
	ds_add_f64 v5, v[6:7] offset:40
	s_andn2_b64 s[10:11], s[10:11], exec
	s_branch .LBB149_98
.LBB149_109:                            ;   in Loop: Header=BB149_73 Depth=1
	s_or_b64 exec, exec, s[6:7]
	v_mul_f64 v[4:5], v[2:3], -v[16:17]
	v_mul_f64 v[2:3], v[18:19], v[2:3]
	v_fmac_f64_e32 v[4:5], v[18:19], v[0:1]
	v_fmac_f64_e32 v[2:3], v[16:17], v[0:1]
	s_mov_b64 s[6:7], 0
	s_branch .LBB149_111
.LBB149_110:                            ;   in Loop: Header=BB149_111 Depth=2
	s_or_b64 exec, exec, s[8:9]
	s_xor_b64 s[8:9], s[10:11], -1
	s_and_b64 s[8:9], exec, s[8:9]
	s_or_b64 s[6:7], s[8:9], s[6:7]
	s_andn2_b64 exec, exec, s[6:7]
	s_cbranch_execz .LBB149_72
.LBB149_111:                            ;   Parent Loop BB149_73 Depth=1
                                        ; =>  This Inner Loop Header: Depth=2
	v_lshl_add_u32 v6, v24, 3, v63
	ds_read_b64 v[0:1], v6
                                        ; implicit-def: $sgpr10_sgpr11
	s_waitcnt lgkmcnt(0)
	v_cmp_ne_u64_e32 vcc, v[0:1], v[22:23]
	s_and_saveexec_b64 s[8:9], vcc
	s_xor_b64 s[8:9], exec, s[8:9]
	s_cbranch_execz .LBB149_119
; %bb.112:                              ;   in Loop: Header=BB149_111 Depth=2
	v_cmp_ne_u64_e32 vcc, s[2:3], v[0:1]
                                        ; implicit-def: $sgpr10_sgpr11
	s_and_saveexec_b64 s[12:13], vcc
	s_xor_b64 s[12:13], exec, s[12:13]
; %bb.113:                              ;   in Loop: Header=BB149_111 Depth=2
	v_add_u32_e32 v0, 1, v24
	v_and_b32_e32 v24, 31, v0
	s_mov_b64 s[10:11], -1
                                        ; implicit-def: $vgpr6
; %bb.114:                              ;   in Loop: Header=BB149_111 Depth=2
	s_andn2_saveexec_b64 s[12:13], s[12:13]
	s_cbranch_execz .LBB149_118
; %bb.115:                              ;   in Loop: Header=BB149_111 Depth=2
	v_pk_mov_b32 v[0:1], s[2:3], s[2:3] op_sel:[0,1]
	ds_cmpst_rtn_b64 v[0:1], v6, v[0:1], v[22:23]
	s_mov_b64 s[20:21], -1
	s_waitcnt lgkmcnt(0)
	v_cmp_eq_u64_e32 vcc, s[2:3], v[0:1]
	s_and_saveexec_b64 s[22:23], vcc
	s_cbranch_execz .LBB149_117
; %bb.116:                              ;   in Loop: Header=BB149_111 Depth=2
	v_lshl_add_u32 v0, v24, 6, v65
	ds_add_f64 v0, v[4:5] offset:48
	ds_add_f64 v0, v[2:3] offset:56
	s_xor_b64 s[20:21], exec, -1
.LBB149_117:                            ;   in Loop: Header=BB149_111 Depth=2
	s_or_b64 exec, exec, s[22:23]
	s_andn2_b64 s[10:11], s[10:11], exec
	s_and_b64 s[20:21], s[20:21], exec
	s_or_b64 s[10:11], s[10:11], s[20:21]
.LBB149_118:                            ;   in Loop: Header=BB149_111 Depth=2
	s_or_b64 exec, exec, s[12:13]
	s_and_b64 s[10:11], s[10:11], exec
.LBB149_119:                            ;   in Loop: Header=BB149_111 Depth=2
	s_andn2_saveexec_b64 s[8:9], s[8:9]
	s_cbranch_execz .LBB149_110
; %bb.120:                              ;   in Loop: Header=BB149_111 Depth=2
	v_lshl_add_u32 v0, v24, 6, v65
	ds_add_f64 v0, v[4:5] offset:48
	ds_add_f64 v0, v[2:3] offset:56
	s_andn2_b64 s[10:11], s[10:11], exec
	s_branch .LBB149_110
.LBB149_121:
	s_or_b64 exec, exec, s[0:1]
.LBB149_122:
	v_mov_b32_e32 v1, s19
	v_add_co_u32_e32 v0, vcc, s18, v20
	v_addc_co_u32_e32 v1, vcc, v1, v21, vcc
	s_waitcnt lgkmcnt(0)
	global_load_dwordx2 v[0:1], v[0:1], off
	s_cmp_eq_u32 s33, 0
	s_mov_b32 s6, 0
	v_lshl_add_u32 v2, v64, 6, v65
	s_cselect_b32 s7, 16, 32
	s_cselect_b32 s8, 32, 16
	s_mov_b64 s[0:1], 0
	s_waitcnt vmcnt(0)
	v_subrev_co_u32_e32 v3, vcc, s30, v0
	v_subbrev_co_u32_e32 v4, vcc, 0, v1, vcc
	s_branch .LBB149_124
.LBB149_123:                            ;   in Loop: Header=BB149_124 Depth=1
	s_or_b64 exec, exec, s[4:5]
	v_add_co_u32_e32 v53, vcc, 16, v53
	s_xor_b64 s[4:5], vcc, -1
	s_and_b64 s[4:5], exec, s[4:5]
	v_add_u32_e32 v2, 0x400, v2
	s_or_b64 s[0:1], s[4:5], s[0:1]
	v_add_u32_e32 v62, 0x80, v62
	s_andn2_b64 exec, exec, s[0:1]
	s_cbranch_execz .LBB149_126
.LBB149_124:                            ; =>This Inner Loop Header: Depth=1
	ds_read_b64 v[0:1], v62
	s_waitcnt lgkmcnt(0)
	v_cmp_gt_i64_e32 vcc, s[2:3], v[0:1]
	s_and_saveexec_b64 s[4:5], vcc
	s_cbranch_execz .LBB149_123
; %bb.125:                              ;   in Loop: Header=BB149_124 Depth=1
	ds_read_b128 v[6:9], v63
	ds_read_b128 v[10:13], v63 offset:16
	ds_read_b128 v[14:17], v63 offset:32
	;; [unrolled: 1-line block ×3, first 2 shown]
	s_waitcnt lgkmcnt(3)
	v_cmp_gt_i64_e32 vcc, v[0:1], v[6:7]
	v_cndmask_b32_e64 v5, 0, 1, vcc
	v_add_co_u32_e32 v5, vcc, v3, v5
	v_addc_co_u32_e32 v6, vcc, 0, v4, vcc
	v_cmp_gt_i64_e32 vcc, v[0:1], v[8:9]
	v_cndmask_b32_e64 v7, 0, 1, vcc
	v_add_co_u32_e32 v5, vcc, v5, v7
	v_addc_co_u32_e32 v6, vcc, 0, v6, vcc
	s_waitcnt lgkmcnt(2)
	v_cmp_gt_i64_e32 vcc, v[0:1], v[10:11]
	v_cndmask_b32_e64 v7, 0, 1, vcc
	v_add_co_u32_e32 v5, vcc, v5, v7
	v_addc_co_u32_e32 v6, vcc, 0, v6, vcc
	v_cmp_gt_i64_e32 vcc, v[0:1], v[12:13]
	v_cndmask_b32_e64 v7, 0, 1, vcc
	v_add_co_u32_e32 v5, vcc, v5, v7
	v_addc_co_u32_e32 v6, vcc, 0, v6, vcc
	s_waitcnt lgkmcnt(1)
	v_cmp_gt_i64_e32 vcc, v[0:1], v[14:15]
	v_cndmask_b32_e64 v7, 0, 1, vcc
	v_add_co_u32_e32 v5, vcc, v5, v7
	v_addc_co_u32_e32 v6, vcc, 0, v6, vcc
	v_cmp_gt_i64_e32 vcc, v[0:1], v[16:17]
	v_cndmask_b32_e64 v7, 0, 1, vcc
	v_add_co_u32_e32 v5, vcc, v5, v7
	v_addc_co_u32_e32 v6, vcc, 0, v6, vcc
	s_waitcnt lgkmcnt(0)
	v_cmp_gt_i64_e32 vcc, v[0:1], v[18:19]
	v_cndmask_b32_e64 v7, 0, 1, vcc
	v_add_co_u32_e32 v5, vcc, v5, v7
	v_addc_co_u32_e32 v10, vcc, 0, v6, vcc
	ds_read_b128 v[6:9], v63 offset:64
	v_cmp_gt_i64_e32 vcc, v[0:1], v[20:21]
	v_cndmask_b32_e64 v11, 0, 1, vcc
	v_add_co_u32_e32 v5, vcc, v5, v11
	v_addc_co_u32_e32 v14, vcc, 0, v10, vcc
	ds_read_b128 v[10:13], v63 offset:80
	s_waitcnt lgkmcnt(1)
	v_cmp_gt_i64_e32 vcc, v[0:1], v[6:7]
	v_cndmask_b32_e64 v6, 0, 1, vcc
	v_add_co_u32_e32 v5, vcc, v5, v6
	v_addc_co_u32_e32 v6, vcc, 0, v14, vcc
	v_cmp_gt_i64_e32 vcc, v[0:1], v[8:9]
	v_cndmask_b32_e64 v7, 0, 1, vcc
	v_add_co_u32_e32 v5, vcc, v5, v7
	v_addc_co_u32_e32 v6, vcc, 0, v6, vcc
	s_waitcnt lgkmcnt(0)
	v_cmp_gt_i64_e32 vcc, v[0:1], v[10:11]
	v_cndmask_b32_e64 v7, 0, 1, vcc
	v_add_co_u32_e32 v5, vcc, v5, v7
	v_addc_co_u32_e32 v10, vcc, 0, v6, vcc
	ds_read_b128 v[6:9], v63 offset:96
	v_cmp_gt_i64_e32 vcc, v[0:1], v[12:13]
	v_cndmask_b32_e64 v11, 0, 1, vcc
	v_add_co_u32_e32 v5, vcc, v5, v11
	v_addc_co_u32_e32 v14, vcc, 0, v10, vcc
	ds_read_b128 v[10:13], v63 offset:112
	s_waitcnt lgkmcnt(1)
	v_cmp_gt_i64_e32 vcc, v[0:1], v[6:7]
	v_cndmask_b32_e64 v6, 0, 1, vcc
	v_add_co_u32_e32 v5, vcc, v5, v6
	v_addc_co_u32_e32 v6, vcc, 0, v14, vcc
	v_cmp_gt_i64_e32 vcc, v[0:1], v[8:9]
	v_cndmask_b32_e64 v7, 0, 1, vcc
	v_add_co_u32_e32 v5, vcc, v5, v7
	v_addc_co_u32_e32 v6, vcc, 0, v6, vcc
	;; [unrolled: 20-line block ×6, first 2 shown]
	s_waitcnt lgkmcnt(0)
	v_cmp_gt_i64_e32 vcc, v[0:1], v[10:11]
	v_cndmask_b32_e64 v7, 0, 1, vcc
	v_add_co_u32_e32 v5, vcc, v5, v7
	v_addc_co_u32_e32 v7, vcc, 0, v6, vcc
	v_cmp_gt_i64_e32 vcc, v[0:1], v[12:13]
	v_cndmask_b32_e64 v6, 0, 1, vcc
	v_add_co_u32_e32 v6, vcc, v5, v6
	v_addc_co_u32_e32 v7, vcc, 0, v7, vcc
	v_mov_b32_e32 v5, s6
	v_add_co_u32_e32 v0, vcc, s30, v0
	v_addc_co_u32_e32 v1, vcc, v1, v5, vcc
	v_lshlrev_b64 v[8:9], 3, v[6:7]
	v_mov_b32_e32 v5, s37
	v_add_co_u32_e32 v8, vcc, s36, v8
	v_addc_co_u32_e32 v9, vcc, v5, v9, vcc
	global_store_dwordx2 v[8:9], v[0:1], off
	v_lshlrev_b64 v[0:1], 6, v[6:7]
	v_add_u32_e32 v6, s7, v2
	v_add_u32_e32 v10, s8, v2
	ds_read2_b64 v[6:9], v6 offset1:1
	ds_read2_b64 v[10:13], v10 offset1:1
	;; [unrolled: 1-line block ×3, first 2 shown]
	ds_read2_b64 v[18:21], v2 offset0:6 offset1:7
	v_mov_b32_e32 v5, s39
	v_add_co_u32_e32 v0, vcc, s38, v0
	v_addc_co_u32_e32 v1, vcc, v5, v1, vcc
	s_waitcnt lgkmcnt(1)
	global_store_dwordx4 v[0:1], v[14:17], off
	global_store_dwordx4 v[0:1], v[6:9], off offset:16
	global_store_dwordx4 v[0:1], v[10:13], off offset:32
	s_waitcnt lgkmcnt(0)
	global_store_dwordx4 v[0:1], v[18:21], off offset:48
	s_branch .LBB149_123
.LBB149_126:
	s_endpgm
	.section	.rodata,"a",@progbits
	.p2align	6, 0x0
	.amdhsa_kernel _ZN9rocsparseL27bsrgemm_fill_wf_per_row_2x2ILj256ELj16ELj32ELj137Ell21rocsparse_complex_numIdEEEv20rocsparse_direction_T4_S4_PKS4_S6_NS_24const_host_device_scalarIT5_EEPKT3_S6_PKS8_SC_S6_SE_S9_SC_S6_SE_SC_PS4_PS8_21rocsparse_index_base_SH_SH_SH_bbb
		.amdhsa_group_segment_fixed_size 40960
		.amdhsa_private_segment_fixed_size 0
		.amdhsa_kernarg_size 188
		.amdhsa_user_sgpr_count 8
		.amdhsa_user_sgpr_private_segment_buffer 1
		.amdhsa_user_sgpr_dispatch_ptr 1
		.amdhsa_user_sgpr_queue_ptr 0
		.amdhsa_user_sgpr_kernarg_segment_ptr 1
		.amdhsa_user_sgpr_dispatch_id 0
		.amdhsa_user_sgpr_flat_scratch_init 0
		.amdhsa_user_sgpr_kernarg_preload_length 0
		.amdhsa_user_sgpr_kernarg_preload_offset 0
		.amdhsa_user_sgpr_private_segment_size 0
		.amdhsa_uses_dynamic_stack 0
		.amdhsa_system_sgpr_private_segment_wavefront_offset 0
		.amdhsa_system_sgpr_workgroup_id_x 1
		.amdhsa_system_sgpr_workgroup_id_y 0
		.amdhsa_system_sgpr_workgroup_id_z 0
		.amdhsa_system_sgpr_workgroup_info 0
		.amdhsa_system_vgpr_workitem_id 2
		.amdhsa_next_free_vgpr 69
		.amdhsa_next_free_sgpr 56
		.amdhsa_accum_offset 72
		.amdhsa_reserve_vcc 1
		.amdhsa_reserve_flat_scratch 0
		.amdhsa_float_round_mode_32 0
		.amdhsa_float_round_mode_16_64 0
		.amdhsa_float_denorm_mode_32 3
		.amdhsa_float_denorm_mode_16_64 3
		.amdhsa_dx10_clamp 1
		.amdhsa_ieee_mode 1
		.amdhsa_fp16_overflow 0
		.amdhsa_tg_split 0
		.amdhsa_exception_fp_ieee_invalid_op 0
		.amdhsa_exception_fp_denorm_src 0
		.amdhsa_exception_fp_ieee_div_zero 0
		.amdhsa_exception_fp_ieee_overflow 0
		.amdhsa_exception_fp_ieee_underflow 0
		.amdhsa_exception_fp_ieee_inexact 0
		.amdhsa_exception_int_div_zero 0
	.end_amdhsa_kernel
	.section	.text._ZN9rocsparseL27bsrgemm_fill_wf_per_row_2x2ILj256ELj16ELj32ELj137Ell21rocsparse_complex_numIdEEEv20rocsparse_direction_T4_S4_PKS4_S6_NS_24const_host_device_scalarIT5_EEPKT3_S6_PKS8_SC_S6_SE_S9_SC_S6_SE_SC_PS4_PS8_21rocsparse_index_base_SH_SH_SH_bbb,"axG",@progbits,_ZN9rocsparseL27bsrgemm_fill_wf_per_row_2x2ILj256ELj16ELj32ELj137Ell21rocsparse_complex_numIdEEEv20rocsparse_direction_T4_S4_PKS4_S6_NS_24const_host_device_scalarIT5_EEPKT3_S6_PKS8_SC_S6_SE_S9_SC_S6_SE_SC_PS4_PS8_21rocsparse_index_base_SH_SH_SH_bbb,comdat
.Lfunc_end149:
	.size	_ZN9rocsparseL27bsrgemm_fill_wf_per_row_2x2ILj256ELj16ELj32ELj137Ell21rocsparse_complex_numIdEEEv20rocsparse_direction_T4_S4_PKS4_S6_NS_24const_host_device_scalarIT5_EEPKT3_S6_PKS8_SC_S6_SE_S9_SC_S6_SE_SC_PS4_PS8_21rocsparse_index_base_SH_SH_SH_bbb, .Lfunc_end149-_ZN9rocsparseL27bsrgemm_fill_wf_per_row_2x2ILj256ELj16ELj32ELj137Ell21rocsparse_complex_numIdEEEv20rocsparse_direction_T4_S4_PKS4_S6_NS_24const_host_device_scalarIT5_EEPKT3_S6_PKS8_SC_S6_SE_S9_SC_S6_SE_SC_PS4_PS8_21rocsparse_index_base_SH_SH_SH_bbb
                                        ; -- End function
	.section	.AMDGPU.csdata,"",@progbits
; Kernel info:
; codeLenInByte = 5016
; NumSgprs: 60
; NumVgprs: 69
; NumAgprs: 0
; TotalNumVgprs: 69
; ScratchSize: 0
; MemoryBound: 0
; FloatMode: 240
; IeeeMode: 1
; LDSByteSize: 40960 bytes/workgroup (compile time only)
; SGPRBlocks: 7
; VGPRBlocks: 8
; NumSGPRsForWavesPerEU: 60
; NumVGPRsForWavesPerEU: 69
; AccumOffset: 72
; Occupancy: 1
; WaveLimiterHint : 1
; COMPUTE_PGM_RSRC2:SCRATCH_EN: 0
; COMPUTE_PGM_RSRC2:USER_SGPR: 8
; COMPUTE_PGM_RSRC2:TRAP_HANDLER: 0
; COMPUTE_PGM_RSRC2:TGID_X_EN: 1
; COMPUTE_PGM_RSRC2:TGID_Y_EN: 0
; COMPUTE_PGM_RSRC2:TGID_Z_EN: 0
; COMPUTE_PGM_RSRC2:TIDIG_COMP_CNT: 2
; COMPUTE_PGM_RSRC3_GFX90A:ACCUM_OFFSET: 17
; COMPUTE_PGM_RSRC3_GFX90A:TG_SPLIT: 0
	.section	.text._ZN9rocsparseL30bsrgemm_fill_block_per_row_2x2ILj256ELj16ELj64ELj137Ell21rocsparse_complex_numIdEEEv20rocsparse_direction_T4_S4_PKS4_S6_NS_24const_host_device_scalarIT5_EEPKT3_S6_PKS8_SC_S6_SE_S9_SC_S6_SE_SC_PS4_PS8_21rocsparse_index_base_SH_SH_SH_bbb,"axG",@progbits,_ZN9rocsparseL30bsrgemm_fill_block_per_row_2x2ILj256ELj16ELj64ELj137Ell21rocsparse_complex_numIdEEEv20rocsparse_direction_T4_S4_PKS4_S6_NS_24const_host_device_scalarIT5_EEPKT3_S6_PKS8_SC_S6_SE_S9_SC_S6_SE_SC_PS4_PS8_21rocsparse_index_base_SH_SH_SH_bbb,comdat
	.globl	_ZN9rocsparseL30bsrgemm_fill_block_per_row_2x2ILj256ELj16ELj64ELj137Ell21rocsparse_complex_numIdEEEv20rocsparse_direction_T4_S4_PKS4_S6_NS_24const_host_device_scalarIT5_EEPKT3_S6_PKS8_SC_S6_SE_S9_SC_S6_SE_SC_PS4_PS8_21rocsparse_index_base_SH_SH_SH_bbb ; -- Begin function _ZN9rocsparseL30bsrgemm_fill_block_per_row_2x2ILj256ELj16ELj64ELj137Ell21rocsparse_complex_numIdEEEv20rocsparse_direction_T4_S4_PKS4_S6_NS_24const_host_device_scalarIT5_EEPKT3_S6_PKS8_SC_S6_SE_S9_SC_S6_SE_SC_PS4_PS8_21rocsparse_index_base_SH_SH_SH_bbb
	.p2align	8
	.type	_ZN9rocsparseL30bsrgemm_fill_block_per_row_2x2ILj256ELj16ELj64ELj137Ell21rocsparse_complex_numIdEEEv20rocsparse_direction_T4_S4_PKS4_S6_NS_24const_host_device_scalarIT5_EEPKT3_S6_PKS8_SC_S6_SE_S9_SC_S6_SE_SC_PS4_PS8_21rocsparse_index_base_SH_SH_SH_bbb,@function
_ZN9rocsparseL30bsrgemm_fill_block_per_row_2x2ILj256ELj16ELj64ELj137Ell21rocsparse_complex_numIdEEEv20rocsparse_direction_T4_S4_PKS4_S6_NS_24const_host_device_scalarIT5_EEPKT3_S6_PKS8_SC_S6_SE_S9_SC_S6_SE_SC_PS4_PS8_21rocsparse_index_base_SH_SH_SH_bbb: ; @_ZN9rocsparseL30bsrgemm_fill_block_per_row_2x2ILj256ELj16ELj64ELj137Ell21rocsparse_complex_numIdEEEv20rocsparse_direction_T4_S4_PKS4_S6_NS_24const_host_device_scalarIT5_EEPKT3_S6_PKS8_SC_S6_SE_S9_SC_S6_SE_SC_PS4_PS8_21rocsparse_index_base_SH_SH_SH_bbb
; %bb.0:
	s_add_u32 flat_scratch_lo, s6, s9
	s_addc_u32 flat_scratch_hi, s7, 0
	s_add_u32 s0, s0, s9
	s_load_dword s9, s[4:5], 0xb8
	s_load_dwordx4 s[16:19], s[4:5], 0x28
	s_load_dwordx4 s[12:15], s[4:5], 0x68
	s_addc_u32 s1, s1, 0
	v_pk_mov_b32 v[18:19], 0, 0
	s_waitcnt lgkmcnt(0)
	s_bitcmp1_b32 s9, 0
	v_mov_b32_e32 v1, s17
	s_cselect_b64 s[26:27], -1, 0
	s_bitcmp1_b32 s9, 16
	buffer_store_dword v1, off, s[0:3], 0 offset:4
	v_mov_b32_e32 v1, s16
	s_cselect_b64 s[6:7], -1, 0
	buffer_store_dword v1, off, s[0:3], 0
	v_mov_b32_e32 v1, s13
	buffer_store_dword v1, off, s[0:3], 0 offset:12
	v_mov_b32_e32 v1, s12
	s_xor_b64 s[10:11], s[6:7], -1
	buffer_store_dword v1, off, s[0:3], 0 offset:8
	v_cndmask_b32_e64 v1, 0, 1, s[10:11]
	s_bitcmp0_b32 s9, 0
	v_cmp_ne_u32_e64 s[10:11], 1, v1
	v_pk_mov_b32 v[22:23], v[18:19], v[18:19] op_sel:[0,1]
	v_pk_mov_b32 v[24:25], v[18:19], v[18:19] op_sel:[0,1]
	s_cbranch_scc1 .LBB150_3
; %bb.1:
	s_mov_b64 s[20:21], src_private_base
	s_and_b64 s[22:23], s[6:7], exec
	s_cselect_b32 s20, s21, s17
	v_mov_b32_e32 v1, 0
	v_mov_b32_e32 v2, s16
	v_cndmask_b32_e64 v2, v2, v1, s[6:7]
	v_mov_b32_e32 v3, s20
	flat_load_dwordx2 v[22:23], v[2:3]
	s_and_b64 vcc, exec, s[10:11]
	v_pk_mov_b32 v[24:25], s[18:19], s[18:19] op_sel:[0,1]
	s_cbranch_vccnz .LBB150_3
; %bb.2:
	v_pk_mov_b32 v[2:3], s[16:17], s[16:17] op_sel:[0,1]
	flat_load_dwordx2 v[24:25], v[2:3] offset:8
.LBB150_3:
	s_bitcmp1_b32 s9, 8
	s_cselect_b64 s[24:25], -1, 0
	s_bfe_u32 s9, s9, 0x10008
	s_cmp_eq_u32 s9, 0
	v_pk_mov_b32 v[20:21], v[18:19], v[18:19] op_sel:[0,1]
	s_cbranch_scc1 .LBB150_6
; %bb.4:
	s_mov_b64 s[16:17], src_private_base
	s_and_b64 s[18:19], s[6:7], exec
	s_cselect_b32 s9, s17, s13
	v_mov_b32_e32 v1, 8
	v_mov_b32_e32 v2, s12
	v_cndmask_b32_e64 v2, v2, v1, s[6:7]
	v_mov_b32_e32 v3, s9
	flat_load_dwordx2 v[20:21], v[2:3]
	s_and_b64 vcc, exec, s[10:11]
	v_pk_mov_b32 v[18:19], s[14:15], s[14:15] op_sel:[0,1]
	s_cbranch_vccnz .LBB150_6
; %bb.5:
	v_pk_mov_b32 v[2:3], s[12:13], s[12:13] op_sel:[0,1]
	flat_load_dwordx2 v[18:19], v[2:3] offset:8
.LBB150_6:
	s_load_dwordx2 s[10:11], s[4:5], 0x10
	v_cmp_gt_u32_e64 s[6:7], 64, v0
	v_lshl_add_u32 v1, v0, 3, 0
	s_and_saveexec_b64 s[12:13], s[6:7]
	s_cbranch_execz .LBB150_8
; %bb.7:
	s_waitcnt lgkmcnt(0)
	v_pk_mov_b32 v[2:3], s[10:11], s[10:11] op_sel:[0,1]
	ds_write_b64 v1, v[2:3]
.LBB150_8:
	s_or_b64 exec, exec, s[12:13]
	s_load_dwordx4 s[20:23], s[4:5], 0xa8
	s_load_dwordx2 s[12:13], s[4:5], 0x20
	s_movk_i32 s9, 0x100
	v_cmp_gt_u32_e32 vcc, s9, v0
	s_and_saveexec_b64 s[14:15], vcc
	s_cbranch_execz .LBB150_10
; %bb.9:
	s_mov_b32 s16, 0
	s_mov_b32 s17, s16
	;; [unrolled: 1-line block ×4, first 2 shown]
	v_lshl_add_u32 v6, v0, 4, 0
	v_pk_mov_b32 v[2:3], s[16:17], s[16:17] op_sel:[0,1]
	v_pk_mov_b32 v[4:5], s[18:19], s[18:19] op_sel:[0,1]
	ds_write2_b64 v6, v[2:3], v[4:5] offset0:64 offset1:65
.LBB150_10:
	s_or_b64 exec, exec, s[14:15]
	s_waitcnt lgkmcnt(0)
	s_cmp_eq_u64 s[12:13], 0
	s_mov_b32 s9, 0
	s_barrier
	s_cbranch_scc1 .LBB150_12
; %bb.11:
	s_load_dwordx2 s[14:15], s[4:5], 0x18
	s_waitcnt lgkmcnt(0)
	s_load_dwordx2 s[14:15], s[14:15], 0x0
	s_waitcnt lgkmcnt(0)
	s_lshl_b64 s[14:15], s[14:15], 3
	s_add_u32 s12, s12, s14
	s_addc_u32 s13, s13, s15
	s_lshl_b64 s[8:9], s[8:9], 3
	s_add_u32 s8, s12, s8
	s_addc_u32 s9, s13, s9
	s_load_dwordx2 s[8:9], s[8:9], 0x0
.LBB150_12:
	s_nop 0
	s_load_dword s33, s[4:5], 0x0
	s_andn2_b64 vcc, exec, s[26:27]
	s_cbranch_vccnz .LBB150_68
; %bb.13:
	s_load_dwordx2 s[12:13], s[4:5], 0x38
	s_waitcnt lgkmcnt(0)
	s_lshl_b64 s[14:15], s[8:9], 3
	v_lshrrev_b32_e32 v2, 4, v0
	v_subrev_co_u32_e32 v2, vcc, s20, v2
	s_add_u32 s12, s12, s14
	s_addc_u32 s13, s13, s15
	s_load_dwordx4 s[12:15], s[12:13], 0x0
	v_subb_co_u32_e64 v3, s[16:17], 0, 0, vcc
	s_mov_b32 s34, 0
	s_waitcnt lgkmcnt(0)
	s_sub_u32 s26, s14, s20
	v_mov_b32_e32 v4, s13
	v_add_co_u32_e32 v26, vcc, s12, v2
	s_subb_u32 s27, s15, 0
	v_addc_co_u32_e32 v27, vcc, v4, v3, vcc
	v_cmp_gt_i64_e32 vcc, s[26:27], v[26:27]
	s_and_saveexec_b64 s[28:29], vcc
	s_cbranch_execz .LBB150_67
; %bb.14:
	s_load_dwordx2 s[30:31], s[4:5], 0x60
	s_load_dwordx8 s[12:19], s[4:5], 0x40
	v_and_b32_e32 v2, 15, v0
	v_subrev_co_u32_e32 v51, vcc, s21, v2
	s_mov_b32 s50, s20
	s_cmp_eq_u32 s33, 0
	s_mov_b32 s51, s21
	v_subb_co_u32_e64 v59, s[20:21], 0, 0, vcc
	s_mov_b32 s52, s34
	s_cselect_b32 s53, 1, 2
	s_cselect_b32 s54, 2, 1
	s_mov_b64 s[20:21], 0
	s_waitcnt lgkmcnt(0)
	v_mov_b32_e32 v62, s13
	v_mov_b32_e32 v63, s34
	;; [unrolled: 1-line block ×4, first 2 shown]
	s_branch .LBB150_16
.LBB150_15:                             ;   in Loop: Header=BB150_16 Depth=1
	s_or_b64 exec, exec, s[34:35]
	v_add_co_u32_e32 v26, vcc, 16, v26
	v_addc_co_u32_e32 v27, vcc, 0, v27, vcc
	v_cmp_le_i64_e32 vcc, s[26:27], v[26:27]
	s_or_b64 s[20:21], vcc, s[20:21]
	s_andn2_b64 exec, exec, s[20:21]
	s_cbranch_execz .LBB150_67
.LBB150_16:                             ; =>This Loop Header: Depth=1
                                        ;     Child Loop BB150_19 Depth 2
                                        ;       Child Loop BB150_21 Depth 3
                                        ;       Child Loop BB150_33 Depth 3
	;; [unrolled: 1-line block ×4, first 2 shown]
	v_lshlrev_b64 v[2:3], 3, v[26:27]
	v_add_co_u32_e32 v2, vcc, s12, v2
	v_addc_co_u32_e32 v3, vcc, v62, v3, vcc
	global_load_dwordx2 v[2:3], v[2:3], off
	s_waitcnt vmcnt(0)
	v_subrev_co_u32_e32 v2, vcc, s50, v2
	v_subb_co_u32_e32 v3, vcc, v3, v63, vcc
	v_lshlrev_b64 v[2:3], 3, v[2:3]
	v_add_co_u32_e32 v2, vcc, s16, v2
	v_addc_co_u32_e32 v3, vcc, v64, v3, vcc
	global_load_dwordx4 v[2:5], v[2:3], off
	s_waitcnt vmcnt(0)
	v_subrev_co_u32_e32 v28, vcc, s51, v4
	v_subb_co_u32_e32 v29, vcc, v5, v65, vcc
	v_add_co_u32_e32 v30, vcc, v2, v51
	v_addc_co_u32_e32 v31, vcc, v3, v59, vcc
	v_cmp_lt_i64_e32 vcc, v[30:31], v[28:29]
	s_and_saveexec_b64 s[34:35], vcc
	s_cbranch_execz .LBB150_15
; %bb.17:                               ;   in Loop: Header=BB150_16 Depth=1
	v_lshlrev_b64 v[2:3], 6, v[26:27]
	v_mov_b32_e32 v16, s15
	v_add_co_u32_e32 v10, vcc, s14, v2
	v_lshlrev_b64 v[14:15], 2, v[26:27]
	v_addc_co_u32_e32 v11, vcc, v16, v3, vcc
	global_load_dwordx4 v[2:5], v[10:11], off
	global_load_dwordx4 v[6:9], v[10:11], off offset:48
	v_or_b32_e32 v11, 0, v15
	v_or_b32_e32 v10, s53, v14
	v_lshlrev_b64 v[10:11], 4, v[10:11]
	v_add_co_u32_e32 v10, vcc, s14, v10
	v_or_b32_e32 v15, 0, v15
	v_or_b32_e32 v14, s54, v14
	v_addc_co_u32_e32 v11, vcc, v16, v11, vcc
	v_lshlrev_b64 v[14:15], 4, v[14:15]
	v_add_co_u32_e32 v14, vcc, s14, v14
	v_addc_co_u32_e32 v15, vcc, v16, v15, vcc
	global_load_dwordx4 v[10:13], v[10:11], off
	s_mov_b64 s[36:37], 0
	global_load_dwordx4 v[14:17], v[14:15], off
	s_waitcnt vmcnt(3)
	v_mul_f64 v[32:33], v[4:5], -v[24:25]
	v_mul_f64 v[34:35], v[22:23], v[4:5]
	s_waitcnt vmcnt(2)
	v_mul_f64 v[36:37], v[8:9], -v[24:25]
	v_mul_f64 v[38:39], v[22:23], v[8:9]
	v_fmac_f64_e32 v[32:33], v[22:23], v[2:3]
	v_fmac_f64_e32 v[34:35], v[24:25], v[2:3]
	;; [unrolled: 1-line block ×4, first 2 shown]
	s_waitcnt vmcnt(1)
	v_mul_f64 v[40:41], v[12:13], -v[24:25]
	v_mul_f64 v[42:43], v[22:23], v[12:13]
	s_waitcnt vmcnt(0)
	v_mul_f64 v[44:45], v[16:17], -v[24:25]
	v_mul_f64 v[46:47], v[22:23], v[16:17]
	v_fmac_f64_e32 v[40:41], v[22:23], v[10:11]
	v_fmac_f64_e32 v[42:43], v[24:25], v[10:11]
	;; [unrolled: 1-line block ×4, first 2 shown]
	s_branch .LBB150_19
.LBB150_18:                             ;   in Loop: Header=BB150_19 Depth=2
	s_or_b64 exec, exec, s[38:39]
	v_add_co_u32_e32 v30, vcc, 16, v30
	v_addc_co_u32_e32 v31, vcc, 0, v31, vcc
	v_cmp_ge_i64_e32 vcc, v[30:31], v[28:29]
	s_or_b64 s[36:37], vcc, s[36:37]
	s_andn2_b64 exec, exec, s[36:37]
	s_cbranch_execz .LBB150_15
.LBB150_19:                             ;   Parent Loop BB150_16 Depth=1
                                        ; =>  This Loop Header: Depth=2
                                        ;       Child Loop BB150_21 Depth 3
                                        ;       Child Loop BB150_33 Depth 3
	;; [unrolled: 1-line block ×4, first 2 shown]
	v_lshlrev_b64 v[2:3], 3, v[30:31]
	v_mov_b32_e32 v4, s19
	v_add_co_u32_e32 v2, vcc, s18, v2
	v_addc_co_u32_e32 v3, vcc, v4, v3, vcc
	global_load_dwordx2 v[48:49], v[2:3], off
	v_lshlrev_b64 v[2:3], 2, v[30:31]
	v_or_b32_e32 v5, 0, v3
	v_or_b32_e32 v4, s53, v2
	;; [unrolled: 1-line block ×4, first 2 shown]
	v_lshlrev_b64 v[2:3], 4, v[2:3]
	v_mov_b32_e32 v8, s31
	v_add_co_u32_e32 v2, vcc, s30, v2
	v_lshlrev_b64 v[6:7], 6, v[30:31]
	v_addc_co_u32_e32 v3, vcc, v8, v3, vcc
	v_add_co_u32_e32 v52, vcc, s30, v6
	global_load_dwordx4 v[14:17], v[2:3], off
	v_addc_co_u32_e32 v53, vcc, v8, v7, vcc
	global_load_dwordx4 v[10:13], v[52:53], off
	v_lshlrev_b64 v[2:3], 4, v[4:5]
	v_add_co_u32_e32 v54, vcc, s30, v2
	v_addc_co_u32_e32 v55, vcc, v8, v3, vcc
	global_load_dwordx4 v[2:5], v[54:55], off
	global_load_dwordx4 v[6:9], v[52:53], off offset:48
	v_mov_b32_e32 v50, s52
	s_mov_b64 s[38:39], 0
	s_waitcnt vmcnt(4)
	v_subrev_co_u32_e32 v48, vcc, s51, v48
	v_subb_co_u32_e32 v49, vcc, v49, v50, vcc
	v_lshl_add_u32 v50, v48, 3, v48
	v_and_b32_e32 v50, 63, v50
	v_pk_mov_b32 v[56:57], v[50:51], v[50:51] op_sel:[0,1]
	s_waitcnt vmcnt(3)
	v_mul_f64 v[54:55], v[16:17], -v[42:43]
	v_mul_f64 v[52:53], v[40:41], v[16:17]
	v_fmac_f64_e32 v[54:55], v[40:41], v[14:15]
	v_fmac_f64_e32 v[52:53], v[42:43], v[14:15]
	s_waitcnt vmcnt(2)
	v_fmac_f64_e32 v[54:55], v[32:33], v[10:11]
	v_fmac_f64_e32 v[52:53], v[34:35], v[10:11]
	v_fma_f64 v[54:55], -v[34:35], v[12:13], v[54:55]
	v_fmac_f64_e32 v[52:53], v[32:33], v[12:13]
	s_branch .LBB150_21
.LBB150_20:                             ;   in Loop: Header=BB150_21 Depth=3
	s_or_b64 exec, exec, s[40:41]
	s_xor_b64 s[40:41], s[42:43], -1
	s_and_b64 s[40:41], exec, s[40:41]
	s_or_b64 s[38:39], s[40:41], s[38:39]
	s_andn2_b64 exec, exec, s[38:39]
	s_cbranch_execz .LBB150_31
.LBB150_21:                             ;   Parent Loop BB150_16 Depth=1
                                        ;     Parent Loop BB150_19 Depth=2
                                        ; =>    This Inner Loop Header: Depth=3
	v_lshl_add_u32 v58, v56, 3, 0
	ds_read_b64 v[60:61], v58
                                        ; implicit-def: $sgpr42_sgpr43
	s_waitcnt lgkmcnt(0)
	v_cmp_ne_u64_e32 vcc, v[60:61], v[48:49]
	s_and_saveexec_b64 s[40:41], vcc
	s_xor_b64 s[40:41], exec, s[40:41]
	s_cbranch_execz .LBB150_29
; %bb.22:                               ;   in Loop: Header=BB150_21 Depth=3
	v_cmp_ne_u64_e32 vcc, s[10:11], v[60:61]
                                        ; implicit-def: $sgpr42_sgpr43
	s_and_saveexec_b64 s[44:45], vcc
	s_xor_b64 s[44:45], exec, s[44:45]
; %bb.23:                               ;   in Loop: Header=BB150_21 Depth=3
	v_add_u32_e32 v56, 1, v56
	v_and_b32_e32 v56, 63, v56
	s_mov_b64 s[42:43], -1
                                        ; implicit-def: $vgpr58
; %bb.24:                               ;   in Loop: Header=BB150_21 Depth=3
	s_andn2_saveexec_b64 s[44:45], s[44:45]
	s_cbranch_execz .LBB150_28
; %bb.25:                               ;   in Loop: Header=BB150_21 Depth=3
	v_pk_mov_b32 v[60:61], s[10:11], s[10:11] op_sel:[0,1]
	ds_cmpst_rtn_b64 v[60:61], v58, v[60:61], v[48:49]
	s_mov_b64 s[48:49], -1
	s_waitcnt lgkmcnt(0)
	v_cmp_eq_u64_e32 vcc, s[10:11], v[60:61]
	s_and_saveexec_b64 s[46:47], vcc
	s_cbranch_execz .LBB150_27
; %bb.26:                               ;   in Loop: Header=BB150_21 Depth=3
	v_mad_u64_u32 v[60:61], s[48:49], v56, 56, v[58:59]
	ds_add_f64 v60, v[54:55] offset:512
	ds_add_f64 v60, v[52:53] offset:520
	s_xor_b64 s[48:49], exec, -1
.LBB150_27:                             ;   in Loop: Header=BB150_21 Depth=3
	s_or_b64 exec, exec, s[46:47]
	s_andn2_b64 s[42:43], s[42:43], exec
	s_and_b64 s[46:47], s[48:49], exec
	s_or_b64 s[42:43], s[42:43], s[46:47]
.LBB150_28:                             ;   in Loop: Header=BB150_21 Depth=3
	s_or_b64 exec, exec, s[44:45]
	s_and_b64 s[42:43], s[42:43], exec
                                        ; implicit-def: $vgpr58
.LBB150_29:                             ;   in Loop: Header=BB150_21 Depth=3
	s_andn2_saveexec_b64 s[40:41], s[40:41]
	s_cbranch_execz .LBB150_20
; %bb.30:                               ;   in Loop: Header=BB150_21 Depth=3
	v_mad_u64_u32 v[60:61], s[44:45], v56, 56, v[58:59]
	ds_add_f64 v60, v[54:55] offset:512
	ds_add_f64 v60, v[52:53] offset:520
	s_andn2_b64 s[42:43], s[42:43], exec
	s_branch .LBB150_20
.LBB150_31:                             ;   in Loop: Header=BB150_19 Depth=2
	s_or_b64 exec, exec, s[38:39]
	s_waitcnt vmcnt(0)
	v_mul_f64 v[54:55], v[8:9], -v[42:43]
	v_mul_f64 v[52:53], v[40:41], v[8:9]
	v_fmac_f64_e32 v[54:55], v[40:41], v[6:7]
	v_fmac_f64_e32 v[52:53], v[42:43], v[6:7]
	;; [unrolled: 1-line block ×4, first 2 shown]
	v_fma_f64 v[54:55], -v[34:35], v[4:5], v[54:55]
	v_fmac_f64_e32 v[52:53], v[32:33], v[4:5]
	s_mov_b64 s[38:39], 0
	v_pk_mov_b32 v[56:57], v[50:51], v[50:51] op_sel:[0,1]
	s_branch .LBB150_33
.LBB150_32:                             ;   in Loop: Header=BB150_33 Depth=3
	s_or_b64 exec, exec, s[40:41]
	s_xor_b64 s[40:41], s[42:43], -1
	s_and_b64 s[40:41], exec, s[40:41]
	s_or_b64 s[38:39], s[40:41], s[38:39]
	s_andn2_b64 exec, exec, s[38:39]
	s_cbranch_execz .LBB150_43
.LBB150_33:                             ;   Parent Loop BB150_16 Depth=1
                                        ;     Parent Loop BB150_19 Depth=2
                                        ; =>    This Inner Loop Header: Depth=3
	v_lshl_add_u32 v58, v56, 3, 0
	ds_read_b64 v[60:61], v58
                                        ; implicit-def: $sgpr42_sgpr43
	s_waitcnt lgkmcnt(0)
	v_cmp_ne_u64_e32 vcc, v[60:61], v[48:49]
	s_and_saveexec_b64 s[40:41], vcc
	s_xor_b64 s[40:41], exec, s[40:41]
	s_cbranch_execz .LBB150_41
; %bb.34:                               ;   in Loop: Header=BB150_33 Depth=3
	v_cmp_ne_u64_e32 vcc, s[10:11], v[60:61]
                                        ; implicit-def: $sgpr42_sgpr43
	s_and_saveexec_b64 s[44:45], vcc
	s_xor_b64 s[44:45], exec, s[44:45]
; %bb.35:                               ;   in Loop: Header=BB150_33 Depth=3
	v_add_u32_e32 v56, 1, v56
	v_and_b32_e32 v56, 63, v56
	s_mov_b64 s[42:43], -1
                                        ; implicit-def: $vgpr58
; %bb.36:                               ;   in Loop: Header=BB150_33 Depth=3
	s_andn2_saveexec_b64 s[44:45], s[44:45]
	s_cbranch_execz .LBB150_40
; %bb.37:                               ;   in Loop: Header=BB150_33 Depth=3
	v_pk_mov_b32 v[60:61], s[10:11], s[10:11] op_sel:[0,1]
	ds_cmpst_rtn_b64 v[60:61], v58, v[60:61], v[48:49]
	s_mov_b64 s[48:49], -1
	s_waitcnt lgkmcnt(0)
	v_cmp_eq_u64_e32 vcc, s[10:11], v[60:61]
	s_and_saveexec_b64 s[46:47], vcc
	s_cbranch_execz .LBB150_39
; %bb.38:                               ;   in Loop: Header=BB150_33 Depth=3
	v_mad_u64_u32 v[60:61], s[48:49], v56, 56, v[58:59]
	ds_add_f64 v60, v[54:55] offset:528
	ds_add_f64 v60, v[52:53] offset:536
	s_xor_b64 s[48:49], exec, -1
.LBB150_39:                             ;   in Loop: Header=BB150_33 Depth=3
	s_or_b64 exec, exec, s[46:47]
	s_andn2_b64 s[42:43], s[42:43], exec
	s_and_b64 s[46:47], s[48:49], exec
	s_or_b64 s[42:43], s[42:43], s[46:47]
.LBB150_40:                             ;   in Loop: Header=BB150_33 Depth=3
	s_or_b64 exec, exec, s[44:45]
	s_and_b64 s[42:43], s[42:43], exec
                                        ; implicit-def: $vgpr58
.LBB150_41:                             ;   in Loop: Header=BB150_33 Depth=3
	s_andn2_saveexec_b64 s[40:41], s[40:41]
	s_cbranch_execz .LBB150_32
; %bb.42:                               ;   in Loop: Header=BB150_33 Depth=3
	v_mad_u64_u32 v[60:61], s[44:45], v56, 56, v[58:59]
	ds_add_f64 v60, v[54:55] offset:528
	ds_add_f64 v60, v[52:53] offset:536
	s_andn2_b64 s[42:43], s[42:43], exec
	s_branch .LBB150_32
.LBB150_43:                             ;   in Loop: Header=BB150_19 Depth=2
	s_or_b64 exec, exec, s[38:39]
	v_mul_f64 v[52:53], v[16:17], -v[38:39]
	v_mul_f64 v[16:17], v[36:37], v[16:17]
	v_fmac_f64_e32 v[52:53], v[36:37], v[14:15]
	v_fmac_f64_e32 v[16:17], v[38:39], v[14:15]
	;; [unrolled: 1-line block ×4, first 2 shown]
	v_fma_f64 v[14:15], -v[46:47], v[12:13], v[52:53]
	v_fmac_f64_e32 v[16:17], v[44:45], v[12:13]
	s_mov_b64 s[38:39], 0
	v_pk_mov_b32 v[10:11], v[50:51], v[50:51] op_sel:[0,1]
	s_branch .LBB150_45
.LBB150_44:                             ;   in Loop: Header=BB150_45 Depth=3
	s_or_b64 exec, exec, s[40:41]
	s_xor_b64 s[40:41], s[42:43], -1
	s_and_b64 s[40:41], exec, s[40:41]
	s_or_b64 s[38:39], s[40:41], s[38:39]
	s_andn2_b64 exec, exec, s[38:39]
	s_cbranch_execz .LBB150_55
.LBB150_45:                             ;   Parent Loop BB150_16 Depth=1
                                        ;     Parent Loop BB150_19 Depth=2
                                        ; =>    This Inner Loop Header: Depth=3
	v_lshl_add_u32 v12, v10, 3, 0
	ds_read_b64 v[52:53], v12
                                        ; implicit-def: $sgpr42_sgpr43
	s_waitcnt lgkmcnt(0)
	v_cmp_ne_u64_e32 vcc, v[52:53], v[48:49]
	s_and_saveexec_b64 s[40:41], vcc
	s_xor_b64 s[40:41], exec, s[40:41]
	s_cbranch_execz .LBB150_53
; %bb.46:                               ;   in Loop: Header=BB150_45 Depth=3
	v_cmp_ne_u64_e32 vcc, s[10:11], v[52:53]
                                        ; implicit-def: $sgpr42_sgpr43
	s_and_saveexec_b64 s[44:45], vcc
	s_xor_b64 s[44:45], exec, s[44:45]
; %bb.47:                               ;   in Loop: Header=BB150_45 Depth=3
	v_add_u32_e32 v10, 1, v10
	v_and_b32_e32 v10, 63, v10
	s_mov_b64 s[42:43], -1
                                        ; implicit-def: $vgpr12
; %bb.48:                               ;   in Loop: Header=BB150_45 Depth=3
	s_andn2_saveexec_b64 s[44:45], s[44:45]
	s_cbranch_execz .LBB150_52
; %bb.49:                               ;   in Loop: Header=BB150_45 Depth=3
	v_pk_mov_b32 v[52:53], s[10:11], s[10:11] op_sel:[0,1]
	ds_cmpst_rtn_b64 v[52:53], v12, v[52:53], v[48:49]
	s_mov_b64 s[48:49], -1
	s_waitcnt lgkmcnt(0)
	v_cmp_eq_u64_e32 vcc, s[10:11], v[52:53]
	s_and_saveexec_b64 s[46:47], vcc
	s_cbranch_execz .LBB150_51
; %bb.50:                               ;   in Loop: Header=BB150_45 Depth=3
	v_mad_u64_u32 v[12:13], s[48:49], v10, 56, v[12:13]
	ds_add_f64 v12, v[14:15] offset:544
	ds_add_f64 v12, v[16:17] offset:552
	s_xor_b64 s[48:49], exec, -1
.LBB150_51:                             ;   in Loop: Header=BB150_45 Depth=3
	s_or_b64 exec, exec, s[46:47]
	s_andn2_b64 s[42:43], s[42:43], exec
	s_and_b64 s[46:47], s[48:49], exec
	s_or_b64 s[42:43], s[42:43], s[46:47]
.LBB150_52:                             ;   in Loop: Header=BB150_45 Depth=3
	s_or_b64 exec, exec, s[44:45]
	s_and_b64 s[42:43], s[42:43], exec
                                        ; implicit-def: $vgpr12
.LBB150_53:                             ;   in Loop: Header=BB150_45 Depth=3
	s_andn2_saveexec_b64 s[40:41], s[40:41]
	s_cbranch_execz .LBB150_44
; %bb.54:                               ;   in Loop: Header=BB150_45 Depth=3
	v_mad_u64_u32 v[12:13], s[44:45], v10, 56, v[12:13]
	ds_add_f64 v12, v[14:15] offset:544
	ds_add_f64 v12, v[16:17] offset:552
	s_andn2_b64 s[42:43], s[42:43], exec
	s_branch .LBB150_44
.LBB150_55:                             ;   in Loop: Header=BB150_19 Depth=2
	s_or_b64 exec, exec, s[38:39]
	v_mul_f64 v[10:11], v[8:9], -v[38:39]
	v_mul_f64 v[8:9], v[36:37], v[8:9]
	v_fmac_f64_e32 v[10:11], v[36:37], v[6:7]
	v_fmac_f64_e32 v[8:9], v[38:39], v[6:7]
	;; [unrolled: 1-line block ×4, first 2 shown]
	v_fma_f64 v[6:7], -v[46:47], v[4:5], v[10:11]
	v_fmac_f64_e32 v[8:9], v[44:45], v[4:5]
	s_mov_b64 s[38:39], 0
	s_branch .LBB150_57
.LBB150_56:                             ;   in Loop: Header=BB150_57 Depth=3
	s_or_b64 exec, exec, s[40:41]
	s_xor_b64 s[40:41], s[42:43], -1
	s_and_b64 s[40:41], exec, s[40:41]
	s_or_b64 s[38:39], s[40:41], s[38:39]
	s_andn2_b64 exec, exec, s[38:39]
	s_cbranch_execz .LBB150_18
.LBB150_57:                             ;   Parent Loop BB150_16 Depth=1
                                        ;     Parent Loop BB150_19 Depth=2
                                        ; =>    This Inner Loop Header: Depth=3
	v_lshl_add_u32 v2, v50, 3, 0
	ds_read_b64 v[4:5], v2
                                        ; implicit-def: $sgpr42_sgpr43
	s_waitcnt lgkmcnt(0)
	v_cmp_ne_u64_e32 vcc, v[4:5], v[48:49]
	s_and_saveexec_b64 s[40:41], vcc
	s_xor_b64 s[40:41], exec, s[40:41]
	s_cbranch_execz .LBB150_65
; %bb.58:                               ;   in Loop: Header=BB150_57 Depth=3
	v_cmp_ne_u64_e32 vcc, s[10:11], v[4:5]
                                        ; implicit-def: $sgpr42_sgpr43
	s_and_saveexec_b64 s[44:45], vcc
	s_xor_b64 s[44:45], exec, s[44:45]
; %bb.59:                               ;   in Loop: Header=BB150_57 Depth=3
	v_add_u32_e32 v2, 1, v50
	v_and_b32_e32 v50, 63, v2
	s_mov_b64 s[42:43], -1
                                        ; implicit-def: $vgpr2
; %bb.60:                               ;   in Loop: Header=BB150_57 Depth=3
	s_andn2_saveexec_b64 s[44:45], s[44:45]
	s_cbranch_execz .LBB150_64
; %bb.61:                               ;   in Loop: Header=BB150_57 Depth=3
	v_pk_mov_b32 v[4:5], s[10:11], s[10:11] op_sel:[0,1]
	ds_cmpst_rtn_b64 v[4:5], v2, v[4:5], v[48:49]
	s_mov_b64 s[48:49], -1
	s_waitcnt lgkmcnt(0)
	v_cmp_eq_u64_e32 vcc, s[10:11], v[4:5]
	s_and_saveexec_b64 s[46:47], vcc
	s_cbranch_execz .LBB150_63
; %bb.62:                               ;   in Loop: Header=BB150_57 Depth=3
	v_mad_u64_u32 v[2:3], s[48:49], v50, 56, v[2:3]
	ds_add_f64 v2, v[6:7] offset:560
	ds_add_f64 v2, v[8:9] offset:568
	s_xor_b64 s[48:49], exec, -1
.LBB150_63:                             ;   in Loop: Header=BB150_57 Depth=3
	s_or_b64 exec, exec, s[46:47]
	s_andn2_b64 s[42:43], s[42:43], exec
	s_and_b64 s[46:47], s[48:49], exec
	s_or_b64 s[42:43], s[42:43], s[46:47]
.LBB150_64:                             ;   in Loop: Header=BB150_57 Depth=3
	s_or_b64 exec, exec, s[44:45]
	s_and_b64 s[42:43], s[42:43], exec
                                        ; implicit-def: $vgpr2
.LBB150_65:                             ;   in Loop: Header=BB150_57 Depth=3
	s_andn2_saveexec_b64 s[40:41], s[40:41]
	s_cbranch_execz .LBB150_56
; %bb.66:                               ;   in Loop: Header=BB150_57 Depth=3
	v_mad_u64_u32 v[2:3], s[44:45], v50, 56, v[2:3]
	ds_add_f64 v2, v[6:7] offset:560
	ds_add_f64 v2, v[8:9] offset:568
	s_andn2_b64 s[42:43], s[42:43], exec
	s_branch .LBB150_56
.LBB150_67:
	s_or_b64 exec, exec, s[28:29]
.LBB150_68:
	s_andn2_b64 vcc, exec, s[24:25]
	s_waitcnt lgkmcnt(0)
	s_barrier
	s_cbranch_vccnz .LBB150_121
; %bb.69:
	s_load_dwordx2 s[12:13], s[4:5], 0x78
	s_lshl_b64 s[14:15], s[8:9], 3
	v_subrev_co_u32_e32 v2, vcc, s23, v0
	v_subb_co_u32_e64 v3, s[16:17], 0, 0, vcc
	s_waitcnt lgkmcnt(0)
	s_add_u32 s12, s12, s14
	s_addc_u32 s13, s13, s15
	s_load_dwordx4 s[12:15], s[12:13], 0x0
	s_mov_b32 s24, 0
	s_waitcnt lgkmcnt(0)
	s_sub_u32 s16, s14, s23
	v_mov_b32_e32 v4, s13
	v_add_co_u32_e32 v14, vcc, s12, v2
	s_subb_u32 s17, s15, 0
	v_addc_co_u32_e32 v15, vcc, v4, v3, vcc
	v_cmp_gt_i64_e32 vcc, s[16:17], v[14:15]
	s_and_saveexec_b64 s[18:19], vcc
	s_cbranch_execz .LBB150_120
; %bb.70:
	s_load_dwordx4 s[12:15], s[4:5], 0x80
	s_cmp_eq_u32 s33, 0
	s_mov_b32 s38, s23
	s_mov_b64 s[20:21], 0
	s_cselect_b32 s23, 1, 2
	s_cselect_b32 s39, 2, 1
	s_waitcnt vmcnt(0) lgkmcnt(0)
	v_mov_b32_e32 v23, s15
	v_mov_b32_e32 v31, s13
	;; [unrolled: 1-line block ×3, first 2 shown]
	s_branch .LBB150_72
.LBB150_71:                             ;   in Loop: Header=BB150_72 Depth=1
	s_or_b64 exec, exec, s[24:25]
	v_add_co_u32_e32 v14, vcc, 0x100, v14
	v_addc_co_u32_e32 v15, vcc, 0, v15, vcc
	v_cmp_le_i64_e32 vcc, s[16:17], v[14:15]
	s_or_b64 s[20:21], vcc, s[20:21]
	s_andn2_b64 exec, exec, s[20:21]
	s_cbranch_execz .LBB150_120
.LBB150_72:                             ; =>This Loop Header: Depth=1
                                        ;     Child Loop BB150_74 Depth 2
                                        ;     Child Loop BB150_86 Depth 2
	;; [unrolled: 1-line block ×4, first 2 shown]
	v_lshlrev_b64 v[2:3], 6, v[14:15]
	v_add_co_u32_e32 v8, vcc, s14, v2
	v_lshlrev_b64 v[6:7], 2, v[14:15]
	v_addc_co_u32_e32 v9, vcc, v23, v3, vcc
	global_load_dwordx4 v[36:39], v[8:9], off
	global_load_dwordx4 v[2:5], v[8:9], off offset:48
	v_or_b32_e32 v9, 0, v7
	v_or_b32_e32 v8, s23, v6
	v_lshlrev_b64 v[8:9], 4, v[8:9]
	v_add_co_u32_e32 v16, vcc, s14, v8
	v_addc_co_u32_e32 v17, vcc, v23, v9, vcc
	v_lshlrev_b64 v[8:9], 3, v[14:15]
	v_add_co_u32_e32 v8, vcc, s12, v8
	v_addc_co_u32_e32 v9, vcc, v31, v9, vcc
	global_load_dwordx2 v[28:29], v[8:9], off
	v_or_b32_e32 v7, 0, v7
	v_or_b32_e32 v6, s39, v6
	v_lshlrev_b64 v[6:7], 4, v[6:7]
	v_add_co_u32_e32 v24, vcc, s14, v6
	v_addc_co_u32_e32 v25, vcc, v23, v7, vcc
	global_load_dwordx4 v[10:13], v[16:17], off
	global_load_dwordx4 v[6:9], v[24:25], off
	s_mov_b64 s[24:25], 0
	s_waitcnt vmcnt(4)
	v_mul_f64 v[24:25], v[38:39], -v[18:19]
	v_mul_f64 v[26:27], v[20:21], v[38:39]
	v_fmac_f64_e32 v[24:25], v[20:21], v[36:37]
	v_fmac_f64_e32 v[26:27], v[18:19], v[36:37]
	s_waitcnt vmcnt(2)
	v_subrev_co_u32_e32 v16, vcc, s38, v28
	v_lshl_add_u32 v22, v16, 3, v16
	v_and_b32_e32 v22, 63, v22
	v_subb_co_u32_e32 v17, vcc, v29, v34, vcc
	v_pk_mov_b32 v[28:29], v[22:23], v[22:23] op_sel:[0,1]
	s_branch .LBB150_74
.LBB150_73:                             ;   in Loop: Header=BB150_74 Depth=2
	s_or_b64 exec, exec, s[26:27]
	s_xor_b64 s[26:27], s[28:29], -1
	s_and_b64 s[26:27], exec, s[26:27]
	s_or_b64 s[24:25], s[26:27], s[24:25]
	s_andn2_b64 exec, exec, s[24:25]
	s_cbranch_execz .LBB150_84
.LBB150_74:                             ;   Parent Loop BB150_72 Depth=1
                                        ; =>  This Inner Loop Header: Depth=2
	v_lshl_add_u32 v30, v28, 3, 0
	ds_read_b64 v[32:33], v30
                                        ; implicit-def: $sgpr28_sgpr29
	s_waitcnt lgkmcnt(0)
	v_cmp_ne_u64_e32 vcc, v[32:33], v[16:17]
	s_and_saveexec_b64 s[26:27], vcc
	s_xor_b64 s[26:27], exec, s[26:27]
	s_cbranch_execz .LBB150_82
; %bb.75:                               ;   in Loop: Header=BB150_74 Depth=2
	v_cmp_ne_u64_e32 vcc, s[10:11], v[32:33]
                                        ; implicit-def: $sgpr28_sgpr29
	s_and_saveexec_b64 s[30:31], vcc
	s_xor_b64 s[30:31], exec, s[30:31]
; %bb.76:                               ;   in Loop: Header=BB150_74 Depth=2
	v_add_u32_e32 v28, 1, v28
	v_and_b32_e32 v28, 63, v28
	s_mov_b64 s[28:29], -1
                                        ; implicit-def: $vgpr30
; %bb.77:                               ;   in Loop: Header=BB150_74 Depth=2
	s_andn2_saveexec_b64 s[30:31], s[30:31]
	s_cbranch_execz .LBB150_81
; %bb.78:                               ;   in Loop: Header=BB150_74 Depth=2
	v_pk_mov_b32 v[32:33], s[10:11], s[10:11] op_sel:[0,1]
	ds_cmpst_rtn_b64 v[32:33], v30, v[32:33], v[16:17]
	s_mov_b64 s[36:37], -1
	s_waitcnt lgkmcnt(0)
	v_cmp_eq_u64_e32 vcc, s[10:11], v[32:33]
	s_and_saveexec_b64 s[34:35], vcc
	s_cbranch_execz .LBB150_80
; %bb.79:                               ;   in Loop: Header=BB150_74 Depth=2
	v_mad_u64_u32 v[32:33], s[36:37], v28, 56, v[30:31]
	ds_add_f64 v32, v[24:25] offset:512
	ds_add_f64 v32, v[26:27] offset:520
	s_xor_b64 s[36:37], exec, -1
.LBB150_80:                             ;   in Loop: Header=BB150_74 Depth=2
	s_or_b64 exec, exec, s[34:35]
	s_andn2_b64 s[28:29], s[28:29], exec
	s_and_b64 s[34:35], s[36:37], exec
	s_or_b64 s[28:29], s[28:29], s[34:35]
.LBB150_81:                             ;   in Loop: Header=BB150_74 Depth=2
	s_or_b64 exec, exec, s[30:31]
	s_and_b64 s[28:29], s[28:29], exec
                                        ; implicit-def: $vgpr30
.LBB150_82:                             ;   in Loop: Header=BB150_74 Depth=2
	s_andn2_saveexec_b64 s[26:27], s[26:27]
	s_cbranch_execz .LBB150_73
; %bb.83:                               ;   in Loop: Header=BB150_74 Depth=2
	v_mad_u64_u32 v[32:33], s[30:31], v28, 56, v[30:31]
	ds_add_f64 v32, v[24:25] offset:512
	ds_add_f64 v32, v[26:27] offset:520
	s_andn2_b64 s[28:29], s[28:29], exec
	s_branch .LBB150_73
.LBB150_84:                             ;   in Loop: Header=BB150_72 Depth=1
	s_or_b64 exec, exec, s[24:25]
	s_waitcnt vmcnt(1)
	v_mul_f64 v[24:25], v[12:13], -v[18:19]
	v_mul_f64 v[12:13], v[20:21], v[12:13]
	v_fmac_f64_e32 v[24:25], v[20:21], v[10:11]
	v_fmac_f64_e32 v[12:13], v[18:19], v[10:11]
	s_mov_b64 s[24:25], 0
	v_pk_mov_b32 v[10:11], v[22:23], v[22:23] op_sel:[0,1]
	s_branch .LBB150_86
.LBB150_85:                             ;   in Loop: Header=BB150_86 Depth=2
	s_or_b64 exec, exec, s[26:27]
	s_xor_b64 s[26:27], s[28:29], -1
	s_and_b64 s[26:27], exec, s[26:27]
	s_or_b64 s[24:25], s[26:27], s[24:25]
	s_andn2_b64 exec, exec, s[24:25]
	s_cbranch_execz .LBB150_96
.LBB150_86:                             ;   Parent Loop BB150_72 Depth=1
                                        ; =>  This Inner Loop Header: Depth=2
	v_lshl_add_u32 v26, v10, 3, 0
	ds_read_b64 v[28:29], v26
                                        ; implicit-def: $sgpr28_sgpr29
	s_waitcnt lgkmcnt(0)
	v_cmp_ne_u64_e32 vcc, v[28:29], v[16:17]
	s_and_saveexec_b64 s[26:27], vcc
	s_xor_b64 s[26:27], exec, s[26:27]
	s_cbranch_execz .LBB150_94
; %bb.87:                               ;   in Loop: Header=BB150_86 Depth=2
	v_cmp_ne_u64_e32 vcc, s[10:11], v[28:29]
                                        ; implicit-def: $sgpr28_sgpr29
	s_and_saveexec_b64 s[30:31], vcc
	s_xor_b64 s[30:31], exec, s[30:31]
; %bb.88:                               ;   in Loop: Header=BB150_86 Depth=2
	v_add_u32_e32 v10, 1, v10
	v_and_b32_e32 v10, 63, v10
	s_mov_b64 s[28:29], -1
                                        ; implicit-def: $vgpr26
; %bb.89:                               ;   in Loop: Header=BB150_86 Depth=2
	s_andn2_saveexec_b64 s[30:31], s[30:31]
	s_cbranch_execz .LBB150_93
; %bb.90:                               ;   in Loop: Header=BB150_86 Depth=2
	v_pk_mov_b32 v[28:29], s[10:11], s[10:11] op_sel:[0,1]
	ds_cmpst_rtn_b64 v[28:29], v26, v[28:29], v[16:17]
	s_mov_b64 s[36:37], -1
	s_waitcnt lgkmcnt(0)
	v_cmp_eq_u64_e32 vcc, s[10:11], v[28:29]
	s_and_saveexec_b64 s[34:35], vcc
	s_cbranch_execz .LBB150_92
; %bb.91:                               ;   in Loop: Header=BB150_86 Depth=2
	v_mad_u64_u32 v[26:27], s[36:37], v10, 56, v[26:27]
	ds_add_f64 v26, v[24:25] offset:528
	ds_add_f64 v26, v[12:13] offset:536
	s_xor_b64 s[36:37], exec, -1
.LBB150_92:                             ;   in Loop: Header=BB150_86 Depth=2
	s_or_b64 exec, exec, s[34:35]
	s_andn2_b64 s[28:29], s[28:29], exec
	s_and_b64 s[34:35], s[36:37], exec
	s_or_b64 s[28:29], s[28:29], s[34:35]
.LBB150_93:                             ;   in Loop: Header=BB150_86 Depth=2
	s_or_b64 exec, exec, s[30:31]
	s_and_b64 s[28:29], s[28:29], exec
                                        ; implicit-def: $vgpr26
.LBB150_94:                             ;   in Loop: Header=BB150_86 Depth=2
	s_andn2_saveexec_b64 s[26:27], s[26:27]
	s_cbranch_execz .LBB150_85
; %bb.95:                               ;   in Loop: Header=BB150_86 Depth=2
	v_mad_u64_u32 v[26:27], s[30:31], v10, 56, v[26:27]
	ds_add_f64 v26, v[24:25] offset:528
	ds_add_f64 v26, v[12:13] offset:536
	s_andn2_b64 s[28:29], s[28:29], exec
	s_branch .LBB150_85
.LBB150_96:                             ;   in Loop: Header=BB150_72 Depth=1
	s_or_b64 exec, exec, s[24:25]
	s_waitcnt vmcnt(0)
	v_mul_f64 v[10:11], v[8:9], -v[18:19]
	v_mul_f64 v[8:9], v[20:21], v[8:9]
	v_fmac_f64_e32 v[10:11], v[20:21], v[6:7]
	v_fmac_f64_e32 v[8:9], v[18:19], v[6:7]
	s_mov_b64 s[24:25], 0
	v_pk_mov_b32 v[6:7], v[22:23], v[22:23] op_sel:[0,1]
	s_branch .LBB150_98
.LBB150_97:                             ;   in Loop: Header=BB150_98 Depth=2
	s_or_b64 exec, exec, s[26:27]
	s_xor_b64 s[26:27], s[28:29], -1
	s_and_b64 s[26:27], exec, s[26:27]
	s_or_b64 s[24:25], s[26:27], s[24:25]
	s_andn2_b64 exec, exec, s[24:25]
	s_cbranch_execz .LBB150_108
.LBB150_98:                             ;   Parent Loop BB150_72 Depth=1
                                        ; =>  This Inner Loop Header: Depth=2
	v_lshl_add_u32 v12, v6, 3, 0
	ds_read_b64 v[24:25], v12
                                        ; implicit-def: $sgpr28_sgpr29
	s_waitcnt lgkmcnt(0)
	v_cmp_ne_u64_e32 vcc, v[24:25], v[16:17]
	s_and_saveexec_b64 s[26:27], vcc
	s_xor_b64 s[26:27], exec, s[26:27]
	s_cbranch_execz .LBB150_106
; %bb.99:                               ;   in Loop: Header=BB150_98 Depth=2
	v_cmp_ne_u64_e32 vcc, s[10:11], v[24:25]
                                        ; implicit-def: $sgpr28_sgpr29
	s_and_saveexec_b64 s[30:31], vcc
	s_xor_b64 s[30:31], exec, s[30:31]
; %bb.100:                              ;   in Loop: Header=BB150_98 Depth=2
	v_add_u32_e32 v6, 1, v6
	v_and_b32_e32 v6, 63, v6
	s_mov_b64 s[28:29], -1
                                        ; implicit-def: $vgpr12
; %bb.101:                              ;   in Loop: Header=BB150_98 Depth=2
	s_andn2_saveexec_b64 s[30:31], s[30:31]
	s_cbranch_execz .LBB150_105
; %bb.102:                              ;   in Loop: Header=BB150_98 Depth=2
	v_pk_mov_b32 v[24:25], s[10:11], s[10:11] op_sel:[0,1]
	ds_cmpst_rtn_b64 v[24:25], v12, v[24:25], v[16:17]
	s_mov_b64 s[36:37], -1
	s_waitcnt lgkmcnt(0)
	v_cmp_eq_u64_e32 vcc, s[10:11], v[24:25]
	s_and_saveexec_b64 s[34:35], vcc
	s_cbranch_execz .LBB150_104
; %bb.103:                              ;   in Loop: Header=BB150_98 Depth=2
	v_mad_u64_u32 v[12:13], s[36:37], v6, 56, v[12:13]
	ds_add_f64 v12, v[10:11] offset:544
	ds_add_f64 v12, v[8:9] offset:552
	s_xor_b64 s[36:37], exec, -1
.LBB150_104:                            ;   in Loop: Header=BB150_98 Depth=2
	s_or_b64 exec, exec, s[34:35]
	s_andn2_b64 s[28:29], s[28:29], exec
	s_and_b64 s[34:35], s[36:37], exec
	s_or_b64 s[28:29], s[28:29], s[34:35]
.LBB150_105:                            ;   in Loop: Header=BB150_98 Depth=2
	s_or_b64 exec, exec, s[30:31]
	s_and_b64 s[28:29], s[28:29], exec
                                        ; implicit-def: $vgpr12
.LBB150_106:                            ;   in Loop: Header=BB150_98 Depth=2
	s_andn2_saveexec_b64 s[26:27], s[26:27]
	s_cbranch_execz .LBB150_97
; %bb.107:                              ;   in Loop: Header=BB150_98 Depth=2
	v_mad_u64_u32 v[12:13], s[30:31], v6, 56, v[12:13]
	ds_add_f64 v12, v[10:11] offset:544
	ds_add_f64 v12, v[8:9] offset:552
	s_andn2_b64 s[28:29], s[28:29], exec
	s_branch .LBB150_97
.LBB150_108:                            ;   in Loop: Header=BB150_72 Depth=1
	s_or_b64 exec, exec, s[24:25]
	v_mul_f64 v[6:7], v[4:5], -v[18:19]
	v_mul_f64 v[4:5], v[20:21], v[4:5]
	v_fmac_f64_e32 v[6:7], v[20:21], v[2:3]
	v_fmac_f64_e32 v[4:5], v[18:19], v[2:3]
	s_mov_b64 s[24:25], 0
	s_branch .LBB150_110
.LBB150_109:                            ;   in Loop: Header=BB150_110 Depth=2
	s_or_b64 exec, exec, s[26:27]
	s_xor_b64 s[26:27], s[28:29], -1
	s_and_b64 s[26:27], exec, s[26:27]
	s_or_b64 s[24:25], s[26:27], s[24:25]
	s_andn2_b64 exec, exec, s[24:25]
	s_cbranch_execz .LBB150_71
.LBB150_110:                            ;   Parent Loop BB150_72 Depth=1
                                        ; =>  This Inner Loop Header: Depth=2
	v_lshl_add_u32 v2, v22, 3, 0
	ds_read_b64 v[8:9], v2
                                        ; implicit-def: $sgpr28_sgpr29
	s_waitcnt lgkmcnt(0)
	v_cmp_ne_u64_e32 vcc, v[8:9], v[16:17]
	s_and_saveexec_b64 s[26:27], vcc
	s_xor_b64 s[26:27], exec, s[26:27]
	s_cbranch_execz .LBB150_118
; %bb.111:                              ;   in Loop: Header=BB150_110 Depth=2
	v_cmp_ne_u64_e32 vcc, s[10:11], v[8:9]
                                        ; implicit-def: $sgpr28_sgpr29
	s_and_saveexec_b64 s[30:31], vcc
	s_xor_b64 s[30:31], exec, s[30:31]
; %bb.112:                              ;   in Loop: Header=BB150_110 Depth=2
	v_add_u32_e32 v2, 1, v22
	v_and_b32_e32 v22, 63, v2
	s_mov_b64 s[28:29], -1
                                        ; implicit-def: $vgpr2
; %bb.113:                              ;   in Loop: Header=BB150_110 Depth=2
	s_andn2_saveexec_b64 s[30:31], s[30:31]
	s_cbranch_execz .LBB150_117
; %bb.114:                              ;   in Loop: Header=BB150_110 Depth=2
	v_pk_mov_b32 v[8:9], s[10:11], s[10:11] op_sel:[0,1]
	ds_cmpst_rtn_b64 v[8:9], v2, v[8:9], v[16:17]
	s_mov_b64 s[36:37], -1
	s_waitcnt lgkmcnt(0)
	v_cmp_eq_u64_e32 vcc, s[10:11], v[8:9]
	s_and_saveexec_b64 s[34:35], vcc
	s_cbranch_execz .LBB150_116
; %bb.115:                              ;   in Loop: Header=BB150_110 Depth=2
	v_mad_u64_u32 v[2:3], s[36:37], v22, 56, v[2:3]
	ds_add_f64 v2, v[6:7] offset:560
	ds_add_f64 v2, v[4:5] offset:568
	s_xor_b64 s[36:37], exec, -1
.LBB150_116:                            ;   in Loop: Header=BB150_110 Depth=2
	s_or_b64 exec, exec, s[34:35]
	s_andn2_b64 s[28:29], s[28:29], exec
	s_and_b64 s[34:35], s[36:37], exec
	s_or_b64 s[28:29], s[28:29], s[34:35]
.LBB150_117:                            ;   in Loop: Header=BB150_110 Depth=2
	s_or_b64 exec, exec, s[30:31]
	s_and_b64 s[28:29], s[28:29], exec
                                        ; implicit-def: $vgpr2
.LBB150_118:                            ;   in Loop: Header=BB150_110 Depth=2
	s_andn2_saveexec_b64 s[26:27], s[26:27]
	s_cbranch_execz .LBB150_109
; %bb.119:                              ;   in Loop: Header=BB150_110 Depth=2
	v_mad_u64_u32 v[2:3], s[30:31], v22, 56, v[2:3]
	ds_add_f64 v2, v[6:7] offset:560
	ds_add_f64 v2, v[4:5] offset:568
	s_andn2_b64 s[28:29], s[28:29], exec
	s_branch .LBB150_109
.LBB150_120:
	s_or_b64 exec, exec, s[18:19]
.LBB150_121:
	s_waitcnt lgkmcnt(0)
	s_barrier
	s_and_saveexec_b64 s[12:13], s[6:7]
	s_cbranch_execz .LBB150_124
; %bb.122:
	ds_read_b64 v[2:3], v1
	s_waitcnt lgkmcnt(0)
	v_cmp_gt_i64_e32 vcc, s[10:11], v[2:3]
	s_and_b64 exec, exec, vcc
	s_cbranch_execz .LBB150_124
; %bb.123:
	s_load_dwordx4 s[12:15], s[4:5], 0x90
	s_lshl_b64 s[6:7], s[8:9], 3
	v_mov_b32_e32 v1, 0
	ds_read2_b64 v[4:7], v1 offset1:1
	s_waitcnt lgkmcnt(0)
	s_add_u32 s8, s12, s6
	s_addc_u32 s9, s13, s7
	s_load_dwordx2 s[10:11], s[8:9], 0x0
	s_load_dwordx2 s[6:7], s[4:5], 0xa0
	v_cmp_gt_i64_e32 vcc, v[2:3], v[4:5]
	v_cndmask_b32_e64 v4, 0, 1, vcc
	ds_read2_b64 v[8:11], v1 offset0:2 offset1:3
	s_waitcnt lgkmcnt(0)
	s_sub_u32 s5, s10, s22
	s_subb_u32 s8, s11, 0
	v_mov_b32_e32 v5, s8
	v_add_co_u32_e32 v4, vcc, s5, v4
	v_addc_co_u32_e32 v5, vcc, 0, v5, vcc
	v_cmp_gt_i64_e32 vcc, v[2:3], v[6:7]
	v_cndmask_b32_e64 v6, 0, 1, vcc
	v_add_co_u32_e32 v4, vcc, v4, v6
	v_addc_co_u32_e32 v5, vcc, 0, v5, vcc
	v_cmp_gt_i64_e32 vcc, v[2:3], v[8:9]
	v_cndmask_b32_e64 v6, 0, 1, vcc
	v_add_co_u32_e32 v8, vcc, v4, v6
	v_addc_co_u32_e32 v9, vcc, 0, v5, vcc
	ds_read2_b64 v[4:7], v1 offset0:4 offset1:5
	v_cmp_gt_i64_e32 vcc, v[2:3], v[10:11]
	v_cndmask_b32_e64 v10, 0, 1, vcc
	v_add_co_u32_e32 v12, vcc, v8, v10
	v_addc_co_u32_e32 v13, vcc, 0, v9, vcc
	ds_read2_b64 v[8:11], v1 offset0:6 offset1:7
	s_waitcnt lgkmcnt(0)
	v_cmp_gt_i64_e32 vcc, v[2:3], v[4:5]
	v_cndmask_b32_e64 v4, 0, 1, vcc
	v_add_co_u32_e32 v4, vcc, v12, v4
	v_addc_co_u32_e32 v5, vcc, 0, v13, vcc
	v_cmp_gt_i64_e32 vcc, v[2:3], v[6:7]
	v_cndmask_b32_e64 v6, 0, 1, vcc
	v_add_co_u32_e32 v4, vcc, v4, v6
	v_addc_co_u32_e32 v5, vcc, 0, v5, vcc
	v_cmp_gt_i64_e32 vcc, v[2:3], v[8:9]
	v_cndmask_b32_e64 v6, 0, 1, vcc
	v_add_co_u32_e32 v8, vcc, v4, v6
	v_addc_co_u32_e32 v9, vcc, 0, v5, vcc
	ds_read2_b64 v[4:7], v1 offset0:8 offset1:9
	v_cmp_gt_i64_e32 vcc, v[2:3], v[10:11]
	v_cndmask_b32_e64 v10, 0, 1, vcc
	v_add_co_u32_e32 v12, vcc, v8, v10
	v_addc_co_u32_e32 v13, vcc, 0, v9, vcc
	ds_read2_b64 v[8:11], v1 offset0:10 offset1:11
	s_waitcnt lgkmcnt(0)
	v_cmp_gt_i64_e32 vcc, v[2:3], v[4:5]
	v_cndmask_b32_e64 v4, 0, 1, vcc
	;; [unrolled: 19-line block ×15, first 2 shown]
	v_add_co_u32_e32 v1, vcc, v12, v1
	v_addc_co_u32_e32 v4, vcc, 0, v13, vcc
	v_cmp_gt_i64_e32 vcc, v[2:3], v[6:7]
	v_cndmask_b32_e64 v5, 0, 1, vcc
	v_add_co_u32_e32 v1, vcc, v1, v5
	v_addc_co_u32_e32 v4, vcc, 0, v4, vcc
	v_cmp_gt_i64_e32 vcc, v[2:3], v[8:9]
	v_cndmask_b32_e64 v5, 0, 1, vcc
	;; [unrolled: 4-line block ×3, first 2 shown]
	v_add_co_u32_e32 v4, vcc, v1, v4
	v_addc_co_u32_e32 v5, vcc, 0, v5, vcc
	v_add_co_u32_e32 v2, vcc, s22, v2
	v_addc_co_u32_e32 v3, vcc, 0, v3, vcc
	v_lshlrev_b64 v[6:7], 3, v[4:5]
	s_add_i32 s4, 0, 0x200
	v_mov_b32_e32 v1, s15
	v_add_co_u32_e32 v6, vcc, s14, v6
	s_cmp_eq_u32 s33, 0
	v_addc_co_u32_e32 v7, vcc, v1, v7, vcc
	v_lshlrev_b32_e32 v1, 2, v0
	v_lshlrev_b32_e32 v0, 6, v0
	v_add_u32_e32 v12, s4, v0
	s_cselect_b32 s4, 1, 2
	s_cselect_b32 s5, 2, 1
	v_add_u32_e32 v8, 0, v0
	v_or_b32_e32 v0, s4, v1
	v_or_b32_e32 v1, s5, v1
	global_store_dwordx2 v[6:7], v[2:3], off
	v_lshlrev_b64 v[16:17], 6, v[4:5]
	v_lshl_add_u32 v0, v0, 4, 0
	v_lshl_add_u32 v4, v1, 4, 0
	ds_read2_b64 v[0:3], v0 offset0:64 offset1:65
	ds_read2_b64 v[4:7], v4 offset0:64 offset1:65
	;; [unrolled: 1-line block ×4, first 2 shown]
	s_waitcnt vmcnt(0)
	v_mov_b32_e32 v18, s7
	v_add_co_u32_e32 v16, vcc, s6, v16
	v_addc_co_u32_e32 v17, vcc, v18, v17, vcc
	s_waitcnt lgkmcnt(1)
	global_store_dwordx4 v[16:17], v[8:11], off
	global_store_dwordx4 v[16:17], v[0:3], off offset:16
	global_store_dwordx4 v[16:17], v[4:7], off offset:32
	s_waitcnt lgkmcnt(0)
	global_store_dwordx4 v[16:17], v[12:15], off offset:48
.LBB150_124:
	s_endpgm
	.section	.rodata,"a",@progbits
	.p2align	6, 0x0
	.amdhsa_kernel _ZN9rocsparseL30bsrgemm_fill_block_per_row_2x2ILj256ELj16ELj64ELj137Ell21rocsparse_complex_numIdEEEv20rocsparse_direction_T4_S4_PKS4_S6_NS_24const_host_device_scalarIT5_EEPKT3_S6_PKS8_SC_S6_SE_S9_SC_S6_SE_SC_PS4_PS8_21rocsparse_index_base_SH_SH_SH_bbb
		.amdhsa_group_segment_fixed_size 0
		.amdhsa_private_segment_fixed_size 24
		.amdhsa_kernarg_size 188
		.amdhsa_user_sgpr_count 8
		.amdhsa_user_sgpr_private_segment_buffer 1
		.amdhsa_user_sgpr_dispatch_ptr 0
		.amdhsa_user_sgpr_queue_ptr 0
		.amdhsa_user_sgpr_kernarg_segment_ptr 1
		.amdhsa_user_sgpr_dispatch_id 0
		.amdhsa_user_sgpr_flat_scratch_init 1
		.amdhsa_user_sgpr_kernarg_preload_length 0
		.amdhsa_user_sgpr_kernarg_preload_offset 0
		.amdhsa_user_sgpr_private_segment_size 0
		.amdhsa_uses_dynamic_stack 0
		.amdhsa_system_sgpr_private_segment_wavefront_offset 1
		.amdhsa_system_sgpr_workgroup_id_x 1
		.amdhsa_system_sgpr_workgroup_id_y 0
		.amdhsa_system_sgpr_workgroup_id_z 0
		.amdhsa_system_sgpr_workgroup_info 0
		.amdhsa_system_vgpr_workitem_id 0
		.amdhsa_next_free_vgpr 66
		.amdhsa_next_free_sgpr 55
		.amdhsa_accum_offset 68
		.amdhsa_reserve_vcc 1
		.amdhsa_reserve_flat_scratch 1
		.amdhsa_float_round_mode_32 0
		.amdhsa_float_round_mode_16_64 0
		.amdhsa_float_denorm_mode_32 3
		.amdhsa_float_denorm_mode_16_64 3
		.amdhsa_dx10_clamp 1
		.amdhsa_ieee_mode 1
		.amdhsa_fp16_overflow 0
		.amdhsa_tg_split 0
		.amdhsa_exception_fp_ieee_invalid_op 0
		.amdhsa_exception_fp_denorm_src 0
		.amdhsa_exception_fp_ieee_div_zero 0
		.amdhsa_exception_fp_ieee_overflow 0
		.amdhsa_exception_fp_ieee_underflow 0
		.amdhsa_exception_fp_ieee_inexact 0
		.amdhsa_exception_int_div_zero 0
	.end_amdhsa_kernel
	.section	.text._ZN9rocsparseL30bsrgemm_fill_block_per_row_2x2ILj256ELj16ELj64ELj137Ell21rocsparse_complex_numIdEEEv20rocsparse_direction_T4_S4_PKS4_S6_NS_24const_host_device_scalarIT5_EEPKT3_S6_PKS8_SC_S6_SE_S9_SC_S6_SE_SC_PS4_PS8_21rocsparse_index_base_SH_SH_SH_bbb,"axG",@progbits,_ZN9rocsparseL30bsrgemm_fill_block_per_row_2x2ILj256ELj16ELj64ELj137Ell21rocsparse_complex_numIdEEEv20rocsparse_direction_T4_S4_PKS4_S6_NS_24const_host_device_scalarIT5_EEPKT3_S6_PKS8_SC_S6_SE_S9_SC_S6_SE_SC_PS4_PS8_21rocsparse_index_base_SH_SH_SH_bbb,comdat
.Lfunc_end150:
	.size	_ZN9rocsparseL30bsrgemm_fill_block_per_row_2x2ILj256ELj16ELj64ELj137Ell21rocsparse_complex_numIdEEEv20rocsparse_direction_T4_S4_PKS4_S6_NS_24const_host_device_scalarIT5_EEPKT3_S6_PKS8_SC_S6_SE_S9_SC_S6_SE_SC_PS4_PS8_21rocsparse_index_base_SH_SH_SH_bbb, .Lfunc_end150-_ZN9rocsparseL30bsrgemm_fill_block_per_row_2x2ILj256ELj16ELj64ELj137Ell21rocsparse_complex_numIdEEEv20rocsparse_direction_T4_S4_PKS4_S6_NS_24const_host_device_scalarIT5_EEPKT3_S6_PKS8_SC_S6_SE_S9_SC_S6_SE_SC_PS4_PS8_21rocsparse_index_base_SH_SH_SH_bbb
                                        ; -- End function
	.section	.AMDGPU.csdata,"",@progbits
; Kernel info:
; codeLenInByte = 5708
; NumSgprs: 61
; NumVgprs: 66
; NumAgprs: 0
; TotalNumVgprs: 66
; ScratchSize: 24
; MemoryBound: 0
; FloatMode: 240
; IeeeMode: 1
; LDSByteSize: 0 bytes/workgroup (compile time only)
; SGPRBlocks: 7
; VGPRBlocks: 8
; NumSGPRsForWavesPerEU: 61
; NumVGPRsForWavesPerEU: 66
; AccumOffset: 68
; Occupancy: 7
; WaveLimiterHint : 1
; COMPUTE_PGM_RSRC2:SCRATCH_EN: 1
; COMPUTE_PGM_RSRC2:USER_SGPR: 8
; COMPUTE_PGM_RSRC2:TRAP_HANDLER: 0
; COMPUTE_PGM_RSRC2:TGID_X_EN: 1
; COMPUTE_PGM_RSRC2:TGID_Y_EN: 0
; COMPUTE_PGM_RSRC2:TGID_Z_EN: 0
; COMPUTE_PGM_RSRC2:TIDIG_COMP_CNT: 0
; COMPUTE_PGM_RSRC3_GFX90A:ACCUM_OFFSET: 16
; COMPUTE_PGM_RSRC3_GFX90A:TG_SPLIT: 0
	.section	.text._ZN9rocsparseL30bsrgemm_fill_block_per_row_2x2ILj256ELj16ELj128ELj137Ell21rocsparse_complex_numIdEEEv20rocsparse_direction_T4_S4_PKS4_S6_NS_24const_host_device_scalarIT5_EEPKT3_S6_PKS8_SC_S6_SE_S9_SC_S6_SE_SC_PS4_PS8_21rocsparse_index_base_SH_SH_SH_bbb,"axG",@progbits,_ZN9rocsparseL30bsrgemm_fill_block_per_row_2x2ILj256ELj16ELj128ELj137Ell21rocsparse_complex_numIdEEEv20rocsparse_direction_T4_S4_PKS4_S6_NS_24const_host_device_scalarIT5_EEPKT3_S6_PKS8_SC_S6_SE_S9_SC_S6_SE_SC_PS4_PS8_21rocsparse_index_base_SH_SH_SH_bbb,comdat
	.globl	_ZN9rocsparseL30bsrgemm_fill_block_per_row_2x2ILj256ELj16ELj128ELj137Ell21rocsparse_complex_numIdEEEv20rocsparse_direction_T4_S4_PKS4_S6_NS_24const_host_device_scalarIT5_EEPKT3_S6_PKS8_SC_S6_SE_S9_SC_S6_SE_SC_PS4_PS8_21rocsparse_index_base_SH_SH_SH_bbb ; -- Begin function _ZN9rocsparseL30bsrgemm_fill_block_per_row_2x2ILj256ELj16ELj128ELj137Ell21rocsparse_complex_numIdEEEv20rocsparse_direction_T4_S4_PKS4_S6_NS_24const_host_device_scalarIT5_EEPKT3_S6_PKS8_SC_S6_SE_S9_SC_S6_SE_SC_PS4_PS8_21rocsparse_index_base_SH_SH_SH_bbb
	.p2align	8
	.type	_ZN9rocsparseL30bsrgemm_fill_block_per_row_2x2ILj256ELj16ELj128ELj137Ell21rocsparse_complex_numIdEEEv20rocsparse_direction_T4_S4_PKS4_S6_NS_24const_host_device_scalarIT5_EEPKT3_S6_PKS8_SC_S6_SE_S9_SC_S6_SE_SC_PS4_PS8_21rocsparse_index_base_SH_SH_SH_bbb,@function
_ZN9rocsparseL30bsrgemm_fill_block_per_row_2x2ILj256ELj16ELj128ELj137Ell21rocsparse_complex_numIdEEEv20rocsparse_direction_T4_S4_PKS4_S6_NS_24const_host_device_scalarIT5_EEPKT3_S6_PKS8_SC_S6_SE_S9_SC_S6_SE_SC_PS4_PS8_21rocsparse_index_base_SH_SH_SH_bbb: ; @_ZN9rocsparseL30bsrgemm_fill_block_per_row_2x2ILj256ELj16ELj128ELj137Ell21rocsparse_complex_numIdEEEv20rocsparse_direction_T4_S4_PKS4_S6_NS_24const_host_device_scalarIT5_EEPKT3_S6_PKS8_SC_S6_SE_S9_SC_S6_SE_SC_PS4_PS8_21rocsparse_index_base_SH_SH_SH_bbb
; %bb.0:
	s_add_u32 flat_scratch_lo, s6, s9
	s_addc_u32 flat_scratch_hi, s7, 0
	s_add_u32 s0, s0, s9
	s_load_dword s9, s[4:5], 0xb8
	s_load_dwordx4 s[16:19], s[4:5], 0x28
	s_load_dwordx4 s[12:15], s[4:5], 0x68
	s_addc_u32 s1, s1, 0
	v_pk_mov_b32 v[18:19], 0, 0
	s_waitcnt lgkmcnt(0)
	s_bitcmp1_b32 s9, 0
	v_mov_b32_e32 v1, s17
	s_cselect_b64 s[48:49], -1, 0
	s_bitcmp1_b32 s9, 16
	buffer_store_dword v1, off, s[0:3], 0 offset:4
	v_mov_b32_e32 v1, s16
	s_cselect_b64 s[6:7], -1, 0
	buffer_store_dword v1, off, s[0:3], 0
	v_mov_b32_e32 v1, s13
	buffer_store_dword v1, off, s[0:3], 0 offset:12
	v_mov_b32_e32 v1, s12
	s_xor_b64 s[10:11], s[6:7], -1
	buffer_store_dword v1, off, s[0:3], 0 offset:8
	v_cndmask_b32_e64 v1, 0, 1, s[10:11]
	s_bitcmp0_b32 s9, 0
	v_cmp_ne_u32_e64 s[10:11], 1, v1
	v_pk_mov_b32 v[22:23], v[18:19], v[18:19] op_sel:[0,1]
	v_pk_mov_b32 v[24:25], v[18:19], v[18:19] op_sel:[0,1]
	s_cbranch_scc1 .LBB151_3
; %bb.1:
	s_mov_b64 s[20:21], src_private_base
	s_and_b64 s[22:23], s[6:7], exec
	s_cselect_b32 s20, s21, s17
	v_mov_b32_e32 v1, 0
	v_mov_b32_e32 v2, s16
	v_cndmask_b32_e64 v2, v2, v1, s[6:7]
	v_mov_b32_e32 v3, s20
	flat_load_dwordx2 v[22:23], v[2:3]
	s_and_b64 vcc, exec, s[10:11]
	v_pk_mov_b32 v[24:25], s[18:19], s[18:19] op_sel:[0,1]
	s_cbranch_vccnz .LBB151_3
; %bb.2:
	v_pk_mov_b32 v[2:3], s[16:17], s[16:17] op_sel:[0,1]
	flat_load_dwordx2 v[24:25], v[2:3] offset:8
.LBB151_3:
	s_bitcmp1_b32 s9, 8
	s_cselect_b64 s[34:35], -1, 0
	s_bfe_u32 s9, s9, 0x10008
	s_cmp_eq_u32 s9, 0
	v_pk_mov_b32 v[20:21], v[18:19], v[18:19] op_sel:[0,1]
	s_cbranch_scc1 .LBB151_6
; %bb.4:
	s_mov_b64 s[16:17], src_private_base
	s_and_b64 s[18:19], s[6:7], exec
	s_cselect_b32 s9, s17, s13
	v_mov_b32_e32 v1, 8
	v_mov_b32_e32 v2, s12
	v_cndmask_b32_e64 v2, v2, v1, s[6:7]
	v_mov_b32_e32 v3, s9
	flat_load_dwordx2 v[20:21], v[2:3]
	s_and_b64 vcc, exec, s[10:11]
	v_pk_mov_b32 v[18:19], s[14:15], s[14:15] op_sel:[0,1]
	s_cbranch_vccnz .LBB151_6
; %bb.5:
	v_pk_mov_b32 v[2:3], s[12:13], s[12:13] op_sel:[0,1]
	flat_load_dwordx2 v[18:19], v[2:3] offset:8
.LBB151_6:
	s_load_dwordx4 s[36:39], s[4:5], 0xa8
	s_load_dwordx2 s[10:11], s[4:5], 0x10
	s_movk_i32 s6, 0x80
	v_cmp_gt_u32_e64 s[6:7], s6, v0
	v_lshl_add_u32 v1, v0, 3, 0
	s_and_saveexec_b64 s[12:13], s[6:7]
	s_cbranch_execz .LBB151_8
; %bb.7:
	s_waitcnt lgkmcnt(0)
	v_pk_mov_b32 v[2:3], s[10:11], s[10:11] op_sel:[0,1]
	ds_write_b64 v1, v[2:3]
.LBB151_8:
	s_or_b64 exec, exec, s[12:13]
	s_load_dwordx4 s[28:31], s[4:5], 0x98
	s_load_dwordx8 s[12:19], s[4:5], 0x78
	s_load_dwordx4 s[40:43], s[4:5], 0x58
	s_load_dwordx4 s[44:47], s[4:5], 0x18
	s_load_dwordx8 s[20:27], s[4:5], 0x38
	s_movk_i32 s9, 0x200
	v_cmp_gt_u32_e32 vcc, s9, v0
	s_and_saveexec_b64 s[50:51], vcc
	s_cbranch_execz .LBB151_11
; %bb.9:
	s_mov_b32 s54, 0
	v_lshl_add_u32 v2, v0, 4, 0
	s_mov_b32 s55, s54
	s_mov_b32 s56, s54
	s_mov_b32 s57, s54
	v_add_u32_e32 v6, 0x400, v2
	v_or_b32_e32 v7, 0xffffff00, v0
	s_mov_b64 s[52:53], 0
	v_pk_mov_b32 v[2:3], s[54:55], s[54:55] op_sel:[0,1]
	v_pk_mov_b32 v[4:5], s[56:57], s[56:57] op_sel:[0,1]
.LBB151_10:                             ; =>This Inner Loop Header: Depth=1
	v_add_co_u32_e32 v7, vcc, 0x100, v7
	s_xor_b64 s[54:55], vcc, -1
	s_and_b64 s[54:55], exec, s[54:55]
	ds_write2_b64 v6, v[2:3], v[4:5] offset1:1
	s_or_b64 s[52:53], s[54:55], s[52:53]
	v_add_u32_e32 v6, 0x1000, v6
	s_andn2_b64 exec, exec, s[52:53]
	s_cbranch_execnz .LBB151_10
.LBB151_11:
	s_or_b64 exec, exec, s[50:51]
	s_waitcnt lgkmcnt(0)
	s_cmp_lg_u64 s[46:47], 0
	s_mov_b32 s9, 0
	s_barrier
	s_cbranch_scc0 .LBB151_13
; %bb.12:
	s_load_dwordx2 s[44:45], s[44:45], 0x0
	s_waitcnt lgkmcnt(0)
	s_lshl_b64 s[44:45], s[44:45], 3
	s_add_u32 s33, s46, s44
	s_addc_u32 s44, s47, s45
	s_lshl_b64 s[8:9], s[8:9], 3
	s_add_u32 s8, s33, s8
	s_addc_u32 s9, s44, s9
	s_load_dwordx2 s[8:9], s[8:9], 0x0
.LBB151_13:
	s_nop 0
	s_load_dword s33, s[4:5], 0x0
	s_andn2_b64 vcc, exec, s[48:49]
	s_cbranch_vccnz .LBB151_69
; %bb.14:
	s_waitcnt lgkmcnt(0)
	s_lshl_b64 s[4:5], s[8:9], 3
	s_add_u32 s4, s20, s4
	s_addc_u32 s5, s21, s5
	s_load_dwordx4 s[48:51], s[4:5], 0x0
	v_lshrrev_b32_e32 v2, 4, v0
	v_subrev_co_u32_e32 v2, vcc, s36, v2
	v_subb_co_u32_e64 v3, s[20:21], 0, 0, vcc
	s_waitcnt lgkmcnt(0)
	s_sub_u32 s4, s50, s36
	v_mov_b32_e32 v4, s49
	v_add_co_u32_e32 v26, vcc, s48, v2
	s_subb_u32 s5, s51, 0
	v_addc_co_u32_e32 v27, vcc, v4, v3, vcc
	s_mov_b32 s44, 0
	v_cmp_gt_i64_e32 vcc, s[4:5], v[26:27]
	s_and_saveexec_b64 s[20:21], vcc
	s_cbranch_execz .LBB151_68
; %bb.15:
	v_and_b32_e32 v2, 15, v0
	v_subrev_co_u32_e32 v51, vcc, s37, v2
	s_mov_b32 s60, s36
	s_cmp_eq_u32 s33, 0
	s_mov_b32 s61, s37
	v_subb_co_u32_e64 v59, s[36:37], 0, 0, vcc
	s_mov_b32 s62, s44
	s_cselect_b32 s63, 1, 2
	s_cselect_b32 s64, 2, 1
	s_mov_b64 s[36:37], 0
	v_mov_b32_e32 v62, s23
	v_mov_b32_e32 v63, s44
	;; [unrolled: 1-line block ×4, first 2 shown]
	s_branch .LBB151_17
.LBB151_16:                             ;   in Loop: Header=BB151_17 Depth=1
	s_or_b64 exec, exec, s[44:45]
	v_add_co_u32_e32 v26, vcc, 16, v26
	v_addc_co_u32_e32 v27, vcc, 0, v27, vcc
	v_cmp_le_i64_e32 vcc, s[4:5], v[26:27]
	s_or_b64 s[36:37], vcc, s[36:37]
	s_andn2_b64 exec, exec, s[36:37]
	s_cbranch_execz .LBB151_68
.LBB151_17:                             ; =>This Loop Header: Depth=1
                                        ;     Child Loop BB151_20 Depth 2
                                        ;       Child Loop BB151_22 Depth 3
                                        ;       Child Loop BB151_34 Depth 3
	;; [unrolled: 1-line block ×4, first 2 shown]
	v_lshlrev_b64 v[2:3], 3, v[26:27]
	v_add_co_u32_e32 v2, vcc, s22, v2
	v_addc_co_u32_e32 v3, vcc, v62, v3, vcc
	global_load_dwordx2 v[2:3], v[2:3], off
	s_waitcnt vmcnt(0)
	v_subrev_co_u32_e32 v2, vcc, s60, v2
	v_subb_co_u32_e32 v3, vcc, v3, v63, vcc
	v_lshlrev_b64 v[2:3], 3, v[2:3]
	v_add_co_u32_e32 v2, vcc, s26, v2
	v_addc_co_u32_e32 v3, vcc, v64, v3, vcc
	global_load_dwordx4 v[2:5], v[2:3], off
	s_waitcnt vmcnt(0)
	v_subrev_co_u32_e32 v28, vcc, s61, v4
	v_subb_co_u32_e32 v29, vcc, v5, v65, vcc
	v_add_co_u32_e32 v30, vcc, v2, v51
	v_addc_co_u32_e32 v31, vcc, v3, v59, vcc
	v_cmp_lt_i64_e32 vcc, v[30:31], v[28:29]
	s_and_saveexec_b64 s[44:45], vcc
	s_cbranch_execz .LBB151_16
; %bb.18:                               ;   in Loop: Header=BB151_17 Depth=1
	v_lshlrev_b64 v[2:3], 6, v[26:27]
	v_mov_b32_e32 v16, s25
	v_add_co_u32_e32 v10, vcc, s24, v2
	v_lshlrev_b64 v[14:15], 2, v[26:27]
	v_addc_co_u32_e32 v11, vcc, v16, v3, vcc
	global_load_dwordx4 v[2:5], v[10:11], off
	global_load_dwordx4 v[6:9], v[10:11], off offset:48
	v_or_b32_e32 v11, 0, v15
	v_or_b32_e32 v10, s63, v14
	v_lshlrev_b64 v[10:11], 4, v[10:11]
	v_add_co_u32_e32 v10, vcc, s24, v10
	v_or_b32_e32 v15, 0, v15
	v_or_b32_e32 v14, s64, v14
	v_addc_co_u32_e32 v11, vcc, v16, v11, vcc
	v_lshlrev_b64 v[14:15], 4, v[14:15]
	v_add_co_u32_e32 v14, vcc, s24, v14
	v_addc_co_u32_e32 v15, vcc, v16, v15, vcc
	global_load_dwordx4 v[10:13], v[10:11], off
	s_mov_b64 s[46:47], 0
	global_load_dwordx4 v[14:17], v[14:15], off
	s_waitcnt vmcnt(3)
	v_mul_f64 v[32:33], v[4:5], -v[24:25]
	v_mul_f64 v[34:35], v[22:23], v[4:5]
	s_waitcnt vmcnt(2)
	v_mul_f64 v[36:37], v[8:9], -v[24:25]
	v_mul_f64 v[38:39], v[22:23], v[8:9]
	v_fmac_f64_e32 v[32:33], v[22:23], v[2:3]
	v_fmac_f64_e32 v[34:35], v[24:25], v[2:3]
	;; [unrolled: 1-line block ×4, first 2 shown]
	s_waitcnt vmcnt(1)
	v_mul_f64 v[40:41], v[12:13], -v[24:25]
	v_mul_f64 v[42:43], v[22:23], v[12:13]
	s_waitcnt vmcnt(0)
	v_mul_f64 v[44:45], v[16:17], -v[24:25]
	v_mul_f64 v[46:47], v[22:23], v[16:17]
	v_fmac_f64_e32 v[40:41], v[22:23], v[10:11]
	v_fmac_f64_e32 v[42:43], v[24:25], v[10:11]
	v_fmac_f64_e32 v[44:45], v[22:23], v[14:15]
	v_fmac_f64_e32 v[46:47], v[24:25], v[14:15]
	s_branch .LBB151_20
.LBB151_19:                             ;   in Loop: Header=BB151_20 Depth=2
	s_or_b64 exec, exec, s[48:49]
	v_add_co_u32_e32 v30, vcc, 16, v30
	v_addc_co_u32_e32 v31, vcc, 0, v31, vcc
	v_cmp_ge_i64_e32 vcc, v[30:31], v[28:29]
	s_or_b64 s[46:47], vcc, s[46:47]
	s_andn2_b64 exec, exec, s[46:47]
	s_cbranch_execz .LBB151_16
.LBB151_20:                             ;   Parent Loop BB151_17 Depth=1
                                        ; =>  This Loop Header: Depth=2
                                        ;       Child Loop BB151_22 Depth 3
                                        ;       Child Loop BB151_34 Depth 3
	;; [unrolled: 1-line block ×4, first 2 shown]
	v_lshlrev_b64 v[2:3], 3, v[30:31]
	v_mov_b32_e32 v4, s41
	v_add_co_u32_e32 v2, vcc, s40, v2
	v_addc_co_u32_e32 v3, vcc, v4, v3, vcc
	global_load_dwordx2 v[48:49], v[2:3], off
	v_lshlrev_b64 v[2:3], 2, v[30:31]
	v_or_b32_e32 v5, 0, v3
	v_or_b32_e32 v4, s63, v2
	;; [unrolled: 1-line block ×4, first 2 shown]
	v_lshlrev_b64 v[2:3], 4, v[2:3]
	v_mov_b32_e32 v8, s43
	v_add_co_u32_e32 v2, vcc, s42, v2
	v_lshlrev_b64 v[6:7], 6, v[30:31]
	v_addc_co_u32_e32 v3, vcc, v8, v3, vcc
	v_add_co_u32_e32 v6, vcc, s42, v6
	global_load_dwordx4 v[14:17], v[2:3], off
	v_addc_co_u32_e32 v7, vcc, v8, v7, vcc
	global_load_dwordx4 v[10:13], v[6:7], off
	v_lshlrev_b64 v[2:3], 4, v[4:5]
	v_add_co_u32_e32 v2, vcc, s42, v2
	v_addc_co_u32_e32 v3, vcc, v8, v3, vcc
	global_load_dwordx4 v[2:5], v[2:3], off
	s_nop 0
	global_load_dwordx4 v[6:9], v[6:7], off offset:48
	v_mov_b32_e32 v50, s62
	s_mov_b64 s[48:49], 0
	s_waitcnt vmcnt(4)
	v_subrev_co_u32_e32 v48, vcc, s61, v48
	v_subb_co_u32_e32 v49, vcc, v49, v50, vcc
	v_lshl_add_u32 v50, v48, 3, v48
	v_and_b32_e32 v50, 0x7f, v50
	v_pk_mov_b32 v[56:57], v[50:51], v[50:51] op_sel:[0,1]
	s_waitcnt vmcnt(3)
	v_mul_f64 v[54:55], v[16:17], -v[42:43]
	v_mul_f64 v[52:53], v[40:41], v[16:17]
	v_fmac_f64_e32 v[54:55], v[40:41], v[14:15]
	v_fmac_f64_e32 v[52:53], v[42:43], v[14:15]
	s_waitcnt vmcnt(2)
	v_fmac_f64_e32 v[54:55], v[32:33], v[10:11]
	v_fmac_f64_e32 v[52:53], v[34:35], v[10:11]
	v_fma_f64 v[54:55], -v[34:35], v[12:13], v[54:55]
	v_fmac_f64_e32 v[52:53], v[32:33], v[12:13]
	s_branch .LBB151_22
.LBB151_21:                             ;   in Loop: Header=BB151_22 Depth=3
	s_or_b64 exec, exec, s[50:51]
	s_xor_b64 s[50:51], s[52:53], -1
	s_and_b64 s[50:51], exec, s[50:51]
	s_or_b64 s[48:49], s[50:51], s[48:49]
	s_andn2_b64 exec, exec, s[48:49]
	s_cbranch_execz .LBB151_32
.LBB151_22:                             ;   Parent Loop BB151_17 Depth=1
                                        ;     Parent Loop BB151_20 Depth=2
                                        ; =>    This Inner Loop Header: Depth=3
	v_lshl_add_u32 v58, v56, 3, 0
	ds_read_b64 v[60:61], v58
                                        ; implicit-def: $sgpr52_sgpr53
	s_waitcnt lgkmcnt(0)
	v_cmp_ne_u64_e32 vcc, v[60:61], v[48:49]
	s_and_saveexec_b64 s[50:51], vcc
	s_xor_b64 s[50:51], exec, s[50:51]
	s_cbranch_execz .LBB151_30
; %bb.23:                               ;   in Loop: Header=BB151_22 Depth=3
	v_cmp_ne_u64_e32 vcc, s[10:11], v[60:61]
                                        ; implicit-def: $sgpr52_sgpr53
	s_and_saveexec_b64 s[54:55], vcc
	s_xor_b64 s[54:55], exec, s[54:55]
; %bb.24:                               ;   in Loop: Header=BB151_22 Depth=3
	v_add_u32_e32 v56, 1, v56
	v_and_b32_e32 v56, 0x7f, v56
	s_mov_b64 s[52:53], -1
                                        ; implicit-def: $vgpr58
; %bb.25:                               ;   in Loop: Header=BB151_22 Depth=3
	s_andn2_saveexec_b64 s[54:55], s[54:55]
	s_cbranch_execz .LBB151_29
; %bb.26:                               ;   in Loop: Header=BB151_22 Depth=3
	v_pk_mov_b32 v[60:61], s[10:11], s[10:11] op_sel:[0,1]
	ds_cmpst_rtn_b64 v[60:61], v58, v[60:61], v[48:49]
	s_mov_b64 s[58:59], -1
	s_waitcnt lgkmcnt(0)
	v_cmp_eq_u64_e32 vcc, s[10:11], v[60:61]
	s_and_saveexec_b64 s[56:57], vcc
	s_cbranch_execz .LBB151_28
; %bb.27:                               ;   in Loop: Header=BB151_22 Depth=3
	v_mad_u64_u32 v[60:61], s[58:59], v56, 56, v[58:59]
	ds_add_f64 v60, v[54:55] offset:1024
	ds_add_f64 v60, v[52:53] offset:1032
	s_xor_b64 s[58:59], exec, -1
.LBB151_28:                             ;   in Loop: Header=BB151_22 Depth=3
	s_or_b64 exec, exec, s[56:57]
	s_andn2_b64 s[52:53], s[52:53], exec
	s_and_b64 s[56:57], s[58:59], exec
	s_or_b64 s[52:53], s[52:53], s[56:57]
.LBB151_29:                             ;   in Loop: Header=BB151_22 Depth=3
	s_or_b64 exec, exec, s[54:55]
	s_and_b64 s[52:53], s[52:53], exec
                                        ; implicit-def: $vgpr58
.LBB151_30:                             ;   in Loop: Header=BB151_22 Depth=3
	s_andn2_saveexec_b64 s[50:51], s[50:51]
	s_cbranch_execz .LBB151_21
; %bb.31:                               ;   in Loop: Header=BB151_22 Depth=3
	v_mad_u64_u32 v[60:61], s[54:55], v56, 56, v[58:59]
	ds_add_f64 v60, v[54:55] offset:1024
	ds_add_f64 v60, v[52:53] offset:1032
	s_andn2_b64 s[52:53], s[52:53], exec
	s_branch .LBB151_21
.LBB151_32:                             ;   in Loop: Header=BB151_20 Depth=2
	s_or_b64 exec, exec, s[48:49]
	s_waitcnt vmcnt(0)
	v_mul_f64 v[54:55], v[8:9], -v[42:43]
	v_mul_f64 v[52:53], v[40:41], v[8:9]
	v_fmac_f64_e32 v[54:55], v[40:41], v[6:7]
	v_fmac_f64_e32 v[52:53], v[42:43], v[6:7]
	v_fmac_f64_e32 v[54:55], v[32:33], v[2:3]
	v_fmac_f64_e32 v[52:53], v[34:35], v[2:3]
	v_fma_f64 v[54:55], -v[34:35], v[4:5], v[54:55]
	v_fmac_f64_e32 v[52:53], v[32:33], v[4:5]
	s_mov_b64 s[48:49], 0
	v_pk_mov_b32 v[56:57], v[50:51], v[50:51] op_sel:[0,1]
	s_branch .LBB151_34
.LBB151_33:                             ;   in Loop: Header=BB151_34 Depth=3
	s_or_b64 exec, exec, s[50:51]
	s_xor_b64 s[50:51], s[52:53], -1
	s_and_b64 s[50:51], exec, s[50:51]
	s_or_b64 s[48:49], s[50:51], s[48:49]
	s_andn2_b64 exec, exec, s[48:49]
	s_cbranch_execz .LBB151_44
.LBB151_34:                             ;   Parent Loop BB151_17 Depth=1
                                        ;     Parent Loop BB151_20 Depth=2
                                        ; =>    This Inner Loop Header: Depth=3
	v_lshl_add_u32 v58, v56, 3, 0
	ds_read_b64 v[60:61], v58
                                        ; implicit-def: $sgpr52_sgpr53
	s_waitcnt lgkmcnt(0)
	v_cmp_ne_u64_e32 vcc, v[60:61], v[48:49]
	s_and_saveexec_b64 s[50:51], vcc
	s_xor_b64 s[50:51], exec, s[50:51]
	s_cbranch_execz .LBB151_42
; %bb.35:                               ;   in Loop: Header=BB151_34 Depth=3
	v_cmp_ne_u64_e32 vcc, s[10:11], v[60:61]
                                        ; implicit-def: $sgpr52_sgpr53
	s_and_saveexec_b64 s[54:55], vcc
	s_xor_b64 s[54:55], exec, s[54:55]
; %bb.36:                               ;   in Loop: Header=BB151_34 Depth=3
	v_add_u32_e32 v56, 1, v56
	v_and_b32_e32 v56, 0x7f, v56
	s_mov_b64 s[52:53], -1
                                        ; implicit-def: $vgpr58
; %bb.37:                               ;   in Loop: Header=BB151_34 Depth=3
	s_andn2_saveexec_b64 s[54:55], s[54:55]
	s_cbranch_execz .LBB151_41
; %bb.38:                               ;   in Loop: Header=BB151_34 Depth=3
	v_pk_mov_b32 v[60:61], s[10:11], s[10:11] op_sel:[0,1]
	ds_cmpst_rtn_b64 v[60:61], v58, v[60:61], v[48:49]
	s_mov_b64 s[58:59], -1
	s_waitcnt lgkmcnt(0)
	v_cmp_eq_u64_e32 vcc, s[10:11], v[60:61]
	s_and_saveexec_b64 s[56:57], vcc
	s_cbranch_execz .LBB151_40
; %bb.39:                               ;   in Loop: Header=BB151_34 Depth=3
	v_mad_u64_u32 v[60:61], s[58:59], v56, 56, v[58:59]
	ds_add_f64 v60, v[54:55] offset:1040
	ds_add_f64 v60, v[52:53] offset:1048
	s_xor_b64 s[58:59], exec, -1
.LBB151_40:                             ;   in Loop: Header=BB151_34 Depth=3
	s_or_b64 exec, exec, s[56:57]
	s_andn2_b64 s[52:53], s[52:53], exec
	s_and_b64 s[56:57], s[58:59], exec
	s_or_b64 s[52:53], s[52:53], s[56:57]
.LBB151_41:                             ;   in Loop: Header=BB151_34 Depth=3
	s_or_b64 exec, exec, s[54:55]
	s_and_b64 s[52:53], s[52:53], exec
                                        ; implicit-def: $vgpr58
.LBB151_42:                             ;   in Loop: Header=BB151_34 Depth=3
	s_andn2_saveexec_b64 s[50:51], s[50:51]
	s_cbranch_execz .LBB151_33
; %bb.43:                               ;   in Loop: Header=BB151_34 Depth=3
	v_mad_u64_u32 v[60:61], s[54:55], v56, 56, v[58:59]
	ds_add_f64 v60, v[54:55] offset:1040
	ds_add_f64 v60, v[52:53] offset:1048
	s_andn2_b64 s[52:53], s[52:53], exec
	s_branch .LBB151_33
.LBB151_44:                             ;   in Loop: Header=BB151_20 Depth=2
	s_or_b64 exec, exec, s[48:49]
	v_mul_f64 v[52:53], v[16:17], -v[38:39]
	v_mul_f64 v[16:17], v[36:37], v[16:17]
	v_fmac_f64_e32 v[52:53], v[36:37], v[14:15]
	v_fmac_f64_e32 v[16:17], v[38:39], v[14:15]
	v_fmac_f64_e32 v[52:53], v[44:45], v[10:11]
	v_fmac_f64_e32 v[16:17], v[46:47], v[10:11]
	v_fma_f64 v[14:15], -v[46:47], v[12:13], v[52:53]
	v_fmac_f64_e32 v[16:17], v[44:45], v[12:13]
	s_mov_b64 s[48:49], 0
	v_pk_mov_b32 v[10:11], v[50:51], v[50:51] op_sel:[0,1]
	s_branch .LBB151_46
.LBB151_45:                             ;   in Loop: Header=BB151_46 Depth=3
	s_or_b64 exec, exec, s[50:51]
	s_xor_b64 s[50:51], s[52:53], -1
	s_and_b64 s[50:51], exec, s[50:51]
	s_or_b64 s[48:49], s[50:51], s[48:49]
	s_andn2_b64 exec, exec, s[48:49]
	s_cbranch_execz .LBB151_56
.LBB151_46:                             ;   Parent Loop BB151_17 Depth=1
                                        ;     Parent Loop BB151_20 Depth=2
                                        ; =>    This Inner Loop Header: Depth=3
	v_lshl_add_u32 v12, v10, 3, 0
	ds_read_b64 v[52:53], v12
                                        ; implicit-def: $sgpr52_sgpr53
	s_waitcnt lgkmcnt(0)
	v_cmp_ne_u64_e32 vcc, v[52:53], v[48:49]
	s_and_saveexec_b64 s[50:51], vcc
	s_xor_b64 s[50:51], exec, s[50:51]
	s_cbranch_execz .LBB151_54
; %bb.47:                               ;   in Loop: Header=BB151_46 Depth=3
	v_cmp_ne_u64_e32 vcc, s[10:11], v[52:53]
                                        ; implicit-def: $sgpr52_sgpr53
	s_and_saveexec_b64 s[54:55], vcc
	s_xor_b64 s[54:55], exec, s[54:55]
; %bb.48:                               ;   in Loop: Header=BB151_46 Depth=3
	v_add_u32_e32 v10, 1, v10
	v_and_b32_e32 v10, 0x7f, v10
	s_mov_b64 s[52:53], -1
                                        ; implicit-def: $vgpr12
; %bb.49:                               ;   in Loop: Header=BB151_46 Depth=3
	s_andn2_saveexec_b64 s[54:55], s[54:55]
	s_cbranch_execz .LBB151_53
; %bb.50:                               ;   in Loop: Header=BB151_46 Depth=3
	v_pk_mov_b32 v[52:53], s[10:11], s[10:11] op_sel:[0,1]
	ds_cmpst_rtn_b64 v[52:53], v12, v[52:53], v[48:49]
	s_mov_b64 s[58:59], -1
	s_waitcnt lgkmcnt(0)
	v_cmp_eq_u64_e32 vcc, s[10:11], v[52:53]
	s_and_saveexec_b64 s[56:57], vcc
	s_cbranch_execz .LBB151_52
; %bb.51:                               ;   in Loop: Header=BB151_46 Depth=3
	v_mad_u64_u32 v[12:13], s[58:59], v10, 56, v[12:13]
	ds_add_f64 v12, v[14:15] offset:1056
	ds_add_f64 v12, v[16:17] offset:1064
	s_xor_b64 s[58:59], exec, -1
.LBB151_52:                             ;   in Loop: Header=BB151_46 Depth=3
	s_or_b64 exec, exec, s[56:57]
	s_andn2_b64 s[52:53], s[52:53], exec
	s_and_b64 s[56:57], s[58:59], exec
	s_or_b64 s[52:53], s[52:53], s[56:57]
.LBB151_53:                             ;   in Loop: Header=BB151_46 Depth=3
	s_or_b64 exec, exec, s[54:55]
	s_and_b64 s[52:53], s[52:53], exec
                                        ; implicit-def: $vgpr12
.LBB151_54:                             ;   in Loop: Header=BB151_46 Depth=3
	s_andn2_saveexec_b64 s[50:51], s[50:51]
	s_cbranch_execz .LBB151_45
; %bb.55:                               ;   in Loop: Header=BB151_46 Depth=3
	v_mad_u64_u32 v[12:13], s[54:55], v10, 56, v[12:13]
	ds_add_f64 v12, v[14:15] offset:1056
	ds_add_f64 v12, v[16:17] offset:1064
	s_andn2_b64 s[52:53], s[52:53], exec
	s_branch .LBB151_45
.LBB151_56:                             ;   in Loop: Header=BB151_20 Depth=2
	s_or_b64 exec, exec, s[48:49]
	v_mul_f64 v[10:11], v[8:9], -v[38:39]
	v_mul_f64 v[8:9], v[36:37], v[8:9]
	v_fmac_f64_e32 v[10:11], v[36:37], v[6:7]
	v_fmac_f64_e32 v[8:9], v[38:39], v[6:7]
	;; [unrolled: 1-line block ×4, first 2 shown]
	v_fma_f64 v[6:7], -v[46:47], v[4:5], v[10:11]
	v_fmac_f64_e32 v[8:9], v[44:45], v[4:5]
	s_mov_b64 s[48:49], 0
	s_branch .LBB151_58
.LBB151_57:                             ;   in Loop: Header=BB151_58 Depth=3
	s_or_b64 exec, exec, s[50:51]
	s_xor_b64 s[50:51], s[52:53], -1
	s_and_b64 s[50:51], exec, s[50:51]
	s_or_b64 s[48:49], s[50:51], s[48:49]
	s_andn2_b64 exec, exec, s[48:49]
	s_cbranch_execz .LBB151_19
.LBB151_58:                             ;   Parent Loop BB151_17 Depth=1
                                        ;     Parent Loop BB151_20 Depth=2
                                        ; =>    This Inner Loop Header: Depth=3
	v_lshl_add_u32 v2, v50, 3, 0
	ds_read_b64 v[4:5], v2
                                        ; implicit-def: $sgpr52_sgpr53
	s_waitcnt lgkmcnt(0)
	v_cmp_ne_u64_e32 vcc, v[4:5], v[48:49]
	s_and_saveexec_b64 s[50:51], vcc
	s_xor_b64 s[50:51], exec, s[50:51]
	s_cbranch_execz .LBB151_66
; %bb.59:                               ;   in Loop: Header=BB151_58 Depth=3
	v_cmp_ne_u64_e32 vcc, s[10:11], v[4:5]
                                        ; implicit-def: $sgpr52_sgpr53
	s_and_saveexec_b64 s[54:55], vcc
	s_xor_b64 s[54:55], exec, s[54:55]
; %bb.60:                               ;   in Loop: Header=BB151_58 Depth=3
	v_add_u32_e32 v2, 1, v50
	v_and_b32_e32 v50, 0x7f, v2
	s_mov_b64 s[52:53], -1
                                        ; implicit-def: $vgpr2
; %bb.61:                               ;   in Loop: Header=BB151_58 Depth=3
	s_andn2_saveexec_b64 s[54:55], s[54:55]
	s_cbranch_execz .LBB151_65
; %bb.62:                               ;   in Loop: Header=BB151_58 Depth=3
	v_pk_mov_b32 v[4:5], s[10:11], s[10:11] op_sel:[0,1]
	ds_cmpst_rtn_b64 v[4:5], v2, v[4:5], v[48:49]
	s_mov_b64 s[58:59], -1
	s_waitcnt lgkmcnt(0)
	v_cmp_eq_u64_e32 vcc, s[10:11], v[4:5]
	s_and_saveexec_b64 s[56:57], vcc
	s_cbranch_execz .LBB151_64
; %bb.63:                               ;   in Loop: Header=BB151_58 Depth=3
	v_mad_u64_u32 v[2:3], s[58:59], v50, 56, v[2:3]
	ds_add_f64 v2, v[6:7] offset:1072
	ds_add_f64 v2, v[8:9] offset:1080
	s_xor_b64 s[58:59], exec, -1
.LBB151_64:                             ;   in Loop: Header=BB151_58 Depth=3
	s_or_b64 exec, exec, s[56:57]
	s_andn2_b64 s[52:53], s[52:53], exec
	s_and_b64 s[56:57], s[58:59], exec
	s_or_b64 s[52:53], s[52:53], s[56:57]
.LBB151_65:                             ;   in Loop: Header=BB151_58 Depth=3
	s_or_b64 exec, exec, s[54:55]
	s_and_b64 s[52:53], s[52:53], exec
                                        ; implicit-def: $vgpr2
.LBB151_66:                             ;   in Loop: Header=BB151_58 Depth=3
	s_andn2_saveexec_b64 s[50:51], s[50:51]
	s_cbranch_execz .LBB151_57
; %bb.67:                               ;   in Loop: Header=BB151_58 Depth=3
	v_mad_u64_u32 v[2:3], s[54:55], v50, 56, v[2:3]
	ds_add_f64 v2, v[6:7] offset:1072
	ds_add_f64 v2, v[8:9] offset:1080
	s_andn2_b64 s[52:53], s[52:53], exec
	s_branch .LBB151_57
.LBB151_68:
	s_or_b64 exec, exec, s[20:21]
.LBB151_69:
	s_andn2_b64 vcc, exec, s[34:35]
	s_waitcnt lgkmcnt(0)
	s_barrier
	s_cbranch_vccnz .LBB151_122
; %bb.70:
	s_lshl_b64 s[4:5], s[8:9], 3
	s_add_u32 s4, s12, s4
	s_addc_u32 s5, s13, s5
	s_load_dwordx4 s[24:27], s[4:5], 0x0
	v_subrev_co_u32_e32 v2, vcc, s39, v0
	v_subb_co_u32_e64 v3, s[12:13], 0, 0, vcc
	s_waitcnt lgkmcnt(0)
	s_sub_u32 s4, s26, s39
	v_mov_b32_e32 v4, s25
	v_add_co_u32_e32 v14, vcc, s24, v2
	s_subb_u32 s5, s27, 0
	v_addc_co_u32_e32 v15, vcc, v4, v3, vcc
	s_mov_b32 s22, 0
	v_cmp_gt_i64_e32 vcc, s[4:5], v[14:15]
	s_and_saveexec_b64 s[12:13], vcc
	s_cbranch_execz .LBB151_121
; %bb.71:
	s_cmp_eq_u32 s33, 0
	s_mov_b32 s42, s39
	s_cselect_b32 s39, 1, 2
	s_cselect_b32 s43, 2, 1
	s_mov_b64 s[20:21], 0
	s_waitcnt vmcnt(0)
	v_mov_b32_e32 v23, s17
	v_mov_b32_e32 v31, s15
	;; [unrolled: 1-line block ×3, first 2 shown]
	s_branch .LBB151_73
.LBB151_72:                             ;   in Loop: Header=BB151_73 Depth=1
	s_or_b64 exec, exec, s[22:23]
	v_add_co_u32_e32 v14, vcc, 0x100, v14
	v_addc_co_u32_e32 v15, vcc, 0, v15, vcc
	v_cmp_le_i64_e32 vcc, s[4:5], v[14:15]
	s_or_b64 s[20:21], vcc, s[20:21]
	s_andn2_b64 exec, exec, s[20:21]
	s_cbranch_execz .LBB151_121
.LBB151_73:                             ; =>This Loop Header: Depth=1
                                        ;     Child Loop BB151_75 Depth 2
                                        ;     Child Loop BB151_87 Depth 2
                                        ;     Child Loop BB151_99 Depth 2
                                        ;     Child Loop BB151_111 Depth 2
	v_lshlrev_b64 v[2:3], 6, v[14:15]
	v_add_co_u32_e32 v8, vcc, s16, v2
	v_lshlrev_b64 v[6:7], 2, v[14:15]
	v_addc_co_u32_e32 v9, vcc, v23, v3, vcc
	global_load_dwordx4 v[36:39], v[8:9], off
	global_load_dwordx4 v[2:5], v[8:9], off offset:48
	v_or_b32_e32 v9, 0, v7
	v_or_b32_e32 v8, s39, v6
	v_lshlrev_b64 v[8:9], 4, v[8:9]
	v_add_co_u32_e32 v16, vcc, s16, v8
	v_addc_co_u32_e32 v17, vcc, v23, v9, vcc
	v_lshlrev_b64 v[8:9], 3, v[14:15]
	v_add_co_u32_e32 v8, vcc, s14, v8
	v_addc_co_u32_e32 v9, vcc, v31, v9, vcc
	global_load_dwordx2 v[28:29], v[8:9], off
	v_or_b32_e32 v7, 0, v7
	v_or_b32_e32 v6, s43, v6
	v_lshlrev_b64 v[6:7], 4, v[6:7]
	v_add_co_u32_e32 v24, vcc, s16, v6
	v_addc_co_u32_e32 v25, vcc, v23, v7, vcc
	global_load_dwordx4 v[10:13], v[16:17], off
	global_load_dwordx4 v[6:9], v[24:25], off
	s_mov_b64 s[22:23], 0
	s_waitcnt vmcnt(4)
	v_mul_f64 v[24:25], v[38:39], -v[18:19]
	v_mul_f64 v[26:27], v[20:21], v[38:39]
	v_fmac_f64_e32 v[24:25], v[20:21], v[36:37]
	v_fmac_f64_e32 v[26:27], v[18:19], v[36:37]
	s_waitcnt vmcnt(2)
	v_subrev_co_u32_e32 v16, vcc, s42, v28
	v_lshl_add_u32 v22, v16, 3, v16
	v_and_b32_e32 v22, 0x7f, v22
	v_subb_co_u32_e32 v17, vcc, v29, v34, vcc
	v_pk_mov_b32 v[28:29], v[22:23], v[22:23] op_sel:[0,1]
	s_branch .LBB151_75
.LBB151_74:                             ;   in Loop: Header=BB151_75 Depth=2
	s_or_b64 exec, exec, s[24:25]
	s_xor_b64 s[24:25], s[26:27], -1
	s_and_b64 s[24:25], exec, s[24:25]
	s_or_b64 s[22:23], s[24:25], s[22:23]
	s_andn2_b64 exec, exec, s[22:23]
	s_cbranch_execz .LBB151_85
.LBB151_75:                             ;   Parent Loop BB151_73 Depth=1
                                        ; =>  This Inner Loop Header: Depth=2
	v_lshl_add_u32 v30, v28, 3, 0
	ds_read_b64 v[32:33], v30
                                        ; implicit-def: $sgpr26_sgpr27
	s_waitcnt lgkmcnt(0)
	v_cmp_ne_u64_e32 vcc, v[32:33], v[16:17]
	s_and_saveexec_b64 s[24:25], vcc
	s_xor_b64 s[24:25], exec, s[24:25]
	s_cbranch_execz .LBB151_83
; %bb.76:                               ;   in Loop: Header=BB151_75 Depth=2
	v_cmp_ne_u64_e32 vcc, s[10:11], v[32:33]
                                        ; implicit-def: $sgpr26_sgpr27
	s_and_saveexec_b64 s[34:35], vcc
	s_xor_b64 s[34:35], exec, s[34:35]
; %bb.77:                               ;   in Loop: Header=BB151_75 Depth=2
	v_add_u32_e32 v28, 1, v28
	v_and_b32_e32 v28, 0x7f, v28
	s_mov_b64 s[26:27], -1
                                        ; implicit-def: $vgpr30
; %bb.78:                               ;   in Loop: Header=BB151_75 Depth=2
	s_andn2_saveexec_b64 s[34:35], s[34:35]
	s_cbranch_execz .LBB151_82
; %bb.79:                               ;   in Loop: Header=BB151_75 Depth=2
	v_pk_mov_b32 v[32:33], s[10:11], s[10:11] op_sel:[0,1]
	ds_cmpst_rtn_b64 v[32:33], v30, v[32:33], v[16:17]
	s_mov_b64 s[40:41], -1
	s_waitcnt lgkmcnt(0)
	v_cmp_eq_u64_e32 vcc, s[10:11], v[32:33]
	s_and_saveexec_b64 s[36:37], vcc
	s_cbranch_execz .LBB151_81
; %bb.80:                               ;   in Loop: Header=BB151_75 Depth=2
	v_mad_u64_u32 v[32:33], s[40:41], v28, 56, v[30:31]
	ds_add_f64 v32, v[24:25] offset:1024
	ds_add_f64 v32, v[26:27] offset:1032
	s_xor_b64 s[40:41], exec, -1
.LBB151_81:                             ;   in Loop: Header=BB151_75 Depth=2
	s_or_b64 exec, exec, s[36:37]
	s_andn2_b64 s[26:27], s[26:27], exec
	s_and_b64 s[36:37], s[40:41], exec
	s_or_b64 s[26:27], s[26:27], s[36:37]
.LBB151_82:                             ;   in Loop: Header=BB151_75 Depth=2
	s_or_b64 exec, exec, s[34:35]
	s_and_b64 s[26:27], s[26:27], exec
                                        ; implicit-def: $vgpr30
.LBB151_83:                             ;   in Loop: Header=BB151_75 Depth=2
	s_andn2_saveexec_b64 s[24:25], s[24:25]
	s_cbranch_execz .LBB151_74
; %bb.84:                               ;   in Loop: Header=BB151_75 Depth=2
	v_mad_u64_u32 v[32:33], s[34:35], v28, 56, v[30:31]
	ds_add_f64 v32, v[24:25] offset:1024
	ds_add_f64 v32, v[26:27] offset:1032
	s_andn2_b64 s[26:27], s[26:27], exec
	s_branch .LBB151_74
.LBB151_85:                             ;   in Loop: Header=BB151_73 Depth=1
	s_or_b64 exec, exec, s[22:23]
	s_waitcnt vmcnt(1)
	v_mul_f64 v[24:25], v[12:13], -v[18:19]
	v_mul_f64 v[12:13], v[20:21], v[12:13]
	v_fmac_f64_e32 v[24:25], v[20:21], v[10:11]
	v_fmac_f64_e32 v[12:13], v[18:19], v[10:11]
	s_mov_b64 s[22:23], 0
	v_pk_mov_b32 v[10:11], v[22:23], v[22:23] op_sel:[0,1]
	s_branch .LBB151_87
.LBB151_86:                             ;   in Loop: Header=BB151_87 Depth=2
	s_or_b64 exec, exec, s[24:25]
	s_xor_b64 s[24:25], s[26:27], -1
	s_and_b64 s[24:25], exec, s[24:25]
	s_or_b64 s[22:23], s[24:25], s[22:23]
	s_andn2_b64 exec, exec, s[22:23]
	s_cbranch_execz .LBB151_97
.LBB151_87:                             ;   Parent Loop BB151_73 Depth=1
                                        ; =>  This Inner Loop Header: Depth=2
	v_lshl_add_u32 v26, v10, 3, 0
	ds_read_b64 v[28:29], v26
                                        ; implicit-def: $sgpr26_sgpr27
	s_waitcnt lgkmcnt(0)
	v_cmp_ne_u64_e32 vcc, v[28:29], v[16:17]
	s_and_saveexec_b64 s[24:25], vcc
	s_xor_b64 s[24:25], exec, s[24:25]
	s_cbranch_execz .LBB151_95
; %bb.88:                               ;   in Loop: Header=BB151_87 Depth=2
	v_cmp_ne_u64_e32 vcc, s[10:11], v[28:29]
                                        ; implicit-def: $sgpr26_sgpr27
	s_and_saveexec_b64 s[34:35], vcc
	s_xor_b64 s[34:35], exec, s[34:35]
; %bb.89:                               ;   in Loop: Header=BB151_87 Depth=2
	v_add_u32_e32 v10, 1, v10
	v_and_b32_e32 v10, 0x7f, v10
	s_mov_b64 s[26:27], -1
                                        ; implicit-def: $vgpr26
; %bb.90:                               ;   in Loop: Header=BB151_87 Depth=2
	s_andn2_saveexec_b64 s[34:35], s[34:35]
	s_cbranch_execz .LBB151_94
; %bb.91:                               ;   in Loop: Header=BB151_87 Depth=2
	v_pk_mov_b32 v[28:29], s[10:11], s[10:11] op_sel:[0,1]
	ds_cmpst_rtn_b64 v[28:29], v26, v[28:29], v[16:17]
	s_mov_b64 s[40:41], -1
	s_waitcnt lgkmcnt(0)
	v_cmp_eq_u64_e32 vcc, s[10:11], v[28:29]
	s_and_saveexec_b64 s[36:37], vcc
	s_cbranch_execz .LBB151_93
; %bb.92:                               ;   in Loop: Header=BB151_87 Depth=2
	v_mad_u64_u32 v[26:27], s[40:41], v10, 56, v[26:27]
	ds_add_f64 v26, v[24:25] offset:1040
	ds_add_f64 v26, v[12:13] offset:1048
	s_xor_b64 s[40:41], exec, -1
.LBB151_93:                             ;   in Loop: Header=BB151_87 Depth=2
	s_or_b64 exec, exec, s[36:37]
	s_andn2_b64 s[26:27], s[26:27], exec
	s_and_b64 s[36:37], s[40:41], exec
	s_or_b64 s[26:27], s[26:27], s[36:37]
.LBB151_94:                             ;   in Loop: Header=BB151_87 Depth=2
	s_or_b64 exec, exec, s[34:35]
	s_and_b64 s[26:27], s[26:27], exec
                                        ; implicit-def: $vgpr26
.LBB151_95:                             ;   in Loop: Header=BB151_87 Depth=2
	s_andn2_saveexec_b64 s[24:25], s[24:25]
	s_cbranch_execz .LBB151_86
; %bb.96:                               ;   in Loop: Header=BB151_87 Depth=2
	v_mad_u64_u32 v[26:27], s[34:35], v10, 56, v[26:27]
	ds_add_f64 v26, v[24:25] offset:1040
	ds_add_f64 v26, v[12:13] offset:1048
	s_andn2_b64 s[26:27], s[26:27], exec
	s_branch .LBB151_86
.LBB151_97:                             ;   in Loop: Header=BB151_73 Depth=1
	s_or_b64 exec, exec, s[22:23]
	s_waitcnt vmcnt(0)
	v_mul_f64 v[10:11], v[8:9], -v[18:19]
	v_mul_f64 v[8:9], v[20:21], v[8:9]
	v_fmac_f64_e32 v[10:11], v[20:21], v[6:7]
	v_fmac_f64_e32 v[8:9], v[18:19], v[6:7]
	s_mov_b64 s[22:23], 0
	v_pk_mov_b32 v[6:7], v[22:23], v[22:23] op_sel:[0,1]
	s_branch .LBB151_99
.LBB151_98:                             ;   in Loop: Header=BB151_99 Depth=2
	s_or_b64 exec, exec, s[24:25]
	s_xor_b64 s[24:25], s[26:27], -1
	s_and_b64 s[24:25], exec, s[24:25]
	s_or_b64 s[22:23], s[24:25], s[22:23]
	s_andn2_b64 exec, exec, s[22:23]
	s_cbranch_execz .LBB151_109
.LBB151_99:                             ;   Parent Loop BB151_73 Depth=1
                                        ; =>  This Inner Loop Header: Depth=2
	v_lshl_add_u32 v12, v6, 3, 0
	ds_read_b64 v[24:25], v12
                                        ; implicit-def: $sgpr26_sgpr27
	s_waitcnt lgkmcnt(0)
	v_cmp_ne_u64_e32 vcc, v[24:25], v[16:17]
	s_and_saveexec_b64 s[24:25], vcc
	s_xor_b64 s[24:25], exec, s[24:25]
	s_cbranch_execz .LBB151_107
; %bb.100:                              ;   in Loop: Header=BB151_99 Depth=2
	v_cmp_ne_u64_e32 vcc, s[10:11], v[24:25]
                                        ; implicit-def: $sgpr26_sgpr27
	s_and_saveexec_b64 s[34:35], vcc
	s_xor_b64 s[34:35], exec, s[34:35]
; %bb.101:                              ;   in Loop: Header=BB151_99 Depth=2
	v_add_u32_e32 v6, 1, v6
	v_and_b32_e32 v6, 0x7f, v6
	s_mov_b64 s[26:27], -1
                                        ; implicit-def: $vgpr12
; %bb.102:                              ;   in Loop: Header=BB151_99 Depth=2
	s_andn2_saveexec_b64 s[34:35], s[34:35]
	s_cbranch_execz .LBB151_106
; %bb.103:                              ;   in Loop: Header=BB151_99 Depth=2
	v_pk_mov_b32 v[24:25], s[10:11], s[10:11] op_sel:[0,1]
	ds_cmpst_rtn_b64 v[24:25], v12, v[24:25], v[16:17]
	s_mov_b64 s[40:41], -1
	s_waitcnt lgkmcnt(0)
	v_cmp_eq_u64_e32 vcc, s[10:11], v[24:25]
	s_and_saveexec_b64 s[36:37], vcc
	s_cbranch_execz .LBB151_105
; %bb.104:                              ;   in Loop: Header=BB151_99 Depth=2
	v_mad_u64_u32 v[12:13], s[40:41], v6, 56, v[12:13]
	ds_add_f64 v12, v[10:11] offset:1056
	ds_add_f64 v12, v[8:9] offset:1064
	s_xor_b64 s[40:41], exec, -1
.LBB151_105:                            ;   in Loop: Header=BB151_99 Depth=2
	s_or_b64 exec, exec, s[36:37]
	s_andn2_b64 s[26:27], s[26:27], exec
	s_and_b64 s[36:37], s[40:41], exec
	s_or_b64 s[26:27], s[26:27], s[36:37]
.LBB151_106:                            ;   in Loop: Header=BB151_99 Depth=2
	s_or_b64 exec, exec, s[34:35]
	s_and_b64 s[26:27], s[26:27], exec
                                        ; implicit-def: $vgpr12
.LBB151_107:                            ;   in Loop: Header=BB151_99 Depth=2
	s_andn2_saveexec_b64 s[24:25], s[24:25]
	s_cbranch_execz .LBB151_98
; %bb.108:                              ;   in Loop: Header=BB151_99 Depth=2
	v_mad_u64_u32 v[12:13], s[34:35], v6, 56, v[12:13]
	ds_add_f64 v12, v[10:11] offset:1056
	ds_add_f64 v12, v[8:9] offset:1064
	s_andn2_b64 s[26:27], s[26:27], exec
	s_branch .LBB151_98
.LBB151_109:                            ;   in Loop: Header=BB151_73 Depth=1
	s_or_b64 exec, exec, s[22:23]
	v_mul_f64 v[6:7], v[4:5], -v[18:19]
	v_mul_f64 v[4:5], v[20:21], v[4:5]
	v_fmac_f64_e32 v[6:7], v[20:21], v[2:3]
	v_fmac_f64_e32 v[4:5], v[18:19], v[2:3]
	s_mov_b64 s[22:23], 0
	s_branch .LBB151_111
.LBB151_110:                            ;   in Loop: Header=BB151_111 Depth=2
	s_or_b64 exec, exec, s[24:25]
	s_xor_b64 s[24:25], s[26:27], -1
	s_and_b64 s[24:25], exec, s[24:25]
	s_or_b64 s[22:23], s[24:25], s[22:23]
	s_andn2_b64 exec, exec, s[22:23]
	s_cbranch_execz .LBB151_72
.LBB151_111:                            ;   Parent Loop BB151_73 Depth=1
                                        ; =>  This Inner Loop Header: Depth=2
	v_lshl_add_u32 v2, v22, 3, 0
	ds_read_b64 v[8:9], v2
                                        ; implicit-def: $sgpr26_sgpr27
	s_waitcnt lgkmcnt(0)
	v_cmp_ne_u64_e32 vcc, v[8:9], v[16:17]
	s_and_saveexec_b64 s[24:25], vcc
	s_xor_b64 s[24:25], exec, s[24:25]
	s_cbranch_execz .LBB151_119
; %bb.112:                              ;   in Loop: Header=BB151_111 Depth=2
	v_cmp_ne_u64_e32 vcc, s[10:11], v[8:9]
                                        ; implicit-def: $sgpr26_sgpr27
	s_and_saveexec_b64 s[34:35], vcc
	s_xor_b64 s[34:35], exec, s[34:35]
; %bb.113:                              ;   in Loop: Header=BB151_111 Depth=2
	v_add_u32_e32 v2, 1, v22
	v_and_b32_e32 v22, 0x7f, v2
	s_mov_b64 s[26:27], -1
                                        ; implicit-def: $vgpr2
; %bb.114:                              ;   in Loop: Header=BB151_111 Depth=2
	s_andn2_saveexec_b64 s[34:35], s[34:35]
	s_cbranch_execz .LBB151_118
; %bb.115:                              ;   in Loop: Header=BB151_111 Depth=2
	v_pk_mov_b32 v[8:9], s[10:11], s[10:11] op_sel:[0,1]
	ds_cmpst_rtn_b64 v[8:9], v2, v[8:9], v[16:17]
	s_mov_b64 s[40:41], -1
	s_waitcnt lgkmcnt(0)
	v_cmp_eq_u64_e32 vcc, s[10:11], v[8:9]
	s_and_saveexec_b64 s[36:37], vcc
	s_cbranch_execz .LBB151_117
; %bb.116:                              ;   in Loop: Header=BB151_111 Depth=2
	v_mad_u64_u32 v[2:3], s[40:41], v22, 56, v[2:3]
	ds_add_f64 v2, v[6:7] offset:1072
	ds_add_f64 v2, v[4:5] offset:1080
	s_xor_b64 s[40:41], exec, -1
.LBB151_117:                            ;   in Loop: Header=BB151_111 Depth=2
	s_or_b64 exec, exec, s[36:37]
	s_andn2_b64 s[26:27], s[26:27], exec
	s_and_b64 s[36:37], s[40:41], exec
	s_or_b64 s[26:27], s[26:27], s[36:37]
.LBB151_118:                            ;   in Loop: Header=BB151_111 Depth=2
	s_or_b64 exec, exec, s[34:35]
	s_and_b64 s[26:27], s[26:27], exec
                                        ; implicit-def: $vgpr2
.LBB151_119:                            ;   in Loop: Header=BB151_111 Depth=2
	s_andn2_saveexec_b64 s[24:25], s[24:25]
	s_cbranch_execz .LBB151_110
; %bb.120:                              ;   in Loop: Header=BB151_111 Depth=2
	v_mad_u64_u32 v[2:3], s[34:35], v22, 56, v[2:3]
	ds_add_f64 v2, v[6:7] offset:1072
	ds_add_f64 v2, v[4:5] offset:1080
	s_andn2_b64 s[26:27], s[26:27], exec
	s_branch .LBB151_110
.LBB151_121:
	s_or_b64 exec, exec, s[12:13]
.LBB151_122:
	s_waitcnt lgkmcnt(0)
	s_barrier
	s_and_saveexec_b64 s[4:5], s[6:7]
	s_cbranch_execz .LBB151_127
; %bb.123:
	ds_read_b64 v[2:3], v1
	s_mov_b32 s4, 0
	s_waitcnt lgkmcnt(0)
	v_cmp_gt_i64_e32 vcc, s[10:11], v[2:3]
	s_and_b64 exec, exec, vcc
	s_cbranch_execz .LBB151_127
; %bb.124:
	s_lshl_b64 s[6:7], s[8:9], 3
	s_add_u32 s6, s18, s6
	s_addc_u32 s7, s19, s7
	s_load_dwordx2 s[6:7], s[6:7], 0x0
	s_mov_b32 s5, s4
	s_waitcnt lgkmcnt(0)
	s_sub_u32 s6, s6, s38
	s_subb_u32 s7, s7, 0
	v_pk_mov_b32 v[4:5], s[6:7], s[6:7] op_sel:[0,1]
.LBB151_125:                            ; =>This Inner Loop Header: Depth=1
	s_add_i32 s6, s5, 0
	v_mov_b32_e32 v1, s6
	ds_read2_b64 v[6:9], v1 offset1:1
	ds_read2_b64 v[10:13], v1 offset0:2 offset1:3
	ds_read2_b64 v[14:17], v1 offset0:4 offset1:5
	s_waitcnt vmcnt(0)
	ds_read2_b64 v[18:21], v1 offset0:6 offset1:7
	ds_read2_b64 v[22:25], v1 offset0:8 offset1:9
	;; [unrolled: 1-line block ×5, first 2 shown]
	s_waitcnt lgkmcnt(7)
	v_cmp_gt_i64_e32 vcc, v[2:3], v[6:7]
	v_cndmask_b32_e64 v1, 0, 1, vcc
	v_cmp_gt_i64_e32 vcc, v[2:3], v[8:9]
	v_cndmask_b32_e64 v6, 0, 1, vcc
	s_waitcnt lgkmcnt(6)
	v_cmp_gt_i64_e32 vcc, v[2:3], v[10:11]
	v_cndmask_b32_e64 v7, 0, 1, vcc
	v_cmp_gt_i64_e32 vcc, v[2:3], v[12:13]
	v_cndmask_b32_e64 v8, 0, 1, vcc
	;; [unrolled: 5-line block ×8, first 2 shown]
	v_add_co_u32_e32 v1, vcc, v4, v1
	v_addc_co_u32_e32 v4, vcc, 0, v5, vcc
	v_add_co_u32_e32 v1, vcc, v1, v6
	v_addc_co_u32_e32 v4, vcc, 0, v4, vcc
	;; [unrolled: 2-line block ×15, first 2 shown]
	s_addk_i32 s5, 0x80
	v_add_co_u32_e32 v4, vcc, v1, v20
	s_cmpk_lg_i32 s5, 0x400
	v_addc_co_u32_e32 v5, vcc, 0, v5, vcc
	s_cbranch_scc1 .LBB151_125
; %bb.126:
	v_mov_b32_e32 v1, s4
	v_add_co_u32_e32 v2, vcc, s38, v2
	v_addc_co_u32_e32 v3, vcc, v3, v1, vcc
	v_lshlrev_b64 v[6:7], 3, v[4:5]
	s_add_i32 s5, 0, 0x400
	v_mov_b32_e32 v1, s29
	v_add_co_u32_e32 v6, vcc, s28, v6
	s_cmp_eq_u32 s33, 0
	v_addc_co_u32_e32 v7, vcc, v1, v7, vcc
	v_lshlrev_b32_e32 v1, 2, v0
	v_lshlrev_b32_e32 v0, 6, v0
	v_add_u32_e32 v12, s5, v0
	s_cselect_b32 s4, 1, 2
	s_cselect_b32 s5, 2, 1
	v_add_u32_e32 v8, 0, v0
	v_or_b32_e32 v0, s4, v1
	v_or_b32_e32 v1, s5, v1
	global_store_dwordx2 v[6:7], v[2:3], off
	v_lshlrev_b64 v[16:17], 6, v[4:5]
	v_lshl_add_u32 v0, v0, 4, 0
	v_lshl_add_u32 v4, v1, 4, 0
	ds_read2_b64 v[0:3], v0 offset0:128 offset1:129
	ds_read2_b64 v[4:7], v4 offset0:128 offset1:129
	;; [unrolled: 1-line block ×4, first 2 shown]
	v_mov_b32_e32 v18, s31
	v_add_co_u32_e32 v16, vcc, s30, v16
	v_addc_co_u32_e32 v17, vcc, v18, v17, vcc
	s_waitcnt lgkmcnt(1)
	global_store_dwordx4 v[16:17], v[8:11], off
	global_store_dwordx4 v[16:17], v[0:3], off offset:16
	global_store_dwordx4 v[16:17], v[4:7], off offset:32
	s_waitcnt lgkmcnt(0)
	global_store_dwordx4 v[16:17], v[12:15], off offset:48
.LBB151_127:
	s_endpgm
	.section	.rodata,"a",@progbits
	.p2align	6, 0x0
	.amdhsa_kernel _ZN9rocsparseL30bsrgemm_fill_block_per_row_2x2ILj256ELj16ELj128ELj137Ell21rocsparse_complex_numIdEEEv20rocsparse_direction_T4_S4_PKS4_S6_NS_24const_host_device_scalarIT5_EEPKT3_S6_PKS8_SC_S6_SE_S9_SC_S6_SE_SC_PS4_PS8_21rocsparse_index_base_SH_SH_SH_bbb
		.amdhsa_group_segment_fixed_size 0
		.amdhsa_private_segment_fixed_size 24
		.amdhsa_kernarg_size 188
		.amdhsa_user_sgpr_count 8
		.amdhsa_user_sgpr_private_segment_buffer 1
		.amdhsa_user_sgpr_dispatch_ptr 0
		.amdhsa_user_sgpr_queue_ptr 0
		.amdhsa_user_sgpr_kernarg_segment_ptr 1
		.amdhsa_user_sgpr_dispatch_id 0
		.amdhsa_user_sgpr_flat_scratch_init 1
		.amdhsa_user_sgpr_kernarg_preload_length 0
		.amdhsa_user_sgpr_kernarg_preload_offset 0
		.amdhsa_user_sgpr_private_segment_size 0
		.amdhsa_uses_dynamic_stack 0
		.amdhsa_system_sgpr_private_segment_wavefront_offset 1
		.amdhsa_system_sgpr_workgroup_id_x 1
		.amdhsa_system_sgpr_workgroup_id_y 0
		.amdhsa_system_sgpr_workgroup_id_z 0
		.amdhsa_system_sgpr_workgroup_info 0
		.amdhsa_system_vgpr_workitem_id 0
		.amdhsa_next_free_vgpr 66
		.amdhsa_next_free_sgpr 65
		.amdhsa_accum_offset 68
		.amdhsa_reserve_vcc 1
		.amdhsa_reserve_flat_scratch 1
		.amdhsa_float_round_mode_32 0
		.amdhsa_float_round_mode_16_64 0
		.amdhsa_float_denorm_mode_32 3
		.amdhsa_float_denorm_mode_16_64 3
		.amdhsa_dx10_clamp 1
		.amdhsa_ieee_mode 1
		.amdhsa_fp16_overflow 0
		.amdhsa_tg_split 0
		.amdhsa_exception_fp_ieee_invalid_op 0
		.amdhsa_exception_fp_denorm_src 0
		.amdhsa_exception_fp_ieee_div_zero 0
		.amdhsa_exception_fp_ieee_overflow 0
		.amdhsa_exception_fp_ieee_underflow 0
		.amdhsa_exception_fp_ieee_inexact 0
		.amdhsa_exception_int_div_zero 0
	.end_amdhsa_kernel
	.section	.text._ZN9rocsparseL30bsrgemm_fill_block_per_row_2x2ILj256ELj16ELj128ELj137Ell21rocsparse_complex_numIdEEEv20rocsparse_direction_T4_S4_PKS4_S6_NS_24const_host_device_scalarIT5_EEPKT3_S6_PKS8_SC_S6_SE_S9_SC_S6_SE_SC_PS4_PS8_21rocsparse_index_base_SH_SH_SH_bbb,"axG",@progbits,_ZN9rocsparseL30bsrgemm_fill_block_per_row_2x2ILj256ELj16ELj128ELj137Ell21rocsparse_complex_numIdEEEv20rocsparse_direction_T4_S4_PKS4_S6_NS_24const_host_device_scalarIT5_EEPKT3_S6_PKS8_SC_S6_SE_S9_SC_S6_SE_SC_PS4_PS8_21rocsparse_index_base_SH_SH_SH_bbb,comdat
.Lfunc_end151:
	.size	_ZN9rocsparseL30bsrgemm_fill_block_per_row_2x2ILj256ELj16ELj128ELj137Ell21rocsparse_complex_numIdEEEv20rocsparse_direction_T4_S4_PKS4_S6_NS_24const_host_device_scalarIT5_EEPKT3_S6_PKS8_SC_S6_SE_S9_SC_S6_SE_SC_PS4_PS8_21rocsparse_index_base_SH_SH_SH_bbb, .Lfunc_end151-_ZN9rocsparseL30bsrgemm_fill_block_per_row_2x2ILj256ELj16ELj128ELj137Ell21rocsparse_complex_numIdEEEv20rocsparse_direction_T4_S4_PKS4_S6_NS_24const_host_device_scalarIT5_EEPKT3_S6_PKS8_SC_S6_SE_S9_SC_S6_SE_SC_PS4_PS8_21rocsparse_index_base_SH_SH_SH_bbb
                                        ; -- End function
	.section	.AMDGPU.csdata,"",@progbits
; Kernel info:
; codeLenInByte = 4616
; NumSgprs: 71
; NumVgprs: 66
; NumAgprs: 0
; TotalNumVgprs: 66
; ScratchSize: 24
; MemoryBound: 0
; FloatMode: 240
; IeeeMode: 1
; LDSByteSize: 0 bytes/workgroup (compile time only)
; SGPRBlocks: 8
; VGPRBlocks: 8
; NumSGPRsForWavesPerEU: 71
; NumVGPRsForWavesPerEU: 66
; AccumOffset: 68
; Occupancy: 7
; WaveLimiterHint : 1
; COMPUTE_PGM_RSRC2:SCRATCH_EN: 1
; COMPUTE_PGM_RSRC2:USER_SGPR: 8
; COMPUTE_PGM_RSRC2:TRAP_HANDLER: 0
; COMPUTE_PGM_RSRC2:TGID_X_EN: 1
; COMPUTE_PGM_RSRC2:TGID_Y_EN: 0
; COMPUTE_PGM_RSRC2:TGID_Z_EN: 0
; COMPUTE_PGM_RSRC2:TIDIG_COMP_CNT: 0
; COMPUTE_PGM_RSRC3_GFX90A:ACCUM_OFFSET: 16
; COMPUTE_PGM_RSRC3_GFX90A:TG_SPLIT: 0
	.section	.text._ZN9rocsparseL30bsrgemm_fill_block_per_row_2x2ILj256ELj16ELj256ELj137Ell21rocsparse_complex_numIdEEEv20rocsparse_direction_T4_S4_PKS4_S6_NS_24const_host_device_scalarIT5_EEPKT3_S6_PKS8_SC_S6_SE_S9_SC_S6_SE_SC_PS4_PS8_21rocsparse_index_base_SH_SH_SH_bbb,"axG",@progbits,_ZN9rocsparseL30bsrgemm_fill_block_per_row_2x2ILj256ELj16ELj256ELj137Ell21rocsparse_complex_numIdEEEv20rocsparse_direction_T4_S4_PKS4_S6_NS_24const_host_device_scalarIT5_EEPKT3_S6_PKS8_SC_S6_SE_S9_SC_S6_SE_SC_PS4_PS8_21rocsparse_index_base_SH_SH_SH_bbb,comdat
	.globl	_ZN9rocsparseL30bsrgemm_fill_block_per_row_2x2ILj256ELj16ELj256ELj137Ell21rocsparse_complex_numIdEEEv20rocsparse_direction_T4_S4_PKS4_S6_NS_24const_host_device_scalarIT5_EEPKT3_S6_PKS8_SC_S6_SE_S9_SC_S6_SE_SC_PS4_PS8_21rocsparse_index_base_SH_SH_SH_bbb ; -- Begin function _ZN9rocsparseL30bsrgemm_fill_block_per_row_2x2ILj256ELj16ELj256ELj137Ell21rocsparse_complex_numIdEEEv20rocsparse_direction_T4_S4_PKS4_S6_NS_24const_host_device_scalarIT5_EEPKT3_S6_PKS8_SC_S6_SE_S9_SC_S6_SE_SC_PS4_PS8_21rocsparse_index_base_SH_SH_SH_bbb
	.p2align	8
	.type	_ZN9rocsparseL30bsrgemm_fill_block_per_row_2x2ILj256ELj16ELj256ELj137Ell21rocsparse_complex_numIdEEEv20rocsparse_direction_T4_S4_PKS4_S6_NS_24const_host_device_scalarIT5_EEPKT3_S6_PKS8_SC_S6_SE_S9_SC_S6_SE_SC_PS4_PS8_21rocsparse_index_base_SH_SH_SH_bbb,@function
_ZN9rocsparseL30bsrgemm_fill_block_per_row_2x2ILj256ELj16ELj256ELj137Ell21rocsparse_complex_numIdEEEv20rocsparse_direction_T4_S4_PKS4_S6_NS_24const_host_device_scalarIT5_EEPKT3_S6_PKS8_SC_S6_SE_S9_SC_S6_SE_SC_PS4_PS8_21rocsparse_index_base_SH_SH_SH_bbb: ; @_ZN9rocsparseL30bsrgemm_fill_block_per_row_2x2ILj256ELj16ELj256ELj137Ell21rocsparse_complex_numIdEEEv20rocsparse_direction_T4_S4_PKS4_S6_NS_24const_host_device_scalarIT5_EEPKT3_S6_PKS8_SC_S6_SE_S9_SC_S6_SE_SC_PS4_PS8_21rocsparse_index_base_SH_SH_SH_bbb
; %bb.0:
	s_add_u32 flat_scratch_lo, s6, s9
	s_addc_u32 flat_scratch_hi, s7, 0
	s_add_u32 s0, s0, s9
	s_load_dword s9, s[4:5], 0xb8
	s_load_dwordx4 s[16:19], s[4:5], 0x28
	s_load_dwordx4 s[12:15], s[4:5], 0x68
	s_addc_u32 s1, s1, 0
	v_pk_mov_b32 v[18:19], 0, 0
	s_waitcnt lgkmcnt(0)
	s_bitcmp1_b32 s9, 0
	v_mov_b32_e32 v1, s17
	s_cselect_b64 s[48:49], -1, 0
	s_bitcmp1_b32 s9, 16
	buffer_store_dword v1, off, s[0:3], 0 offset:4
	v_mov_b32_e32 v1, s16
	s_cselect_b64 s[6:7], -1, 0
	buffer_store_dword v1, off, s[0:3], 0
	v_mov_b32_e32 v1, s13
	buffer_store_dword v1, off, s[0:3], 0 offset:12
	v_mov_b32_e32 v1, s12
	s_xor_b64 s[10:11], s[6:7], -1
	buffer_store_dword v1, off, s[0:3], 0 offset:8
	v_cndmask_b32_e64 v1, 0, 1, s[10:11]
	s_bitcmp0_b32 s9, 0
	v_cmp_ne_u32_e64 s[10:11], 1, v1
	v_pk_mov_b32 v[22:23], v[18:19], v[18:19] op_sel:[0,1]
	v_pk_mov_b32 v[24:25], v[18:19], v[18:19] op_sel:[0,1]
	s_cbranch_scc1 .LBB152_3
; %bb.1:
	s_mov_b64 s[20:21], src_private_base
	s_and_b64 s[22:23], s[6:7], exec
	s_cselect_b32 s20, s21, s17
	v_mov_b32_e32 v1, 0
	v_mov_b32_e32 v2, s16
	v_cndmask_b32_e64 v2, v2, v1, s[6:7]
	v_mov_b32_e32 v3, s20
	flat_load_dwordx2 v[22:23], v[2:3]
	s_and_b64 vcc, exec, s[10:11]
	v_pk_mov_b32 v[24:25], s[18:19], s[18:19] op_sel:[0,1]
	s_cbranch_vccnz .LBB152_3
; %bb.2:
	v_pk_mov_b32 v[2:3], s[16:17], s[16:17] op_sel:[0,1]
	flat_load_dwordx2 v[24:25], v[2:3] offset:8
.LBB152_3:
	s_load_dwordx4 s[28:31], s[4:5], 0xa8
	s_bitcmp1_b32 s9, 8
	s_cselect_b64 s[34:35], -1, 0
	s_bfe_u32 s9, s9, 0x10008
	s_cmp_eq_u32 s9, 0
	v_pk_mov_b32 v[20:21], v[18:19], v[18:19] op_sel:[0,1]
	s_cbranch_scc1 .LBB152_6
; %bb.4:
	s_mov_b64 s[16:17], src_private_base
	s_and_b64 s[18:19], s[6:7], exec
	s_cselect_b32 s9, s17, s13
	v_mov_b32_e32 v1, 8
	v_mov_b32_e32 v2, s12
	v_cndmask_b32_e64 v2, v2, v1, s[6:7]
	v_mov_b32_e32 v3, s9
	flat_load_dwordx2 v[20:21], v[2:3]
	s_and_b64 vcc, exec, s[10:11]
	v_pk_mov_b32 v[18:19], s[14:15], s[14:15] op_sel:[0,1]
	s_cbranch_vccnz .LBB152_6
; %bb.5:
	v_pk_mov_b32 v[2:3], s[12:13], s[12:13] op_sel:[0,1]
	flat_load_dwordx2 v[18:19], v[2:3] offset:8
.LBB152_6:
	s_load_dwordx4 s[36:39], s[4:5], 0x98
	s_load_dwordx8 s[12:19], s[4:5], 0x78
	s_load_dwordx4 s[44:47], s[4:5], 0x58
	s_load_dwordx4 s[40:43], s[4:5], 0x10
	s_load_dwordx2 s[10:11], s[4:5], 0x20
	s_load_dwordx8 s[20:27], s[4:5], 0x38
	s_movk_i32 s6, 0x100
	v_cmp_gt_u32_e64 s[6:7], s6, v0
	v_lshl_add_u32 v1, v0, 3, 0
	s_and_saveexec_b64 s[50:51], s[6:7]
	s_cbranch_execz .LBB152_8
; %bb.7:
	s_waitcnt lgkmcnt(0)
	v_pk_mov_b32 v[2:3], s[40:41], s[40:41] op_sel:[0,1]
	ds_write_b64 v1, v[2:3]
.LBB152_8:
	s_or_b64 exec, exec, s[50:51]
	s_mov_b32 s52, 0
	v_lshl_add_u32 v2, v0, 4, 0
	s_mov_b32 s53, s52
	s_mov_b32 s54, s52
	;; [unrolled: 1-line block ×3, first 2 shown]
	v_add_u32_e32 v6, 0x800, v2
	v_or_b32_e32 v7, 0xffffff00, v0
	s_mov_b64 s[50:51], 0
	v_pk_mov_b32 v[2:3], s[52:53], s[52:53] op_sel:[0,1]
	v_pk_mov_b32 v[4:5], s[54:55], s[54:55] op_sel:[0,1]
	s_movk_i32 s9, 0x2ff
.LBB152_9:                              ; =>This Inner Loop Header: Depth=1
	v_add_u32_e32 v7, 0x100, v7
	v_cmp_lt_u32_e32 vcc, s9, v7
	ds_write2_b64 v6, v[2:3], v[4:5] offset1:1
	s_or_b64 s[50:51], vcc, s[50:51]
	v_add_u32_e32 v6, 0x1000, v6
	s_andn2_b64 exec, exec, s[50:51]
	s_cbranch_execnz .LBB152_9
; %bb.10:
	s_or_b64 exec, exec, s[50:51]
	s_waitcnt lgkmcnt(0)
	s_cmp_lg_u64 s[10:11], 0
	s_mov_b32 s9, 0
	s_barrier
	s_cbranch_scc0 .LBB152_12
; %bb.11:
	s_load_dwordx2 s[42:43], s[42:43], 0x0
	s_waitcnt lgkmcnt(0)
	s_lshl_b64 s[42:43], s[42:43], 3
	s_add_u32 s10, s10, s42
	s_addc_u32 s11, s11, s43
	s_lshl_b64 s[8:9], s[8:9], 3
	s_add_u32 s8, s10, s8
	s_addc_u32 s9, s11, s9
	s_load_dwordx2 s[8:9], s[8:9], 0x0
.LBB152_12:
	s_nop 0
	s_load_dword s33, s[4:5], 0x0
	s_andn2_b64 vcc, exec, s[48:49]
	s_cbranch_vccnz .LBB152_68
; %bb.13:
	s_waitcnt lgkmcnt(0)
	s_lshl_b64 s[4:5], s[8:9], 3
	s_add_u32 s4, s20, s4
	s_addc_u32 s5, s21, s5
	s_load_dwordx4 s[48:51], s[4:5], 0x0
	v_lshrrev_b32_e32 v2, 4, v0
	v_subrev_co_u32_e32 v2, vcc, s28, v2
	v_subb_co_u32_e64 v3, s[10:11], 0, 0, vcc
	s_waitcnt lgkmcnt(0)
	s_sub_u32 s4, s50, s28
	v_mov_b32_e32 v4, s49
	v_add_co_u32_e32 v26, vcc, s48, v2
	s_subb_u32 s5, s51, 0
	v_addc_co_u32_e32 v27, vcc, v4, v3, vcc
	s_mov_b32 s42, 0
	v_cmp_gt_i64_e32 vcc, s[4:5], v[26:27]
	s_and_saveexec_b64 s[10:11], vcc
	s_cbranch_execz .LBB152_67
; %bb.14:
	v_and_b32_e32 v2, 15, v0
	v_subrev_co_u32_e32 v51, vcc, s29, v2
	s_cmp_eq_u32 s33, 0
	v_subb_co_u32_e64 v59, s[20:21], 0, 0, vcc
	s_mov_b32 s60, s28
	s_mov_b32 s61, s29
	;; [unrolled: 1-line block ×3, first 2 shown]
	s_cselect_b32 s63, 1, 2
	s_cselect_b32 s64, 2, 1
	s_mov_b64 s[20:21], 0
	v_mov_b32_e32 v62, s23
	v_mov_b32_e32 v63, s42
	;; [unrolled: 1-line block ×4, first 2 shown]
	s_movk_i32 s23, 0x89
	s_branch .LBB152_16
.LBB152_15:                             ;   in Loop: Header=BB152_16 Depth=1
	s_or_b64 exec, exec, s[28:29]
	v_add_co_u32_e32 v26, vcc, 16, v26
	v_addc_co_u32_e32 v27, vcc, 0, v27, vcc
	v_cmp_le_i64_e32 vcc, s[4:5], v[26:27]
	s_or_b64 s[20:21], vcc, s[20:21]
	s_andn2_b64 exec, exec, s[20:21]
	s_cbranch_execz .LBB152_67
.LBB152_16:                             ; =>This Loop Header: Depth=1
                                        ;     Child Loop BB152_19 Depth 2
                                        ;       Child Loop BB152_21 Depth 3
                                        ;       Child Loop BB152_33 Depth 3
	;; [unrolled: 1-line block ×4, first 2 shown]
	v_lshlrev_b64 v[2:3], 3, v[26:27]
	v_add_co_u32_e32 v2, vcc, s22, v2
	v_addc_co_u32_e32 v3, vcc, v62, v3, vcc
	global_load_dwordx2 v[2:3], v[2:3], off
	s_waitcnt vmcnt(0)
	v_subrev_co_u32_e32 v2, vcc, s60, v2
	v_subb_co_u32_e32 v3, vcc, v3, v63, vcc
	v_lshlrev_b64 v[2:3], 3, v[2:3]
	v_add_co_u32_e32 v2, vcc, s26, v2
	v_addc_co_u32_e32 v3, vcc, v64, v3, vcc
	global_load_dwordx4 v[2:5], v[2:3], off
	s_waitcnt vmcnt(0)
	v_subrev_co_u32_e32 v28, vcc, s61, v4
	v_subb_co_u32_e32 v29, vcc, v5, v65, vcc
	v_add_co_u32_e32 v30, vcc, v2, v51
	v_addc_co_u32_e32 v31, vcc, v3, v59, vcc
	v_cmp_lt_i64_e32 vcc, v[30:31], v[28:29]
	s_and_saveexec_b64 s[28:29], vcc
	s_cbranch_execz .LBB152_15
; %bb.17:                               ;   in Loop: Header=BB152_16 Depth=1
	v_lshlrev_b64 v[2:3], 6, v[26:27]
	v_mov_b32_e32 v16, s25
	v_add_co_u32_e32 v10, vcc, s24, v2
	v_lshlrev_b64 v[14:15], 2, v[26:27]
	v_addc_co_u32_e32 v11, vcc, v16, v3, vcc
	global_load_dwordx4 v[2:5], v[10:11], off
	global_load_dwordx4 v[6:9], v[10:11], off offset:48
	v_or_b32_e32 v11, 0, v15
	v_or_b32_e32 v10, s63, v14
	v_lshlrev_b64 v[10:11], 4, v[10:11]
	v_add_co_u32_e32 v10, vcc, s24, v10
	v_or_b32_e32 v15, 0, v15
	v_or_b32_e32 v14, s64, v14
	v_addc_co_u32_e32 v11, vcc, v16, v11, vcc
	v_lshlrev_b64 v[14:15], 4, v[14:15]
	v_add_co_u32_e32 v14, vcc, s24, v14
	v_addc_co_u32_e32 v15, vcc, v16, v15, vcc
	global_load_dwordx4 v[10:13], v[10:11], off
	s_mov_b64 s[42:43], 0
	global_load_dwordx4 v[14:17], v[14:15], off
	s_waitcnt vmcnt(3)
	v_mul_f64 v[32:33], v[4:5], -v[24:25]
	v_mul_f64 v[34:35], v[22:23], v[4:5]
	s_waitcnt vmcnt(2)
	v_mul_f64 v[36:37], v[8:9], -v[24:25]
	v_mul_f64 v[38:39], v[22:23], v[8:9]
	v_fmac_f64_e32 v[32:33], v[22:23], v[2:3]
	v_fmac_f64_e32 v[34:35], v[24:25], v[2:3]
	;; [unrolled: 1-line block ×4, first 2 shown]
	s_waitcnt vmcnt(1)
	v_mul_f64 v[40:41], v[12:13], -v[24:25]
	v_mul_f64 v[42:43], v[22:23], v[12:13]
	s_waitcnt vmcnt(0)
	v_mul_f64 v[44:45], v[16:17], -v[24:25]
	v_mul_f64 v[46:47], v[22:23], v[16:17]
	v_fmac_f64_e32 v[40:41], v[22:23], v[10:11]
	v_fmac_f64_e32 v[42:43], v[24:25], v[10:11]
	;; [unrolled: 1-line block ×4, first 2 shown]
	s_branch .LBB152_19
.LBB152_18:                             ;   in Loop: Header=BB152_19 Depth=2
	s_or_b64 exec, exec, s[48:49]
	v_add_co_u32_e32 v30, vcc, 16, v30
	v_addc_co_u32_e32 v31, vcc, 0, v31, vcc
	v_cmp_ge_i64_e32 vcc, v[30:31], v[28:29]
	s_or_b64 s[42:43], vcc, s[42:43]
	s_andn2_b64 exec, exec, s[42:43]
	s_cbranch_execz .LBB152_15
.LBB152_19:                             ;   Parent Loop BB152_16 Depth=1
                                        ; =>  This Loop Header: Depth=2
                                        ;       Child Loop BB152_21 Depth 3
                                        ;       Child Loop BB152_33 Depth 3
	;; [unrolled: 1-line block ×4, first 2 shown]
	v_lshlrev_b64 v[2:3], 3, v[30:31]
	v_mov_b32_e32 v4, s45
	v_add_co_u32_e32 v2, vcc, s44, v2
	v_addc_co_u32_e32 v3, vcc, v4, v3, vcc
	global_load_dwordx2 v[48:49], v[2:3], off
	v_lshlrev_b64 v[2:3], 2, v[30:31]
	v_or_b32_e32 v5, 0, v3
	v_or_b32_e32 v4, s63, v2
	;; [unrolled: 1-line block ×4, first 2 shown]
	v_lshlrev_b64 v[2:3], 4, v[2:3]
	v_mov_b32_e32 v8, s47
	v_add_co_u32_e32 v2, vcc, s46, v2
	v_lshlrev_b64 v[6:7], 6, v[30:31]
	v_addc_co_u32_e32 v3, vcc, v8, v3, vcc
	v_add_co_u32_e32 v6, vcc, s46, v6
	global_load_dwordx4 v[14:17], v[2:3], off
	v_addc_co_u32_e32 v7, vcc, v8, v7, vcc
	global_load_dwordx4 v[10:13], v[6:7], off
	v_lshlrev_b64 v[2:3], 4, v[4:5]
	v_add_co_u32_e32 v2, vcc, s46, v2
	v_addc_co_u32_e32 v3, vcc, v8, v3, vcc
	global_load_dwordx4 v[2:5], v[2:3], off
	s_nop 0
	global_load_dwordx4 v[6:9], v[6:7], off offset:48
	v_mov_b32_e32 v50, s62
	s_mov_b64 s[48:49], 0
	s_waitcnt vmcnt(4)
	v_subrev_co_u32_e32 v48, vcc, s61, v48
	v_subb_co_u32_e32 v49, vcc, v49, v50, vcc
	v_mul_lo_u32 v50, v48, s23
	v_and_b32_e32 v50, 0xff, v50
	v_pk_mov_b32 v[56:57], v[50:51], v[50:51] op_sel:[0,1]
	s_waitcnt vmcnt(3)
	v_mul_f64 v[54:55], v[16:17], -v[42:43]
	v_mul_f64 v[52:53], v[40:41], v[16:17]
	v_fmac_f64_e32 v[54:55], v[40:41], v[14:15]
	v_fmac_f64_e32 v[52:53], v[42:43], v[14:15]
	s_waitcnt vmcnt(2)
	v_fmac_f64_e32 v[54:55], v[32:33], v[10:11]
	v_fmac_f64_e32 v[52:53], v[34:35], v[10:11]
	v_fma_f64 v[54:55], -v[34:35], v[12:13], v[54:55]
	v_fmac_f64_e32 v[52:53], v[32:33], v[12:13]
	s_branch .LBB152_21
.LBB152_20:                             ;   in Loop: Header=BB152_21 Depth=3
	s_or_b64 exec, exec, s[50:51]
	s_xor_b64 s[50:51], s[52:53], -1
	s_and_b64 s[50:51], exec, s[50:51]
	s_or_b64 s[48:49], s[50:51], s[48:49]
	s_andn2_b64 exec, exec, s[48:49]
	s_cbranch_execz .LBB152_31
.LBB152_21:                             ;   Parent Loop BB152_16 Depth=1
                                        ;     Parent Loop BB152_19 Depth=2
                                        ; =>    This Inner Loop Header: Depth=3
	v_lshl_add_u32 v58, v56, 3, 0
	ds_read_b64 v[60:61], v58
                                        ; implicit-def: $sgpr52_sgpr53
	s_waitcnt lgkmcnt(0)
	v_cmp_ne_u64_e32 vcc, v[60:61], v[48:49]
	s_and_saveexec_b64 s[50:51], vcc
	s_xor_b64 s[50:51], exec, s[50:51]
	s_cbranch_execz .LBB152_29
; %bb.22:                               ;   in Loop: Header=BB152_21 Depth=3
	v_cmp_ne_u64_e32 vcc, s[40:41], v[60:61]
                                        ; implicit-def: $sgpr52_sgpr53
	s_and_saveexec_b64 s[54:55], vcc
	s_xor_b64 s[54:55], exec, s[54:55]
; %bb.23:                               ;   in Loop: Header=BB152_21 Depth=3
	v_add_u32_e32 v56, 1, v56
	v_and_b32_e32 v56, 0xff, v56
	s_mov_b64 s[52:53], -1
                                        ; implicit-def: $vgpr58
; %bb.24:                               ;   in Loop: Header=BB152_21 Depth=3
	s_andn2_saveexec_b64 s[54:55], s[54:55]
	s_cbranch_execz .LBB152_28
; %bb.25:                               ;   in Loop: Header=BB152_21 Depth=3
	v_pk_mov_b32 v[60:61], s[40:41], s[40:41] op_sel:[0,1]
	ds_cmpst_rtn_b64 v[60:61], v58, v[60:61], v[48:49]
	s_mov_b64 s[58:59], -1
	s_waitcnt lgkmcnt(0)
	v_cmp_eq_u64_e32 vcc, s[40:41], v[60:61]
	s_and_saveexec_b64 s[56:57], vcc
	s_cbranch_execz .LBB152_27
; %bb.26:                               ;   in Loop: Header=BB152_21 Depth=3
	v_mad_u64_u32 v[60:61], s[58:59], v56, 56, v[58:59]
	ds_add_f64 v60, v[54:55] offset:2048
	ds_add_f64 v60, v[52:53] offset:2056
	s_xor_b64 s[58:59], exec, -1
.LBB152_27:                             ;   in Loop: Header=BB152_21 Depth=3
	s_or_b64 exec, exec, s[56:57]
	s_andn2_b64 s[52:53], s[52:53], exec
	s_and_b64 s[56:57], s[58:59], exec
	s_or_b64 s[52:53], s[52:53], s[56:57]
.LBB152_28:                             ;   in Loop: Header=BB152_21 Depth=3
	s_or_b64 exec, exec, s[54:55]
	s_and_b64 s[52:53], s[52:53], exec
                                        ; implicit-def: $vgpr58
.LBB152_29:                             ;   in Loop: Header=BB152_21 Depth=3
	s_andn2_saveexec_b64 s[50:51], s[50:51]
	s_cbranch_execz .LBB152_20
; %bb.30:                               ;   in Loop: Header=BB152_21 Depth=3
	v_mad_u64_u32 v[60:61], s[54:55], v56, 56, v[58:59]
	ds_add_f64 v60, v[54:55] offset:2048
	ds_add_f64 v60, v[52:53] offset:2056
	s_andn2_b64 s[52:53], s[52:53], exec
	s_branch .LBB152_20
.LBB152_31:                             ;   in Loop: Header=BB152_19 Depth=2
	s_or_b64 exec, exec, s[48:49]
	s_waitcnt vmcnt(0)
	v_mul_f64 v[54:55], v[8:9], -v[42:43]
	v_mul_f64 v[52:53], v[40:41], v[8:9]
	v_fmac_f64_e32 v[54:55], v[40:41], v[6:7]
	v_fmac_f64_e32 v[52:53], v[42:43], v[6:7]
	;; [unrolled: 1-line block ×4, first 2 shown]
	v_fma_f64 v[54:55], -v[34:35], v[4:5], v[54:55]
	v_fmac_f64_e32 v[52:53], v[32:33], v[4:5]
	s_mov_b64 s[48:49], 0
	v_pk_mov_b32 v[56:57], v[50:51], v[50:51] op_sel:[0,1]
	s_branch .LBB152_33
.LBB152_32:                             ;   in Loop: Header=BB152_33 Depth=3
	s_or_b64 exec, exec, s[50:51]
	s_xor_b64 s[50:51], s[52:53], -1
	s_and_b64 s[50:51], exec, s[50:51]
	s_or_b64 s[48:49], s[50:51], s[48:49]
	s_andn2_b64 exec, exec, s[48:49]
	s_cbranch_execz .LBB152_43
.LBB152_33:                             ;   Parent Loop BB152_16 Depth=1
                                        ;     Parent Loop BB152_19 Depth=2
                                        ; =>    This Inner Loop Header: Depth=3
	v_lshl_add_u32 v58, v56, 3, 0
	ds_read_b64 v[60:61], v58
                                        ; implicit-def: $sgpr52_sgpr53
	s_waitcnt lgkmcnt(0)
	v_cmp_ne_u64_e32 vcc, v[60:61], v[48:49]
	s_and_saveexec_b64 s[50:51], vcc
	s_xor_b64 s[50:51], exec, s[50:51]
	s_cbranch_execz .LBB152_41
; %bb.34:                               ;   in Loop: Header=BB152_33 Depth=3
	v_cmp_ne_u64_e32 vcc, s[40:41], v[60:61]
                                        ; implicit-def: $sgpr52_sgpr53
	s_and_saveexec_b64 s[54:55], vcc
	s_xor_b64 s[54:55], exec, s[54:55]
; %bb.35:                               ;   in Loop: Header=BB152_33 Depth=3
	v_add_u32_e32 v56, 1, v56
	v_and_b32_e32 v56, 0xff, v56
	s_mov_b64 s[52:53], -1
                                        ; implicit-def: $vgpr58
; %bb.36:                               ;   in Loop: Header=BB152_33 Depth=3
	s_andn2_saveexec_b64 s[54:55], s[54:55]
	s_cbranch_execz .LBB152_40
; %bb.37:                               ;   in Loop: Header=BB152_33 Depth=3
	v_pk_mov_b32 v[60:61], s[40:41], s[40:41] op_sel:[0,1]
	ds_cmpst_rtn_b64 v[60:61], v58, v[60:61], v[48:49]
	s_mov_b64 s[58:59], -1
	s_waitcnt lgkmcnt(0)
	v_cmp_eq_u64_e32 vcc, s[40:41], v[60:61]
	s_and_saveexec_b64 s[56:57], vcc
	s_cbranch_execz .LBB152_39
; %bb.38:                               ;   in Loop: Header=BB152_33 Depth=3
	v_mad_u64_u32 v[60:61], s[58:59], v56, 56, v[58:59]
	ds_add_f64 v60, v[54:55] offset:2064
	ds_add_f64 v60, v[52:53] offset:2072
	s_xor_b64 s[58:59], exec, -1
.LBB152_39:                             ;   in Loop: Header=BB152_33 Depth=3
	s_or_b64 exec, exec, s[56:57]
	s_andn2_b64 s[52:53], s[52:53], exec
	s_and_b64 s[56:57], s[58:59], exec
	s_or_b64 s[52:53], s[52:53], s[56:57]
.LBB152_40:                             ;   in Loop: Header=BB152_33 Depth=3
	s_or_b64 exec, exec, s[54:55]
	s_and_b64 s[52:53], s[52:53], exec
                                        ; implicit-def: $vgpr58
.LBB152_41:                             ;   in Loop: Header=BB152_33 Depth=3
	s_andn2_saveexec_b64 s[50:51], s[50:51]
	s_cbranch_execz .LBB152_32
; %bb.42:                               ;   in Loop: Header=BB152_33 Depth=3
	v_mad_u64_u32 v[60:61], s[54:55], v56, 56, v[58:59]
	ds_add_f64 v60, v[54:55] offset:2064
	ds_add_f64 v60, v[52:53] offset:2072
	s_andn2_b64 s[52:53], s[52:53], exec
	s_branch .LBB152_32
.LBB152_43:                             ;   in Loop: Header=BB152_19 Depth=2
	s_or_b64 exec, exec, s[48:49]
	v_mul_f64 v[52:53], v[16:17], -v[38:39]
	v_mul_f64 v[16:17], v[36:37], v[16:17]
	v_fmac_f64_e32 v[52:53], v[36:37], v[14:15]
	v_fmac_f64_e32 v[16:17], v[38:39], v[14:15]
	;; [unrolled: 1-line block ×4, first 2 shown]
	v_fma_f64 v[14:15], -v[46:47], v[12:13], v[52:53]
	v_fmac_f64_e32 v[16:17], v[44:45], v[12:13]
	s_mov_b64 s[48:49], 0
	v_pk_mov_b32 v[10:11], v[50:51], v[50:51] op_sel:[0,1]
	s_branch .LBB152_45
.LBB152_44:                             ;   in Loop: Header=BB152_45 Depth=3
	s_or_b64 exec, exec, s[50:51]
	s_xor_b64 s[50:51], s[52:53], -1
	s_and_b64 s[50:51], exec, s[50:51]
	s_or_b64 s[48:49], s[50:51], s[48:49]
	s_andn2_b64 exec, exec, s[48:49]
	s_cbranch_execz .LBB152_55
.LBB152_45:                             ;   Parent Loop BB152_16 Depth=1
                                        ;     Parent Loop BB152_19 Depth=2
                                        ; =>    This Inner Loop Header: Depth=3
	v_lshl_add_u32 v12, v10, 3, 0
	ds_read_b64 v[52:53], v12
                                        ; implicit-def: $sgpr52_sgpr53
	s_waitcnt lgkmcnt(0)
	v_cmp_ne_u64_e32 vcc, v[52:53], v[48:49]
	s_and_saveexec_b64 s[50:51], vcc
	s_xor_b64 s[50:51], exec, s[50:51]
	s_cbranch_execz .LBB152_53
; %bb.46:                               ;   in Loop: Header=BB152_45 Depth=3
	v_cmp_ne_u64_e32 vcc, s[40:41], v[52:53]
                                        ; implicit-def: $sgpr52_sgpr53
	s_and_saveexec_b64 s[54:55], vcc
	s_xor_b64 s[54:55], exec, s[54:55]
; %bb.47:                               ;   in Loop: Header=BB152_45 Depth=3
	v_add_u32_e32 v10, 1, v10
	v_and_b32_e32 v10, 0xff, v10
	s_mov_b64 s[52:53], -1
                                        ; implicit-def: $vgpr12
; %bb.48:                               ;   in Loop: Header=BB152_45 Depth=3
	s_andn2_saveexec_b64 s[54:55], s[54:55]
	s_cbranch_execz .LBB152_52
; %bb.49:                               ;   in Loop: Header=BB152_45 Depth=3
	v_pk_mov_b32 v[52:53], s[40:41], s[40:41] op_sel:[0,1]
	ds_cmpst_rtn_b64 v[52:53], v12, v[52:53], v[48:49]
	s_mov_b64 s[58:59], -1
	s_waitcnt lgkmcnt(0)
	v_cmp_eq_u64_e32 vcc, s[40:41], v[52:53]
	s_and_saveexec_b64 s[56:57], vcc
	s_cbranch_execz .LBB152_51
; %bb.50:                               ;   in Loop: Header=BB152_45 Depth=3
	v_mad_u64_u32 v[12:13], s[58:59], v10, 56, v[12:13]
	ds_add_f64 v12, v[14:15] offset:2080
	ds_add_f64 v12, v[16:17] offset:2088
	s_xor_b64 s[58:59], exec, -1
.LBB152_51:                             ;   in Loop: Header=BB152_45 Depth=3
	s_or_b64 exec, exec, s[56:57]
	s_andn2_b64 s[52:53], s[52:53], exec
	s_and_b64 s[56:57], s[58:59], exec
	s_or_b64 s[52:53], s[52:53], s[56:57]
.LBB152_52:                             ;   in Loop: Header=BB152_45 Depth=3
	s_or_b64 exec, exec, s[54:55]
	s_and_b64 s[52:53], s[52:53], exec
                                        ; implicit-def: $vgpr12
.LBB152_53:                             ;   in Loop: Header=BB152_45 Depth=3
	s_andn2_saveexec_b64 s[50:51], s[50:51]
	s_cbranch_execz .LBB152_44
; %bb.54:                               ;   in Loop: Header=BB152_45 Depth=3
	v_mad_u64_u32 v[12:13], s[54:55], v10, 56, v[12:13]
	ds_add_f64 v12, v[14:15] offset:2080
	ds_add_f64 v12, v[16:17] offset:2088
	s_andn2_b64 s[52:53], s[52:53], exec
	s_branch .LBB152_44
.LBB152_55:                             ;   in Loop: Header=BB152_19 Depth=2
	s_or_b64 exec, exec, s[48:49]
	v_mul_f64 v[10:11], v[8:9], -v[38:39]
	v_mul_f64 v[8:9], v[36:37], v[8:9]
	v_fmac_f64_e32 v[10:11], v[36:37], v[6:7]
	v_fmac_f64_e32 v[8:9], v[38:39], v[6:7]
	;; [unrolled: 1-line block ×4, first 2 shown]
	v_fma_f64 v[6:7], -v[46:47], v[4:5], v[10:11]
	v_fmac_f64_e32 v[8:9], v[44:45], v[4:5]
	s_mov_b64 s[48:49], 0
	s_branch .LBB152_57
.LBB152_56:                             ;   in Loop: Header=BB152_57 Depth=3
	s_or_b64 exec, exec, s[50:51]
	s_xor_b64 s[50:51], s[52:53], -1
	s_and_b64 s[50:51], exec, s[50:51]
	s_or_b64 s[48:49], s[50:51], s[48:49]
	s_andn2_b64 exec, exec, s[48:49]
	s_cbranch_execz .LBB152_18
.LBB152_57:                             ;   Parent Loop BB152_16 Depth=1
                                        ;     Parent Loop BB152_19 Depth=2
                                        ; =>    This Inner Loop Header: Depth=3
	v_lshl_add_u32 v2, v50, 3, 0
	ds_read_b64 v[4:5], v2
                                        ; implicit-def: $sgpr52_sgpr53
	s_waitcnt lgkmcnt(0)
	v_cmp_ne_u64_e32 vcc, v[4:5], v[48:49]
	s_and_saveexec_b64 s[50:51], vcc
	s_xor_b64 s[50:51], exec, s[50:51]
	s_cbranch_execz .LBB152_65
; %bb.58:                               ;   in Loop: Header=BB152_57 Depth=3
	v_cmp_ne_u64_e32 vcc, s[40:41], v[4:5]
                                        ; implicit-def: $sgpr52_sgpr53
	s_and_saveexec_b64 s[54:55], vcc
	s_xor_b64 s[54:55], exec, s[54:55]
; %bb.59:                               ;   in Loop: Header=BB152_57 Depth=3
	v_add_u32_e32 v2, 1, v50
	v_and_b32_e32 v50, 0xff, v2
	s_mov_b64 s[52:53], -1
                                        ; implicit-def: $vgpr2
; %bb.60:                               ;   in Loop: Header=BB152_57 Depth=3
	s_andn2_saveexec_b64 s[54:55], s[54:55]
	s_cbranch_execz .LBB152_64
; %bb.61:                               ;   in Loop: Header=BB152_57 Depth=3
	v_pk_mov_b32 v[4:5], s[40:41], s[40:41] op_sel:[0,1]
	ds_cmpst_rtn_b64 v[4:5], v2, v[4:5], v[48:49]
	s_mov_b64 s[58:59], -1
	s_waitcnt lgkmcnt(0)
	v_cmp_eq_u64_e32 vcc, s[40:41], v[4:5]
	s_and_saveexec_b64 s[56:57], vcc
	s_cbranch_execz .LBB152_63
; %bb.62:                               ;   in Loop: Header=BB152_57 Depth=3
	v_mad_u64_u32 v[2:3], s[58:59], v50, 56, v[2:3]
	ds_add_f64 v2, v[6:7] offset:2096
	ds_add_f64 v2, v[8:9] offset:2104
	s_xor_b64 s[58:59], exec, -1
.LBB152_63:                             ;   in Loop: Header=BB152_57 Depth=3
	s_or_b64 exec, exec, s[56:57]
	s_andn2_b64 s[52:53], s[52:53], exec
	s_and_b64 s[56:57], s[58:59], exec
	s_or_b64 s[52:53], s[52:53], s[56:57]
.LBB152_64:                             ;   in Loop: Header=BB152_57 Depth=3
	s_or_b64 exec, exec, s[54:55]
	s_and_b64 s[52:53], s[52:53], exec
                                        ; implicit-def: $vgpr2
.LBB152_65:                             ;   in Loop: Header=BB152_57 Depth=3
	s_andn2_saveexec_b64 s[50:51], s[50:51]
	s_cbranch_execz .LBB152_56
; %bb.66:                               ;   in Loop: Header=BB152_57 Depth=3
	v_mad_u64_u32 v[2:3], s[54:55], v50, 56, v[2:3]
	ds_add_f64 v2, v[6:7] offset:2096
	ds_add_f64 v2, v[8:9] offset:2104
	s_andn2_b64 s[52:53], s[52:53], exec
	s_branch .LBB152_56
.LBB152_67:
	s_or_b64 exec, exec, s[10:11]
.LBB152_68:
	s_andn2_b64 vcc, exec, s[34:35]
	s_waitcnt lgkmcnt(0)
	s_barrier
	s_cbranch_vccnz .LBB152_121
; %bb.69:
	s_lshl_b64 s[4:5], s[8:9], 3
	s_add_u32 s4, s12, s4
	s_addc_u32 s5, s13, s5
	s_load_dwordx4 s[24:27], s[4:5], 0x0
	v_subrev_co_u32_e32 v2, vcc, s31, v0
	v_subb_co_u32_e64 v3, s[10:11], 0, 0, vcc
	s_waitcnt lgkmcnt(0)
	s_sub_u32 s4, s26, s31
	v_mov_b32_e32 v4, s25
	v_add_co_u32_e32 v14, vcc, s24, v2
	s_subb_u32 s5, s27, 0
	v_addc_co_u32_e32 v15, vcc, v4, v3, vcc
	s_mov_b32 s20, 0
	v_cmp_gt_i64_e32 vcc, s[4:5], v[14:15]
	s_and_saveexec_b64 s[10:11], vcc
	s_cbranch_execz .LBB152_120
; %bb.70:
	s_cmp_eq_u32 s33, 0
	s_mov_b32 s42, s31
	s_cselect_b32 s31, 1, 2
	s_cselect_b32 s43, 2, 1
	s_mov_b64 s[12:13], 0
	s_waitcnt vmcnt(0)
	v_mov_b32_e32 v23, s17
	v_mov_b32_e32 v31, s15
	;; [unrolled: 1-line block ×3, first 2 shown]
	s_movk_i32 s15, 0x89
	s_branch .LBB152_72
.LBB152_71:                             ;   in Loop: Header=BB152_72 Depth=1
	s_or_b64 exec, exec, s[20:21]
	v_add_co_u32_e32 v14, vcc, 0x100, v14
	v_addc_co_u32_e32 v15, vcc, 0, v15, vcc
	v_cmp_le_i64_e32 vcc, s[4:5], v[14:15]
	s_or_b64 s[12:13], vcc, s[12:13]
	s_andn2_b64 exec, exec, s[12:13]
	s_cbranch_execz .LBB152_120
.LBB152_72:                             ; =>This Loop Header: Depth=1
                                        ;     Child Loop BB152_74 Depth 2
                                        ;     Child Loop BB152_86 Depth 2
	;; [unrolled: 1-line block ×4, first 2 shown]
	v_lshlrev_b64 v[2:3], 6, v[14:15]
	v_add_co_u32_e32 v8, vcc, s16, v2
	v_lshlrev_b64 v[6:7], 2, v[14:15]
	v_addc_co_u32_e32 v9, vcc, v23, v3, vcc
	global_load_dwordx4 v[36:39], v[8:9], off
	global_load_dwordx4 v[2:5], v[8:9], off offset:48
	v_or_b32_e32 v9, 0, v7
	v_or_b32_e32 v8, s31, v6
	v_lshlrev_b64 v[8:9], 4, v[8:9]
	v_add_co_u32_e32 v16, vcc, s16, v8
	v_addc_co_u32_e32 v17, vcc, v23, v9, vcc
	v_lshlrev_b64 v[8:9], 3, v[14:15]
	v_add_co_u32_e32 v8, vcc, s14, v8
	v_addc_co_u32_e32 v9, vcc, v31, v9, vcc
	global_load_dwordx2 v[28:29], v[8:9], off
	v_or_b32_e32 v7, 0, v7
	v_or_b32_e32 v6, s43, v6
	v_lshlrev_b64 v[6:7], 4, v[6:7]
	v_add_co_u32_e32 v24, vcc, s16, v6
	v_addc_co_u32_e32 v25, vcc, v23, v7, vcc
	global_load_dwordx4 v[10:13], v[16:17], off
	global_load_dwordx4 v[6:9], v[24:25], off
	s_mov_b64 s[20:21], 0
	s_waitcnt vmcnt(4)
	v_mul_f64 v[24:25], v[38:39], -v[18:19]
	v_mul_f64 v[26:27], v[20:21], v[38:39]
	v_fmac_f64_e32 v[24:25], v[20:21], v[36:37]
	v_fmac_f64_e32 v[26:27], v[18:19], v[36:37]
	s_waitcnt vmcnt(2)
	v_subrev_co_u32_e32 v16, vcc, s42, v28
	v_mul_lo_u32 v22, v16, s15
	v_and_b32_e32 v22, 0xff, v22
	v_subb_co_u32_e32 v17, vcc, v29, v34, vcc
	v_pk_mov_b32 v[28:29], v[22:23], v[22:23] op_sel:[0,1]
	s_branch .LBB152_74
.LBB152_73:                             ;   in Loop: Header=BB152_74 Depth=2
	s_or_b64 exec, exec, s[22:23]
	s_xor_b64 s[22:23], s[24:25], -1
	s_and_b64 s[22:23], exec, s[22:23]
	s_or_b64 s[20:21], s[22:23], s[20:21]
	s_andn2_b64 exec, exec, s[20:21]
	s_cbranch_execz .LBB152_84
.LBB152_74:                             ;   Parent Loop BB152_72 Depth=1
                                        ; =>  This Inner Loop Header: Depth=2
	v_lshl_add_u32 v30, v28, 3, 0
	ds_read_b64 v[32:33], v30
                                        ; implicit-def: $sgpr24_sgpr25
	s_waitcnt lgkmcnt(0)
	v_cmp_ne_u64_e32 vcc, v[32:33], v[16:17]
	s_and_saveexec_b64 s[22:23], vcc
	s_xor_b64 s[22:23], exec, s[22:23]
	s_cbranch_execz .LBB152_82
; %bb.75:                               ;   in Loop: Header=BB152_74 Depth=2
	v_cmp_ne_u64_e32 vcc, s[40:41], v[32:33]
                                        ; implicit-def: $sgpr24_sgpr25
	s_and_saveexec_b64 s[26:27], vcc
	s_xor_b64 s[26:27], exec, s[26:27]
; %bb.76:                               ;   in Loop: Header=BB152_74 Depth=2
	v_add_u32_e32 v28, 1, v28
	v_and_b32_e32 v28, 0xff, v28
	s_mov_b64 s[24:25], -1
                                        ; implicit-def: $vgpr30
; %bb.77:                               ;   in Loop: Header=BB152_74 Depth=2
	s_andn2_saveexec_b64 s[26:27], s[26:27]
	s_cbranch_execz .LBB152_81
; %bb.78:                               ;   in Loop: Header=BB152_74 Depth=2
	v_pk_mov_b32 v[32:33], s[40:41], s[40:41] op_sel:[0,1]
	ds_cmpst_rtn_b64 v[32:33], v30, v[32:33], v[16:17]
	s_mov_b64 s[34:35], -1
	s_waitcnt lgkmcnt(0)
	v_cmp_eq_u64_e32 vcc, s[40:41], v[32:33]
	s_and_saveexec_b64 s[28:29], vcc
	s_cbranch_execz .LBB152_80
; %bb.79:                               ;   in Loop: Header=BB152_74 Depth=2
	v_mad_u64_u32 v[32:33], s[34:35], v28, 56, v[30:31]
	ds_add_f64 v32, v[24:25] offset:2048
	ds_add_f64 v32, v[26:27] offset:2056
	s_xor_b64 s[34:35], exec, -1
.LBB152_80:                             ;   in Loop: Header=BB152_74 Depth=2
	s_or_b64 exec, exec, s[28:29]
	s_andn2_b64 s[24:25], s[24:25], exec
	s_and_b64 s[28:29], s[34:35], exec
	s_or_b64 s[24:25], s[24:25], s[28:29]
.LBB152_81:                             ;   in Loop: Header=BB152_74 Depth=2
	s_or_b64 exec, exec, s[26:27]
	s_and_b64 s[24:25], s[24:25], exec
                                        ; implicit-def: $vgpr30
.LBB152_82:                             ;   in Loop: Header=BB152_74 Depth=2
	s_andn2_saveexec_b64 s[22:23], s[22:23]
	s_cbranch_execz .LBB152_73
; %bb.83:                               ;   in Loop: Header=BB152_74 Depth=2
	v_mad_u64_u32 v[32:33], s[26:27], v28, 56, v[30:31]
	ds_add_f64 v32, v[24:25] offset:2048
	ds_add_f64 v32, v[26:27] offset:2056
	s_andn2_b64 s[24:25], s[24:25], exec
	s_branch .LBB152_73
.LBB152_84:                             ;   in Loop: Header=BB152_72 Depth=1
	s_or_b64 exec, exec, s[20:21]
	s_waitcnt vmcnt(1)
	v_mul_f64 v[24:25], v[12:13], -v[18:19]
	v_mul_f64 v[12:13], v[20:21], v[12:13]
	v_fmac_f64_e32 v[24:25], v[20:21], v[10:11]
	v_fmac_f64_e32 v[12:13], v[18:19], v[10:11]
	s_mov_b64 s[20:21], 0
	v_pk_mov_b32 v[10:11], v[22:23], v[22:23] op_sel:[0,1]
	s_branch .LBB152_86
.LBB152_85:                             ;   in Loop: Header=BB152_86 Depth=2
	s_or_b64 exec, exec, s[22:23]
	s_xor_b64 s[22:23], s[24:25], -1
	s_and_b64 s[22:23], exec, s[22:23]
	s_or_b64 s[20:21], s[22:23], s[20:21]
	s_andn2_b64 exec, exec, s[20:21]
	s_cbranch_execz .LBB152_96
.LBB152_86:                             ;   Parent Loop BB152_72 Depth=1
                                        ; =>  This Inner Loop Header: Depth=2
	v_lshl_add_u32 v26, v10, 3, 0
	ds_read_b64 v[28:29], v26
                                        ; implicit-def: $sgpr24_sgpr25
	s_waitcnt lgkmcnt(0)
	v_cmp_ne_u64_e32 vcc, v[28:29], v[16:17]
	s_and_saveexec_b64 s[22:23], vcc
	s_xor_b64 s[22:23], exec, s[22:23]
	s_cbranch_execz .LBB152_94
; %bb.87:                               ;   in Loop: Header=BB152_86 Depth=2
	v_cmp_ne_u64_e32 vcc, s[40:41], v[28:29]
                                        ; implicit-def: $sgpr24_sgpr25
	s_and_saveexec_b64 s[26:27], vcc
	s_xor_b64 s[26:27], exec, s[26:27]
; %bb.88:                               ;   in Loop: Header=BB152_86 Depth=2
	v_add_u32_e32 v10, 1, v10
	v_and_b32_e32 v10, 0xff, v10
	s_mov_b64 s[24:25], -1
                                        ; implicit-def: $vgpr26
; %bb.89:                               ;   in Loop: Header=BB152_86 Depth=2
	s_andn2_saveexec_b64 s[26:27], s[26:27]
	s_cbranch_execz .LBB152_93
; %bb.90:                               ;   in Loop: Header=BB152_86 Depth=2
	v_pk_mov_b32 v[28:29], s[40:41], s[40:41] op_sel:[0,1]
	ds_cmpst_rtn_b64 v[28:29], v26, v[28:29], v[16:17]
	s_mov_b64 s[34:35], -1
	s_waitcnt lgkmcnt(0)
	v_cmp_eq_u64_e32 vcc, s[40:41], v[28:29]
	s_and_saveexec_b64 s[28:29], vcc
	s_cbranch_execz .LBB152_92
; %bb.91:                               ;   in Loop: Header=BB152_86 Depth=2
	v_mad_u64_u32 v[26:27], s[34:35], v10, 56, v[26:27]
	ds_add_f64 v26, v[24:25] offset:2064
	ds_add_f64 v26, v[12:13] offset:2072
	s_xor_b64 s[34:35], exec, -1
.LBB152_92:                             ;   in Loop: Header=BB152_86 Depth=2
	s_or_b64 exec, exec, s[28:29]
	s_andn2_b64 s[24:25], s[24:25], exec
	s_and_b64 s[28:29], s[34:35], exec
	s_or_b64 s[24:25], s[24:25], s[28:29]
.LBB152_93:                             ;   in Loop: Header=BB152_86 Depth=2
	s_or_b64 exec, exec, s[26:27]
	s_and_b64 s[24:25], s[24:25], exec
                                        ; implicit-def: $vgpr26
.LBB152_94:                             ;   in Loop: Header=BB152_86 Depth=2
	s_andn2_saveexec_b64 s[22:23], s[22:23]
	s_cbranch_execz .LBB152_85
; %bb.95:                               ;   in Loop: Header=BB152_86 Depth=2
	v_mad_u64_u32 v[26:27], s[26:27], v10, 56, v[26:27]
	ds_add_f64 v26, v[24:25] offset:2064
	ds_add_f64 v26, v[12:13] offset:2072
	s_andn2_b64 s[24:25], s[24:25], exec
	s_branch .LBB152_85
.LBB152_96:                             ;   in Loop: Header=BB152_72 Depth=1
	s_or_b64 exec, exec, s[20:21]
	s_waitcnt vmcnt(0)
	v_mul_f64 v[10:11], v[8:9], -v[18:19]
	v_mul_f64 v[8:9], v[20:21], v[8:9]
	v_fmac_f64_e32 v[10:11], v[20:21], v[6:7]
	v_fmac_f64_e32 v[8:9], v[18:19], v[6:7]
	s_mov_b64 s[20:21], 0
	v_pk_mov_b32 v[6:7], v[22:23], v[22:23] op_sel:[0,1]
	s_branch .LBB152_98
.LBB152_97:                             ;   in Loop: Header=BB152_98 Depth=2
	s_or_b64 exec, exec, s[22:23]
	s_xor_b64 s[22:23], s[24:25], -1
	s_and_b64 s[22:23], exec, s[22:23]
	s_or_b64 s[20:21], s[22:23], s[20:21]
	s_andn2_b64 exec, exec, s[20:21]
	s_cbranch_execz .LBB152_108
.LBB152_98:                             ;   Parent Loop BB152_72 Depth=1
                                        ; =>  This Inner Loop Header: Depth=2
	v_lshl_add_u32 v12, v6, 3, 0
	ds_read_b64 v[24:25], v12
                                        ; implicit-def: $sgpr24_sgpr25
	s_waitcnt lgkmcnt(0)
	v_cmp_ne_u64_e32 vcc, v[24:25], v[16:17]
	s_and_saveexec_b64 s[22:23], vcc
	s_xor_b64 s[22:23], exec, s[22:23]
	s_cbranch_execz .LBB152_106
; %bb.99:                               ;   in Loop: Header=BB152_98 Depth=2
	v_cmp_ne_u64_e32 vcc, s[40:41], v[24:25]
                                        ; implicit-def: $sgpr24_sgpr25
	s_and_saveexec_b64 s[26:27], vcc
	s_xor_b64 s[26:27], exec, s[26:27]
; %bb.100:                              ;   in Loop: Header=BB152_98 Depth=2
	v_add_u32_e32 v6, 1, v6
	v_and_b32_e32 v6, 0xff, v6
	s_mov_b64 s[24:25], -1
                                        ; implicit-def: $vgpr12
; %bb.101:                              ;   in Loop: Header=BB152_98 Depth=2
	s_andn2_saveexec_b64 s[26:27], s[26:27]
	s_cbranch_execz .LBB152_105
; %bb.102:                              ;   in Loop: Header=BB152_98 Depth=2
	v_pk_mov_b32 v[24:25], s[40:41], s[40:41] op_sel:[0,1]
	ds_cmpst_rtn_b64 v[24:25], v12, v[24:25], v[16:17]
	s_mov_b64 s[34:35], -1
	s_waitcnt lgkmcnt(0)
	v_cmp_eq_u64_e32 vcc, s[40:41], v[24:25]
	s_and_saveexec_b64 s[28:29], vcc
	s_cbranch_execz .LBB152_104
; %bb.103:                              ;   in Loop: Header=BB152_98 Depth=2
	v_mad_u64_u32 v[12:13], s[34:35], v6, 56, v[12:13]
	ds_add_f64 v12, v[10:11] offset:2080
	ds_add_f64 v12, v[8:9] offset:2088
	s_xor_b64 s[34:35], exec, -1
.LBB152_104:                            ;   in Loop: Header=BB152_98 Depth=2
	s_or_b64 exec, exec, s[28:29]
	s_andn2_b64 s[24:25], s[24:25], exec
	s_and_b64 s[28:29], s[34:35], exec
	s_or_b64 s[24:25], s[24:25], s[28:29]
.LBB152_105:                            ;   in Loop: Header=BB152_98 Depth=2
	s_or_b64 exec, exec, s[26:27]
	s_and_b64 s[24:25], s[24:25], exec
                                        ; implicit-def: $vgpr12
.LBB152_106:                            ;   in Loop: Header=BB152_98 Depth=2
	s_andn2_saveexec_b64 s[22:23], s[22:23]
	s_cbranch_execz .LBB152_97
; %bb.107:                              ;   in Loop: Header=BB152_98 Depth=2
	v_mad_u64_u32 v[12:13], s[26:27], v6, 56, v[12:13]
	ds_add_f64 v12, v[10:11] offset:2080
	ds_add_f64 v12, v[8:9] offset:2088
	s_andn2_b64 s[24:25], s[24:25], exec
	s_branch .LBB152_97
.LBB152_108:                            ;   in Loop: Header=BB152_72 Depth=1
	s_or_b64 exec, exec, s[20:21]
	v_mul_f64 v[6:7], v[4:5], -v[18:19]
	v_mul_f64 v[4:5], v[20:21], v[4:5]
	v_fmac_f64_e32 v[6:7], v[20:21], v[2:3]
	v_fmac_f64_e32 v[4:5], v[18:19], v[2:3]
	s_mov_b64 s[20:21], 0
	s_branch .LBB152_110
.LBB152_109:                            ;   in Loop: Header=BB152_110 Depth=2
	s_or_b64 exec, exec, s[22:23]
	s_xor_b64 s[22:23], s[24:25], -1
	s_and_b64 s[22:23], exec, s[22:23]
	s_or_b64 s[20:21], s[22:23], s[20:21]
	s_andn2_b64 exec, exec, s[20:21]
	s_cbranch_execz .LBB152_71
.LBB152_110:                            ;   Parent Loop BB152_72 Depth=1
                                        ; =>  This Inner Loop Header: Depth=2
	v_lshl_add_u32 v2, v22, 3, 0
	ds_read_b64 v[8:9], v2
                                        ; implicit-def: $sgpr24_sgpr25
	s_waitcnt lgkmcnt(0)
	v_cmp_ne_u64_e32 vcc, v[8:9], v[16:17]
	s_and_saveexec_b64 s[22:23], vcc
	s_xor_b64 s[22:23], exec, s[22:23]
	s_cbranch_execz .LBB152_118
; %bb.111:                              ;   in Loop: Header=BB152_110 Depth=2
	v_cmp_ne_u64_e32 vcc, s[40:41], v[8:9]
                                        ; implicit-def: $sgpr24_sgpr25
	s_and_saveexec_b64 s[26:27], vcc
	s_xor_b64 s[26:27], exec, s[26:27]
; %bb.112:                              ;   in Loop: Header=BB152_110 Depth=2
	v_add_u32_e32 v2, 1, v22
	v_and_b32_e32 v22, 0xff, v2
	s_mov_b64 s[24:25], -1
                                        ; implicit-def: $vgpr2
; %bb.113:                              ;   in Loop: Header=BB152_110 Depth=2
	s_andn2_saveexec_b64 s[26:27], s[26:27]
	s_cbranch_execz .LBB152_117
; %bb.114:                              ;   in Loop: Header=BB152_110 Depth=2
	v_pk_mov_b32 v[8:9], s[40:41], s[40:41] op_sel:[0,1]
	ds_cmpst_rtn_b64 v[8:9], v2, v[8:9], v[16:17]
	s_mov_b64 s[34:35], -1
	s_waitcnt lgkmcnt(0)
	v_cmp_eq_u64_e32 vcc, s[40:41], v[8:9]
	s_and_saveexec_b64 s[28:29], vcc
	s_cbranch_execz .LBB152_116
; %bb.115:                              ;   in Loop: Header=BB152_110 Depth=2
	v_mad_u64_u32 v[2:3], s[34:35], v22, 56, v[2:3]
	ds_add_f64 v2, v[6:7] offset:2096
	ds_add_f64 v2, v[4:5] offset:2104
	s_xor_b64 s[34:35], exec, -1
.LBB152_116:                            ;   in Loop: Header=BB152_110 Depth=2
	s_or_b64 exec, exec, s[28:29]
	s_andn2_b64 s[24:25], s[24:25], exec
	s_and_b64 s[28:29], s[34:35], exec
	s_or_b64 s[24:25], s[24:25], s[28:29]
.LBB152_117:                            ;   in Loop: Header=BB152_110 Depth=2
	s_or_b64 exec, exec, s[26:27]
	s_and_b64 s[24:25], s[24:25], exec
                                        ; implicit-def: $vgpr2
.LBB152_118:                            ;   in Loop: Header=BB152_110 Depth=2
	s_andn2_saveexec_b64 s[22:23], s[22:23]
	s_cbranch_execz .LBB152_109
; %bb.119:                              ;   in Loop: Header=BB152_110 Depth=2
	v_mad_u64_u32 v[2:3], s[26:27], v22, 56, v[2:3]
	ds_add_f64 v2, v[6:7] offset:2096
	ds_add_f64 v2, v[4:5] offset:2104
	s_andn2_b64 s[24:25], s[24:25], exec
	s_branch .LBB152_109
.LBB152_120:
	s_or_b64 exec, exec, s[10:11]
.LBB152_121:
	s_waitcnt lgkmcnt(0)
	s_barrier
	s_and_saveexec_b64 s[4:5], s[6:7]
	s_cbranch_execz .LBB152_126
; %bb.122:
	ds_read_b64 v[2:3], v1
	s_mov_b32 s4, 0
	s_waitcnt lgkmcnt(0)
	v_cmp_gt_i64_e32 vcc, s[40:41], v[2:3]
	s_and_b64 exec, exec, vcc
	s_cbranch_execz .LBB152_126
; %bb.123:
	s_lshl_b64 s[6:7], s[8:9], 3
	s_add_u32 s6, s18, s6
	s_addc_u32 s7, s19, s7
	s_load_dwordx2 s[6:7], s[6:7], 0x0
	s_mov_b32 s5, s4
	s_waitcnt lgkmcnt(0)
	s_sub_u32 s6, s6, s30
	s_subb_u32 s7, s7, 0
	v_pk_mov_b32 v[4:5], s[6:7], s[6:7] op_sel:[0,1]
.LBB152_124:                            ; =>This Inner Loop Header: Depth=1
	s_add_i32 s6, s5, 0
	v_mov_b32_e32 v1, s6
	ds_read2_b64 v[6:9], v1 offset1:1
	ds_read2_b64 v[10:13], v1 offset0:2 offset1:3
	ds_read2_b64 v[14:17], v1 offset0:4 offset1:5
	s_waitcnt vmcnt(0)
	ds_read2_b64 v[18:21], v1 offset0:6 offset1:7
	ds_read2_b64 v[22:25], v1 offset0:8 offset1:9
	;; [unrolled: 1-line block ×5, first 2 shown]
	s_waitcnt lgkmcnt(7)
	v_cmp_gt_i64_e32 vcc, v[2:3], v[6:7]
	v_cndmask_b32_e64 v1, 0, 1, vcc
	v_cmp_gt_i64_e32 vcc, v[2:3], v[8:9]
	v_cndmask_b32_e64 v6, 0, 1, vcc
	s_waitcnt lgkmcnt(6)
	v_cmp_gt_i64_e32 vcc, v[2:3], v[10:11]
	v_cndmask_b32_e64 v7, 0, 1, vcc
	v_cmp_gt_i64_e32 vcc, v[2:3], v[12:13]
	v_cndmask_b32_e64 v8, 0, 1, vcc
	;; [unrolled: 5-line block ×8, first 2 shown]
	v_add_co_u32_e32 v1, vcc, v4, v1
	v_addc_co_u32_e32 v4, vcc, 0, v5, vcc
	v_add_co_u32_e32 v1, vcc, v1, v6
	v_addc_co_u32_e32 v4, vcc, 0, v4, vcc
	;; [unrolled: 2-line block ×15, first 2 shown]
	s_addk_i32 s5, 0x80
	v_add_co_u32_e32 v4, vcc, v1, v20
	s_cmpk_lg_i32 s5, 0x800
	v_addc_co_u32_e32 v5, vcc, 0, v5, vcc
	s_cbranch_scc1 .LBB152_124
; %bb.125:
	v_mov_b32_e32 v1, s4
	v_add_co_u32_e32 v2, vcc, s30, v2
	v_addc_co_u32_e32 v3, vcc, v3, v1, vcc
	v_lshlrev_b64 v[6:7], 3, v[4:5]
	s_add_i32 s5, 0, 0x800
	v_mov_b32_e32 v1, s37
	v_add_co_u32_e32 v6, vcc, s36, v6
	s_cmp_eq_u32 s33, 0
	v_addc_co_u32_e32 v7, vcc, v1, v7, vcc
	v_lshlrev_b32_e32 v1, 2, v0
	v_lshlrev_b32_e32 v0, 6, v0
	v_add_u32_e32 v12, s5, v0
	s_cselect_b32 s4, 1, 2
	s_cselect_b32 s5, 2, 1
	global_store_dwordx2 v[6:7], v[2:3], off
	v_add_u32_e32 v2, 0, v0
	v_or_b32_e32 v0, s4, v1
	v_or_b32_e32 v1, s5, v1
	v_lshl_add_u32 v0, v0, 4, 0
	v_lshl_add_u32 v1, v1, 4, 0
	v_add_u32_e32 v8, 0x800, v2
	v_lshlrev_b64 v[16:17], 6, v[4:5]
	v_add_u32_e32 v0, 0x800, v0
	v_add_u32_e32 v4, 0x800, v1
	ds_read2_b64 v[0:3], v0 offset1:1
	ds_read2_b64 v[4:7], v4 offset1:1
	;; [unrolled: 1-line block ×3, first 2 shown]
	ds_read2_b64 v[12:15], v12 offset0:6 offset1:7
	v_mov_b32_e32 v18, s39
	v_add_co_u32_e32 v16, vcc, s38, v16
	v_addc_co_u32_e32 v17, vcc, v18, v17, vcc
	s_waitcnt lgkmcnt(1)
	global_store_dwordx4 v[16:17], v[8:11], off
	global_store_dwordx4 v[16:17], v[0:3], off offset:16
	global_store_dwordx4 v[16:17], v[4:7], off offset:32
	s_waitcnt lgkmcnt(0)
	global_store_dwordx4 v[16:17], v[12:15], off offset:48
.LBB152_126:
	s_endpgm
	.section	.rodata,"a",@progbits
	.p2align	6, 0x0
	.amdhsa_kernel _ZN9rocsparseL30bsrgemm_fill_block_per_row_2x2ILj256ELj16ELj256ELj137Ell21rocsparse_complex_numIdEEEv20rocsparse_direction_T4_S4_PKS4_S6_NS_24const_host_device_scalarIT5_EEPKT3_S6_PKS8_SC_S6_SE_S9_SC_S6_SE_SC_PS4_PS8_21rocsparse_index_base_SH_SH_SH_bbb
		.amdhsa_group_segment_fixed_size 0
		.amdhsa_private_segment_fixed_size 24
		.amdhsa_kernarg_size 188
		.amdhsa_user_sgpr_count 8
		.amdhsa_user_sgpr_private_segment_buffer 1
		.amdhsa_user_sgpr_dispatch_ptr 0
		.amdhsa_user_sgpr_queue_ptr 0
		.amdhsa_user_sgpr_kernarg_segment_ptr 1
		.amdhsa_user_sgpr_dispatch_id 0
		.amdhsa_user_sgpr_flat_scratch_init 1
		.amdhsa_user_sgpr_kernarg_preload_length 0
		.amdhsa_user_sgpr_kernarg_preload_offset 0
		.amdhsa_user_sgpr_private_segment_size 0
		.amdhsa_uses_dynamic_stack 0
		.amdhsa_system_sgpr_private_segment_wavefront_offset 1
		.amdhsa_system_sgpr_workgroup_id_x 1
		.amdhsa_system_sgpr_workgroup_id_y 0
		.amdhsa_system_sgpr_workgroup_id_z 0
		.amdhsa_system_sgpr_workgroup_info 0
		.amdhsa_system_vgpr_workitem_id 0
		.amdhsa_next_free_vgpr 66
		.amdhsa_next_free_sgpr 65
		.amdhsa_accum_offset 68
		.amdhsa_reserve_vcc 1
		.amdhsa_reserve_flat_scratch 1
		.amdhsa_float_round_mode_32 0
		.amdhsa_float_round_mode_16_64 0
		.amdhsa_float_denorm_mode_32 3
		.amdhsa_float_denorm_mode_16_64 3
		.amdhsa_dx10_clamp 1
		.amdhsa_ieee_mode 1
		.amdhsa_fp16_overflow 0
		.amdhsa_tg_split 0
		.amdhsa_exception_fp_ieee_invalid_op 0
		.amdhsa_exception_fp_denorm_src 0
		.amdhsa_exception_fp_ieee_div_zero 0
		.amdhsa_exception_fp_ieee_overflow 0
		.amdhsa_exception_fp_ieee_underflow 0
		.amdhsa_exception_fp_ieee_inexact 0
		.amdhsa_exception_int_div_zero 0
	.end_amdhsa_kernel
	.section	.text._ZN9rocsparseL30bsrgemm_fill_block_per_row_2x2ILj256ELj16ELj256ELj137Ell21rocsparse_complex_numIdEEEv20rocsparse_direction_T4_S4_PKS4_S6_NS_24const_host_device_scalarIT5_EEPKT3_S6_PKS8_SC_S6_SE_S9_SC_S6_SE_SC_PS4_PS8_21rocsparse_index_base_SH_SH_SH_bbb,"axG",@progbits,_ZN9rocsparseL30bsrgemm_fill_block_per_row_2x2ILj256ELj16ELj256ELj137Ell21rocsparse_complex_numIdEEEv20rocsparse_direction_T4_S4_PKS4_S6_NS_24const_host_device_scalarIT5_EEPKT3_S6_PKS8_SC_S6_SE_S9_SC_S6_SE_SC_PS4_PS8_21rocsparse_index_base_SH_SH_SH_bbb,comdat
.Lfunc_end152:
	.size	_ZN9rocsparseL30bsrgemm_fill_block_per_row_2x2ILj256ELj16ELj256ELj137Ell21rocsparse_complex_numIdEEEv20rocsparse_direction_T4_S4_PKS4_S6_NS_24const_host_device_scalarIT5_EEPKT3_S6_PKS8_SC_S6_SE_S9_SC_S6_SE_SC_PS4_PS8_21rocsparse_index_base_SH_SH_SH_bbb, .Lfunc_end152-_ZN9rocsparseL30bsrgemm_fill_block_per_row_2x2ILj256ELj16ELj256ELj137Ell21rocsparse_complex_numIdEEEv20rocsparse_direction_T4_S4_PKS4_S6_NS_24const_host_device_scalarIT5_EEPKT3_S6_PKS8_SC_S6_SE_S9_SC_S6_SE_SC_PS4_PS8_21rocsparse_index_base_SH_SH_SH_bbb
                                        ; -- End function
	.section	.AMDGPU.csdata,"",@progbits
; Kernel info:
; codeLenInByte = 4632
; NumSgprs: 71
; NumVgprs: 66
; NumAgprs: 0
; TotalNumVgprs: 66
; ScratchSize: 24
; MemoryBound: 0
; FloatMode: 240
; IeeeMode: 1
; LDSByteSize: 0 bytes/workgroup (compile time only)
; SGPRBlocks: 8
; VGPRBlocks: 8
; NumSGPRsForWavesPerEU: 71
; NumVGPRsForWavesPerEU: 66
; AccumOffset: 68
; Occupancy: 7
; WaveLimiterHint : 1
; COMPUTE_PGM_RSRC2:SCRATCH_EN: 1
; COMPUTE_PGM_RSRC2:USER_SGPR: 8
; COMPUTE_PGM_RSRC2:TRAP_HANDLER: 0
; COMPUTE_PGM_RSRC2:TGID_X_EN: 1
; COMPUTE_PGM_RSRC2:TGID_Y_EN: 0
; COMPUTE_PGM_RSRC2:TGID_Z_EN: 0
; COMPUTE_PGM_RSRC2:TIDIG_COMP_CNT: 0
; COMPUTE_PGM_RSRC3_GFX90A:ACCUM_OFFSET: 16
; COMPUTE_PGM_RSRC3_GFX90A:TG_SPLIT: 0
	.section	.text._ZN9rocsparseL38bsrgemm_block_per_row_atomic_multipassILj256ELj256ELj2Ell21rocsparse_complex_numIdEEEv20rocsparse_direction_T3_S4_PKS4_S6_NS_24const_host_device_scalarIT4_EEPKT2_S6_PKS8_SC_S6_SE_S9_SC_S6_SE_SC_PS4_PS8_PSA_21rocsparse_index_base_SI_SI_SI_bbb,"axG",@progbits,_ZN9rocsparseL38bsrgemm_block_per_row_atomic_multipassILj256ELj256ELj2Ell21rocsparse_complex_numIdEEEv20rocsparse_direction_T3_S4_PKS4_S6_NS_24const_host_device_scalarIT4_EEPKT2_S6_PKS8_SC_S6_SE_S9_SC_S6_SE_SC_PS4_PS8_PSA_21rocsparse_index_base_SI_SI_SI_bbb,comdat
	.globl	_ZN9rocsparseL38bsrgemm_block_per_row_atomic_multipassILj256ELj256ELj2Ell21rocsparse_complex_numIdEEEv20rocsparse_direction_T3_S4_PKS4_S6_NS_24const_host_device_scalarIT4_EEPKT2_S6_PKS8_SC_S6_SE_S9_SC_S6_SE_SC_PS4_PS8_PSA_21rocsparse_index_base_SI_SI_SI_bbb ; -- Begin function _ZN9rocsparseL38bsrgemm_block_per_row_atomic_multipassILj256ELj256ELj2Ell21rocsparse_complex_numIdEEEv20rocsparse_direction_T3_S4_PKS4_S6_NS_24const_host_device_scalarIT4_EEPKT2_S6_PKS8_SC_S6_SE_S9_SC_S6_SE_SC_PS4_PS8_PSA_21rocsparse_index_base_SI_SI_SI_bbb
	.p2align	8
	.type	_ZN9rocsparseL38bsrgemm_block_per_row_atomic_multipassILj256ELj256ELj2Ell21rocsparse_complex_numIdEEEv20rocsparse_direction_T3_S4_PKS4_S6_NS_24const_host_device_scalarIT4_EEPKT2_S6_PKS8_SC_S6_SE_S9_SC_S6_SE_SC_PS4_PS8_PSA_21rocsparse_index_base_SI_SI_SI_bbb,@function
_ZN9rocsparseL38bsrgemm_block_per_row_atomic_multipassILj256ELj256ELj2Ell21rocsparse_complex_numIdEEEv20rocsparse_direction_T3_S4_PKS4_S6_NS_24const_host_device_scalarIT4_EEPKT2_S6_PKS8_SC_S6_SE_S9_SC_S6_SE_SC_PS4_PS8_PSA_21rocsparse_index_base_SI_SI_SI_bbb: ; @_ZN9rocsparseL38bsrgemm_block_per_row_atomic_multipassILj256ELj256ELj2Ell21rocsparse_complex_numIdEEEv20rocsparse_direction_T3_S4_PKS4_S6_NS_24const_host_device_scalarIT4_EEPKT2_S6_PKS8_SC_S6_SE_S9_SC_S6_SE_SC_PS4_PS8_PSA_21rocsparse_index_base_SI_SI_SI_bbb
; %bb.0:
	s_add_u32 flat_scratch_lo, s6, s9
	s_addc_u32 flat_scratch_hi, s7, 0
	s_add_u32 s0, s0, s9
	s_load_dword s9, s[4:5], 0xc0
	s_load_dwordx4 s[52:55], s[4:5], 0xb0
	s_load_dwordx4 s[16:19], s[4:5], 0x28
	;; [unrolled: 1-line block ×3, first 2 shown]
	s_addc_u32 s1, s1, 0
	s_waitcnt lgkmcnt(0)
	s_bitcmp1_b32 s9, 0
	s_cselect_b64 s[20:21], -1, 0
	s_bitcmp1_b32 s9, 16
	v_mov_b32_e32 v1, s17
	s_cselect_b64 s[6:7], -1, 0
	buffer_store_dword v1, off, s[0:3], 0 offset:4
	v_mov_b32_e32 v1, s16
	s_xor_b64 s[10:11], s[6:7], -1
	buffer_store_dword v1, off, s[0:3], 0
	v_mov_b32_e32 v1, s13
	v_pk_mov_b32 v[6:7], 0, 0
	buffer_store_dword v1, off, s[0:3], 0 offset:12
	v_mov_b32_e32 v1, s12
	s_bitcmp0_b32 s9, 0
	v_pk_mov_b32 v[4:5], v[6:7], v[6:7] op_sel:[0,1]
	v_pk_mov_b32 v[8:9], v[6:7], v[6:7] op_sel:[0,1]
	buffer_store_dword v1, off, s[0:3], 0 offset:8
	s_cbranch_scc1 .LBB153_3
; %bb.1:
	s_mov_b64 s[22:23], src_private_base
	s_and_b64 s[24:25], s[6:7], exec
	s_cselect_b32 s22, s23, s17
	v_mov_b32_e32 v1, 0
	v_mov_b32_e32 v2, s16
	v_cndmask_b32_e64 v2, v2, v1, s[6:7]
	v_mov_b32_e32 v3, s22
	flat_load_dwordx2 v[4:5], v[2:3]
	s_andn2_b64 vcc, exec, s[10:11]
	v_pk_mov_b32 v[8:9], s[18:19], s[18:19] op_sel:[0,1]
	s_cbranch_vccnz .LBB153_3
; %bb.2:
	v_pk_mov_b32 v[2:3], s[16:17], s[16:17] op_sel:[0,1]
	flat_load_dwordx2 v[8:9], v[2:3] offset:8
.LBB153_3:
	s_load_dwordx2 s[16:17], s[4:5], 0x20
	s_bitcmp1_b32 s9, 8
	s_cselect_b64 s[34:35], -1, 0
	s_bfe_u32 s9, s9, 0x10008
	s_cmp_eq_u32 s9, 0
	v_pk_mov_b32 v[10:11], v[6:7], v[6:7] op_sel:[0,1]
	s_cbranch_scc1 .LBB153_6
; %bb.4:
	s_mov_b64 s[18:19], src_private_base
	s_and_b64 s[22:23], s[6:7], exec
	s_cselect_b32 s9, s19, s13
	v_mov_b32_e32 v1, 8
	v_mov_b32_e32 v2, s12
	v_cndmask_b32_e64 v2, v2, v1, s[6:7]
	v_mov_b32_e32 v3, s9
	flat_load_dwordx2 v[10:11], v[2:3]
	s_andn2_b64 vcc, exec, s[10:11]
	v_pk_mov_b32 v[6:7], s[14:15], s[14:15] op_sel:[0,1]
	s_cbranch_vccnz .LBB153_6
; %bb.5:
	v_pk_mov_b32 v[2:3], s[12:13], s[12:13] op_sel:[0,1]
	flat_load_dwordx2 v[6:7], v[2:3] offset:8
.LBB153_6:
	s_load_dwordx2 s[10:11], s[4:5], 0x38
	s_waitcnt lgkmcnt(0)
	s_cmp_eq_u64 s[16:17], 0
	s_mov_b32 s9, 0
	s_cbranch_scc1 .LBB153_8
; %bb.7:
	s_load_dwordx2 s[6:7], s[4:5], 0x18
	s_waitcnt lgkmcnt(0)
	s_load_dwordx2 s[6:7], s[6:7], 0x0
	s_waitcnt lgkmcnt(0)
	s_lshl_b64 s[6:7], s[6:7], 3
	s_add_u32 s12, s16, s6
	s_addc_u32 s13, s17, s7
	s_lshl_b64 s[6:7], s[8:9], 3
	s_add_u32 s6, s12, s6
	s_addc_u32 s7, s13, s7
	s_load_dwordx2 s[8:9], s[6:7], 0x0
.LBB153_8:
	v_cndmask_b32_e64 v1, 0, 1, s[20:21]
	s_mov_b64 s[12:13], 0
                                        ; implicit-def: $vgpr82 : SGPR spill to VGPR lane
	s_mov_b64 s[64:65], 0
	v_cmp_ne_u32_e64 s[6:7], 1, v1
	s_andn2_b64 vcc, exec, s[20:21]
	v_writelane_b32 v82, s12, 0
	v_writelane_b32 v82, s13, 1
	s_cbranch_vccz .LBB153_11
; %bb.9:
	s_and_b64 vcc, exec, s[6:7]
	s_cbranch_vccz .LBB153_12
.LBB153_10:
	s_load_dwordx4 s[56:59], s[4:5], 0x8
	s_waitcnt lgkmcnt(0)
	v_cmp_lt_i64_e64 s[6:7], s[56:57], 1
	s_and_b64 vcc, exec, s[6:7]
	s_cbranch_vccz .LBB153_13
	s_branch .LBB153_99
.LBB153_11:
	s_waitcnt lgkmcnt(0)
	s_lshl_b64 s[12:13], s[8:9], 3
	s_add_u32 s12, s10, s12
	s_addc_u32 s13, s11, s13
	s_load_dwordx2 s[12:13], s[12:13], 0x0
	s_waitcnt lgkmcnt(0)
	s_sub_u32 s12, s12, s52
	s_subb_u32 s13, s13, 0
	v_writelane_b32 v82, s12, 0
	v_writelane_b32 v82, s13, 1
	s_and_b64 vcc, exec, s[6:7]
	s_cbranch_vccnz .LBB153_10
.LBB153_12:
	s_waitcnt lgkmcnt(0)
	s_lshl_b64 s[6:7], s[8:9], 3
	s_add_u32 s6, s10, s6
	s_addc_u32 s7, s11, s7
	s_load_dwordx2 s[6:7], s[6:7], 0x8
	s_waitcnt lgkmcnt(0)
	s_sub_u32 s64, s6, s52
	s_subb_u32 s65, s7, 0
	s_load_dwordx4 s[56:59], s[4:5], 0x8
	s_waitcnt lgkmcnt(0)
	v_cmp_lt_i64_e64 s[6:7], s[56:57], 1
	s_and_b64 vcc, exec, s[6:7]
	s_cbranch_vccnz .LBB153_99
.LBB153_13:
	s_load_dwordx2 s[68:69], s[4:5], 0xa8
	s_load_dwordx4 s[60:63], s[4:5], 0x98
	s_load_dwordx8 s[36:43], s[4:5], 0x78
	s_load_dwordx2 s[30:31], s[4:5], 0x60
	s_load_dwordx8 s[44:51], s[4:5], 0x40
	s_lshl_b64 s[10:11], s[8:9], 3
	v_readlane_b32 s8, v82, 0
	s_waitcnt lgkmcnt(0)
	s_add_u32 s6, s42, s10
	s_addc_u32 s7, s43, s11
	s_load_dwordx2 s[6:7], s[6:7], 0x0
	v_pk_mov_b32 v[16:17], s[64:65], s[64:65] op_sel:[0,1]
	v_readlane_b32 s9, v82, 1
	v_cmp_lt_i64_e32 vcc, s[8:9], v[16:17]
	s_mul_i32 s8, s58, s59
	s_waitcnt lgkmcnt(0)
	s_sub_u32 s80, s6, s54
	s_mul_hi_u32 s9, s58, s58
	v_bfe_u32 v2, v0, 1, 1
	s_subb_u32 s81, s7, 0
	s_add_i32 s9, s9, s8
	s_add_i32 s43, s9, s8
	v_mad_u64_u32 v[16:17], s[8:9], v2, s58, 0
	v_mov_b32_e32 v18, v17
	v_mad_u64_u32 v[18:19], s[8:9], v2, s59, v[18:19]
	v_mov_b32_e32 v17, v18
	v_lshlrev_b64 v[18:19], 4, v[16:17]
	v_and_b32_e32 v14, 1, v0
	v_mov_b32_e32 v16, s47
	v_add_co_u32_e64 v20, s[8:9], s46, v18
	v_addc_co_u32_e64 v21, s[8:9], v16, v19, s[8:9]
	v_lshlrev_b32_e32 v16, 4, v14
	v_mov_b32_e32 v13, 0
	v_add_co_u32_e64 v50, s[8:9], v20, v16
	v_mov_b32_e32 v15, v13
	v_mov_b32_e32 v3, v13
	v_addc_co_u32_e64 v51, s[8:9], 0, v21, s[8:9]
	v_mul_lo_u32 v21, v14, s59
	v_mul_lo_u32 v20, v14, s58
	v_cmp_gt_i64_e64 s[14:15], s[58:59], v[14:15]
	v_cmp_gt_i64_e64 s[8:9], s[58:59], v[2:3]
	v_lshlrev_b64 v[20:21], 4, v[20:21]
	v_cmp_gt_u64_e64 s[12:13], s[58:59], v[2:3]
	s_and_b64 s[46:47], s[14:15], s[8:9]
	v_lshlrev_b64 v[22:23], 4, v[2:3]
	v_mov_b32_e32 v3, s63
	v_add_co_u32_e64 v15, s[8:9], s62, v20
	s_load_dword s16, s[4:5], 0x0
	v_addc_co_u32_e64 v24, s[8:9], v3, v21, s[8:9]
	v_add_co_u32_e64 v25, s[8:9], v15, v22
	v_addc_co_u32_e64 v15, s[8:9], v24, v23, s[8:9]
	v_add_co_u32_e64 v24, s[8:9], s62, v18
	v_addc_co_u32_e64 v3, s[8:9], v3, v19, s[8:9]
	s_waitcnt lgkmcnt(0)
	s_cmp_eq_u32 s16, 0
	v_add_co_u32_e64 v24, s[8:9], v24, v16
	v_lshrrev_b32_e32 v12, 2, v0
	v_addc_co_u32_e64 v3, s[8:9], 0, v3, s[8:9]
	s_cselect_b64 s[28:29], -1, 0
	s_cmp_lg_u32 s16, 0
	s_cselect_b64 s[62:63], -1, 0
	s_add_u32 s36, s36, s10
	v_subrev_co_u32_e64 v53, s[8:9], s55, v12
	s_mul_i32 s42, s58, s58
	s_addc_u32 s37, s37, s11
	v_subb_co_u32_e64 v54, s[8:9], 0, 0, s[8:9]
	v_mov_b32_e32 v26, s41
	v_add_co_u32_e64 v20, s[8:9], s40, v20
	v_writelane_b32 v82, s36, 2
	v_writelane_b32 v82, s37, 3
	;; [unrolled: 1-line block ×4, first 2 shown]
	v_addc_co_u32_e64 v21, s[8:9], v26, v21, s[8:9]
	v_writelane_b32 v82, s40, 6
	v_add_co_u32_e64 v20, s[8:9], v20, v22
	v_writelane_b32 v82, s41, 7
	v_addc_co_u32_e64 v21, s[8:9], v21, v23, s[8:9]
	v_writelane_b32 v82, s42, 8
	v_writelane_b32 v82, s43, 9
	v_add_co_u32_e64 v18, s[8:9], s40, v18
	s_and_b64 s[40:41], s[20:21], vcc
	s_and_b64 s[70:71], s[14:15], s[12:13]
	s_mov_b32 s97, s55
	s_add_u32 s55, s48, 8
	s_addc_u32 s99, s49, 0
	s_add_u32 s38, s60, -8
	v_addc_co_u32_e64 v19, s[8:9], v26, v19, s[8:9]
	s_addc_u32 s39, s61, -1
	v_add_co_u32_e64 v22, s[8:9], v18, v16
	s_add_u32 s60, s30, 8
	v_lshlrev_b32_e32 v2, 4, v2
	v_and_b32_e32 v1, 3, v0
	v_addc_co_u32_e64 v19, s[8:9], 0, v19, s[8:9]
	s_addc_u32 s61, s31, 0
	v_lshl_or_b32 v2, v12, 6, v2
	v_cmp_eq_u32_e64 s[8:9], 3, v1
	v_lshlrev_b32_e32 v1, 2, v0
	v_cndmask_b32_e64 v15, v15, v3, s[28:29]
	v_cndmask_b32_e64 v3, v20, v22, s[28:29]
	v_add_u32_e32 v65, 0x4000, v2
	v_mov_b32_e32 v2, s61
	v_add_co_u32_e32 v20, vcc, s60, v16
	v_or_b32_e32 v55, 0x5000, v1
	v_add_u32_e32 v57, 0x4ff8, v1
	v_add_u32_e32 v58, 0x4ff0, v1
	;; [unrolled: 1-line block ×7, first 2 shown]
	v_cndmask_b32_e64 v1, v21, v19, s[28:29]
	v_addc_co_u32_e32 v21, vcc, 0, v2, vcc
	s_movk_i32 s4, 0x100
	v_add_co_u32_e64 v18, s[10:11], -1, v0
	v_mov_b32_e32 v23, 0x5000
	s_movk_i32 s26, 0x7f
	v_add_co_u32_e32 v22, vcc, 8, v3
	v_cmp_gt_u32_e64 s[4:5], s4, v0
	v_cmp_eq_u32_e64 s[6:7], 0, v0
	v_lshlrev_b32_e32 v48, 4, v0
	v_and_b32_e32 v52, 2, v0
	v_lshl_add_u32 v56, v18, 2, v23
	v_cmp_ne_u32_e64 s[12:13], 0, v0
	v_cmp_lt_u32_e64 s[14:15], 1, v0
	v_cmp_lt_u32_e64 s[16:17], 3, v0
	;; [unrolled: 1-line block ×7, first 2 shown]
	v_or_b32_e32 v64, 0xffffff00, v0
	v_addc_co_u32_e32 v23, vcc, 0, v1, vcc
	v_and_b32_e32 v0, 0xfc, v0
	s_mov_b32 s33, 0
	v_and_b32_e32 v2, 0xfe0, v48
	v_add_co_u32_e32 v67, vcc, 64, v53
	v_or3_b32 v1, v0, v52, v14
	v_mov_b32_e32 v26, 0x100
	v_or_b32_e32 v49, 0x4000, v48
	v_mov_b32_e32 v17, v13
	s_mov_b32 s96, s33
	s_mov_b32 s98, s33
	v_cndmask_b32_e64 v18, v25, v24, s[28:29]
	s_lshl_b64 s[72:73], s[58:59], 4
	s_lshl_b64 s[74:75], s[42:43], 4
	v_or_b32_e32 v66, 0x4000, v2
	s_lshl_b64 s[76:77], s[42:43], 10
	v_addc_co_u32_e32 v68, vcc, 0, v54, vcc
	v_lshlrev_b32_e32 v69, 4, v1
	v_or_b32_e32 v70, 0x5000, v0
	s_mov_b64 s[78:79], 0
	v_mov_b32_e32 v27, 0
	v_pk_mov_b32 v[24:25], s[80:81], s[80:81] op_sel:[0,1]
	v_mov_b32_e32 v0, v13
	v_mov_b32_e32 v1, v13
	;; [unrolled: 1-line block ×4, first 2 shown]
	s_movk_i32 s66, 0x2ff
	v_mov_b32_e32 v71, 1
	s_movk_i32 s67, 0xbf
	s_branch .LBB153_15
.LBB153_14:                             ;   in Loop: Header=BB153_15 Depth=1
	s_or_b64 exec, exec, s[28:29]
	s_barrier
	ds_read_b64 v[30:31], v13 offset:21504
	v_ashrrev_i32_e32 v19, 31, v29
	v_add_co_u32_e32 v24, vcc, v24, v29
	v_addc_co_u32_e32 v25, vcc, v25, v19, vcc
	s_waitcnt lgkmcnt(0)
	v_add_co_u32_e32 v26, vcc, 0x100, v30
	v_addc_co_u32_e32 v27, vcc, 0, v31, vcc
	v_cmp_le_i64_e32 vcc, s[56:57], v[30:31]
	v_readfirstlane_b32 s78, v30
	v_readfirstlane_b32 s79, v31
	s_barrier
	s_cbranch_vccnz .LBB153_99
.LBB153_15:                             ; =>This Loop Header: Depth=1
                                        ;     Child Loop BB153_18 Depth 2
                                        ;     Child Loop BB153_24 Depth 2
                                        ;       Child Loop BB153_40 Depth 3
                                        ;         Child Loop BB153_52 Depth 4
                                        ;         Child Loop BB153_48 Depth 4
                                        ;     Child Loop BB153_62 Depth 2
                                        ;     Child Loop BB153_71 Depth 2
	;; [unrolled: 1-line block ×3, first 2 shown]
	s_and_saveexec_b64 s[28:29], s[4:5]
	s_cbranch_execz .LBB153_17
; %bb.16:                               ;   in Loop: Header=BB153_15 Depth=1
	ds_write_b32 v55, v13
.LBB153_17:                             ;   in Loop: Header=BB153_15 Depth=1
	s_or_b64 exec, exec, s[28:29]
	s_mov_b64 s[28:29], 0
	v_mov_b32_e32 v19, v48
	v_mov_b32_e32 v28, v64
.LBB153_18:                             ;   Parent Loop BB153_15 Depth=1
                                        ; =>  This Inner Loop Header: Depth=2
	v_add_u32_e32 v28, 0x100, v28
	v_cmp_lt_u32_e32 vcc, s66, v28
	ds_write_b128 v19, v[0:3]
	s_or_b64 s[28:29], vcc, s[28:29]
	v_add_u32_e32 v19, 0x1000, v19
	s_andn2_b64 exec, exec, s[28:29]
	s_cbranch_execnz .LBB153_18
; %bb.19:                               ;   in Loop: Header=BB153_15 Depth=1
	s_or_b64 exec, exec, s[28:29]
	s_and_saveexec_b64 s[28:29], s[6:7]
	s_cbranch_execz .LBB153_21
; %bb.20:                               ;   in Loop: Header=BB153_15 Depth=1
	v_pk_mov_b32 v[28:29], s[56:57], s[56:57] op_sel:[0,1]
	ds_write_b64 v13, v[28:29] offset:21504
.LBB153_21:                             ;   in Loop: Header=BB153_15 Depth=1
	s_or_b64 exec, exec, s[28:29]
	s_andn2_b64 vcc, exec, s[40:41]
	v_pk_mov_b32 v[28:29], s[56:57], s[56:57] op_sel:[0,1]
	s_waitcnt lgkmcnt(0)
	s_barrier
	s_cbranch_vccnz .LBB153_57
; %bb.22:                               ;   in Loop: Header=BB153_15 Depth=1
	s_cmp_lg_u64 s[78:79], 0
	v_readlane_b32 s82, v82, 0
	s_cselect_b64 s[80:81], -1, 0
	v_pk_mov_b32 v[28:29], s[56:57], s[56:57] op_sel:[0,1]
	v_readlane_b32 s83, v82, 1
	s_branch .LBB153_24
.LBB153_23:                             ;   in Loop: Header=BB153_24 Depth=2
	s_or_b64 exec, exec, s[30:31]
	s_add_u32 s82, s82, 64
	s_addc_u32 s83, s83, 0
	v_pk_mov_b32 v[30:31], s[64:65], s[64:65] op_sel:[0,1]
	v_cmp_lt_i64_e32 vcc, s[82:83], v[30:31]
	s_cbranch_vccz .LBB153_57
.LBB153_24:                             ;   Parent Loop BB153_15 Depth=1
                                        ; =>  This Loop Header: Depth=2
                                        ;       Child Loop BB153_40 Depth 3
                                        ;         Child Loop BB153_52 Depth 4
                                        ;         Child Loop BB153_48 Depth 4
	v_mov_b32_e32 v19, s83
	v_add_co_u32_e32 v30, vcc, s82, v12
	v_addc_co_u32_e32 v31, vcc, 0, v19, vcc
	v_cmp_gt_i64_e64 s[28:29], s[64:65], v[30:31]
	s_barrier
	s_and_saveexec_b64 s[30:31], s[28:29]
	s_cbranch_execz .LBB153_29
; %bb.25:                               ;   in Loop: Header=BB153_24 Depth=2
	s_and_saveexec_b64 s[84:85], s[70:71]
	s_xor_b64 s[84:85], exec, s[84:85]
	s_cbranch_execz .LBB153_27
; %bb.26:                               ;   in Loop: Header=BB153_24 Depth=2
	v_mul_lo_u32 v19, v31, s42
	v_mul_lo_u32 v34, v30, s43
	v_mad_u64_u32 v[32:33], s[86:87], v30, s42, 0
	v_add3_u32 v33, v33, v34, v19
	v_lshlrev_b64 v[32:33], 4, v[32:33]
	v_add_co_u32_e32 v32, vcc, v50, v32
	v_addc_co_u32_e32 v33, vcc, v51, v33, vcc
	global_load_dwordx4 v[32:35], v[32:33], off
	s_waitcnt vmcnt(0)
	ds_write2_b64 v49, v[32:33], v[34:35] offset1:1
.LBB153_27:                             ;   in Loop: Header=BB153_24 Depth=2
	s_andn2_saveexec_b64 s[84:85], s[84:85]
	s_cbranch_execz .LBB153_29
; %bb.28:                               ;   in Loop: Header=BB153_24 Depth=2
	ds_write_b128 v49, v[0:3]
.LBB153_29:                             ;   in Loop: Header=BB153_24 Depth=2
	s_or_b64 exec, exec, s[30:31]
	v_pk_mov_b32 v[32:33], 0, 0
	v_lshlrev_b64 v[30:31], 3, v[30:31]
	s_waitcnt lgkmcnt(0)
	s_barrier
	s_and_saveexec_b64 s[84:85], s[28:29]
	s_cbranch_execz .LBB153_55
; %bb.30:                               ;   in Loop: Header=BB153_24 Depth=2
	v_mov_b32_e32 v19, s45
	v_add_co_u32_e32 v32, vcc, s44, v30
	v_addc_co_u32_e32 v33, vcc, v19, v31, vcc
	global_load_dwordx2 v[34:35], v[32:33], off
	s_and_b64 vcc, exec, s[80:81]
	s_cbranch_vccz .LBB153_32
; %bb.31:                               ;   in Loop: Header=BB153_24 Depth=2
	v_mov_b32_e32 v19, s69
	v_add_co_u32_e32 v32, vcc, s68, v30
	v_addc_co_u32_e32 v33, vcc, v19, v31, vcc
	global_load_dwordx2 v[32:33], v[32:33], off
	s_mov_b64 s[30:31], 0
	s_branch .LBB153_33
.LBB153_32:                             ;   in Loop: Header=BB153_24 Depth=2
	s_mov_b64 s[30:31], -1
                                        ; implicit-def: $vgpr32_vgpr33
.LBB153_33:                             ;   in Loop: Header=BB153_24 Depth=2
	v_mov_b32_e32 v19, s96
	s_waitcnt vmcnt(0)
	v_subrev_co_u32_e32 v34, vcc, s52, v34
	v_subb_co_u32_e32 v35, vcc, v35, v19, vcc
	s_andn2_b64 vcc, exec, s[30:31]
	v_lshlrev_b64 v[34:35], 3, v[34:35]
	s_cbranch_vccnz .LBB153_35
; %bb.34:                               ;   in Loop: Header=BB153_24 Depth=2
	v_mov_b32_e32 v19, s49
	v_add_co_u32_e32 v32, vcc, s48, v34
	v_addc_co_u32_e32 v33, vcc, v19, v35, vcc
	global_load_dwordx2 v[32:33], v[32:33], off
	v_mov_b32_e32 v19, s33
	s_waitcnt vmcnt(0)
	v_subrev_co_u32_e32 v32, vcc, s53, v32
	v_subb_co_u32_e32 v33, vcc, v33, v19, vcc
.LBB153_35:                             ;   in Loop: Header=BB153_24 Depth=2
	v_mov_b32_e32 v19, s99
	v_add_co_u32_e32 v34, vcc, s55, v34
	v_addc_co_u32_e32 v35, vcc, v19, v35, vcc
	global_load_dwordx2 v[34:35], v[34:35], off
	v_mov_b32_e32 v19, s33
	s_waitcnt vmcnt(0)
	v_subrev_co_u32_e32 v34, vcc, s53, v34
	v_subb_co_u32_e32 v35, vcc, v35, v19, vcc
	v_cmp_lt_i64_e32 vcc, v[32:33], v[34:35]
	s_and_saveexec_b64 s[86:87], vcc
	s_cbranch_execz .LBB153_54
; %bb.36:                               ;   in Loop: Header=BB153_24 Depth=2
	v_mad_u64_u32 v[36:37], s[30:31], s72, v32, v[16:17]
	v_mul_lo_u32 v19, s72, v33
	v_mul_lo_u32 v38, s73, v32
	v_add3_u32 v19, v38, v37, v19
	v_pk_mov_b32 v[38:39], s[60:61], s[60:61] op_sel:[0,1]
	v_mul_lo_u32 v40, s59, v36
	v_mul_lo_u32 v19, s58, v19
	v_mad_u64_u32 v[36:37], s[30:31], s58, v36, v[38:39]
	v_add3_u32 v37, v40, v37, v19
	v_mad_u64_u32 v[38:39], s[30:31], s74, v32, v[20:21]
	v_mul_lo_u32 v19, s74, v33
	v_mul_lo_u32 v40, s75, v32
	v_add3_u32 v39, v40, v39, v19
	s_mov_b64 s[88:89], 0
	v_pk_mov_b32 v[40:41], v[32:33], v[32:33] op_sel:[0,1]
	s_branch .LBB153_40
.LBB153_37:                             ;   in Loop: Header=BB153_40 Depth=3
	v_or3_b32 v19, v19, v52, v14
	v_mul_f64 v[46:47], v[44:45], -v[8:9]
	v_lshlrev_b32_e32 v19, 4, v19
	v_fmac_f64_e32 v[46:47], v[4:5], v[42:43]
	v_mul_f64 v[44:45], v[4:5], v[44:45]
	v_fmac_f64_e32 v[44:45], v[8:9], v[42:43]
	ds_add_f64 v19, v[46:47]
	ds_add_f64 v19, v[44:45] offset:8
.LBB153_38:                             ;   in Loop: Header=BB153_40 Depth=3
	s_or_b64 exec, exec, s[92:93]
	s_or_b64 s[30:31], s[30:31], exec
.LBB153_39:                             ;   in Loop: Header=BB153_40 Depth=3
	s_or_b64 exec, exec, s[90:91]
	v_add_co_u32_e32 v40, vcc, 1, v40
	v_addc_co_u32_e32 v41, vcc, 0, v41, vcc
	v_cmp_ge_i64_e32 vcc, v[40:41], v[34:35]
	s_xor_b64 s[30:31], s[30:31], -1
	s_or_b64 s[30:31], s[30:31], vcc
	v_mov_b32_e32 v19, s75
	v_add_co_u32_e32 v36, vcc, s74, v36
	v_addc_co_u32_e32 v37, vcc, v37, v19, vcc
	s_and_b64 s[30:31], exec, s[30:31]
	v_add_co_u32_e32 v38, vcc, s74, v38
	s_or_b64 s[88:89], s[30:31], s[88:89]
	v_addc_co_u32_e32 v39, vcc, v39, v19, vcc
	s_andn2_b64 exec, exec, s[88:89]
	s_cbranch_execz .LBB153_53
.LBB153_40:                             ;   Parent Loop BB153_15 Depth=1
                                        ;     Parent Loop BB153_24 Depth=2
                                        ; =>    This Loop Header: Depth=3
                                        ;         Child Loop BB153_52 Depth 4
                                        ;         Child Loop BB153_48 Depth 4
	v_lshlrev_b64 v[42:43], 3, v[40:41]
	v_mov_b32_e32 v19, s51
	v_add_co_u32_e32 v42, vcc, s50, v42
	v_addc_co_u32_e32 v43, vcc, v19, v43, vcc
	global_load_dwordx2 v[42:43], v[42:43], off
	v_mov_b32_e32 v19, s33
	s_waitcnt vmcnt(0)
	v_subrev_co_u32_e32 v42, vcc, s53, v42
	v_subb_co_u32_e32 v43, vcc, v43, v19, vcc
	v_cmp_gt_i64_e64 s[30:31], s[78:79], v[42:43]
	v_cmp_ge_i64_e32 vcc, v[42:43], v[26:27]
	s_or_b64 s[90:91], s[30:31], vcc
                                        ; implicit-def: $sgpr30_sgpr31
	s_and_saveexec_b64 s[92:93], s[90:91]
	s_xor_b64 s[90:91], exec, s[92:93]
	s_cbranch_execz .LBB153_44
; %bb.41:                               ;   in Loop: Header=BB153_40 Depth=3
	s_mov_b64 s[30:31], -1
	s_and_saveexec_b64 s[92:93], vcc
; %bb.42:                               ;   in Loop: Header=BB153_40 Depth=3
	v_cmp_lt_i64_e32 vcc, v[42:43], v[28:29]
	v_cndmask_b32_e32 v29, v29, v43, vcc
	v_cndmask_b32_e32 v28, v28, v42, vcc
	s_xor_b64 s[30:31], exec, -1
	v_pk_mov_b32 v[32:33], v[40:41], v[40:41] op_sel:[0,1]
; %bb.43:                               ;   in Loop: Header=BB153_40 Depth=3
	s_or_b64 exec, exec, s[92:93]
	s_and_b64 s[30:31], s[30:31], exec
                                        ; implicit-def: $vgpr42_vgpr43
.LBB153_44:                             ;   in Loop: Header=BB153_40 Depth=3
	s_andn2_saveexec_b64 s[90:91], s[90:91]
	s_cbranch_execz .LBB153_39
; %bb.45:                               ;   in Loop: Header=BB153_40 Depth=3
	v_subrev_u32_e32 v19, s78, v42
	v_lshlrev_b32_e32 v19, 2, v19
	ds_write_b32 v19, v71 offset:20480
	s_and_saveexec_b64 s[92:93], s[46:47]
	s_cbranch_execz .LBB153_38
; %bb.46:                               ;   in Loop: Header=BB153_40 Depth=3
	s_andn2_b64 vcc, exec, s[62:63]
	s_cbranch_vccnz .LBB153_50
; %bb.47:                               ;   in Loop: Header=BB153_40 Depth=3
	v_pk_mov_b32 v[42:43], 0, 0
	v_mov_b32_e32 v72, v65
	s_mov_b64 s[94:95], s[58:59]
	v_pk_mov_b32 v[46:47], v[36:37], v[36:37] op_sel:[0,1]
	v_pk_mov_b32 v[44:45], v[42:43], v[42:43] op_sel:[0,1]
.LBB153_48:                             ;   Parent Loop BB153_15 Depth=1
                                        ;     Parent Loop BB153_24 Depth=2
                                        ;       Parent Loop BB153_40 Depth=3
                                        ; =>      This Inner Loop Header: Depth=4
	global_load_dwordx4 v[74:77], v[46:47], off offset:-8
	ds_read_b128 v[78:81], v72
	s_add_u32 s94, s94, -1
	v_add_co_u32_e32 v46, vcc, 16, v46
	s_addc_u32 s95, s95, -1
	v_addc_co_u32_e32 v47, vcc, 0, v47, vcc
	v_add_u32_e32 v72, 32, v72
	s_cmp_lg_u64 s[94:95], 0
	s_waitcnt vmcnt(0) lgkmcnt(0)
	v_fmac_f64_e32 v[42:43], v[78:79], v[74:75]
	v_fmac_f64_e32 v[44:45], v[80:81], v[74:75]
	v_fma_f64 v[42:43], -v[80:81], v[76:77], v[42:43]
	v_fmac_f64_e32 v[44:45], v[78:79], v[76:77]
	s_cbranch_scc1 .LBB153_48
; %bb.49:                               ;   in Loop: Header=BB153_40 Depth=3
	s_branch .LBB153_37
.LBB153_50:                             ;   in Loop: Header=BB153_40 Depth=3
                                        ; implicit-def: $vgpr42_vgpr43
                                        ; implicit-def: $vgpr44_vgpr45
	s_cbranch_execz .LBB153_37
; %bb.51:                               ;   in Loop: Header=BB153_40 Depth=3
	v_pk_mov_b32 v[42:43], 0, 0
	v_mov_b32_e32 v72, v66
	v_pk_mov_b32 v[46:47], v[38:39], v[38:39] op_sel:[0,1]
	s_mov_b64 s[94:95], s[58:59]
	v_pk_mov_b32 v[44:45], v[42:43], v[42:43] op_sel:[0,1]
.LBB153_52:                             ;   Parent Loop BB153_15 Depth=1
                                        ;     Parent Loop BB153_24 Depth=2
                                        ;       Parent Loop BB153_40 Depth=3
                                        ; =>      This Inner Loop Header: Depth=4
	global_load_dwordx4 v[74:77], v[46:47], off offset:-8
	ds_read_b128 v[78:81], v72
	s_add_u32 s94, s94, -1
	v_mov_b32_e32 v73, s73
	v_add_co_u32_e32 v46, vcc, s72, v46
	s_addc_u32 s95, s95, -1
	v_add_u32_e32 v72, 16, v72
	v_addc_co_u32_e32 v47, vcc, v47, v73, vcc
	s_cmp_eq_u64 s[94:95], 0
	s_waitcnt vmcnt(0) lgkmcnt(0)
	v_fmac_f64_e32 v[42:43], v[78:79], v[74:75]
	v_fmac_f64_e32 v[44:45], v[80:81], v[74:75]
	v_fma_f64 v[42:43], -v[80:81], v[76:77], v[42:43]
	v_fmac_f64_e32 v[44:45], v[78:79], v[76:77]
	s_cbranch_scc0 .LBB153_52
	s_branch .LBB153_37
.LBB153_53:                             ;   in Loop: Header=BB153_24 Depth=2
	s_or_b64 exec, exec, s[88:89]
.LBB153_54:                             ;   in Loop: Header=BB153_24 Depth=2
	s_or_b64 exec, exec, s[86:87]
.LBB153_55:                             ;   in Loop: Header=BB153_24 Depth=2
	s_or_b64 exec, exec, s[84:85]
	s_waitcnt lgkmcnt(0)
	s_barrier
	s_and_saveexec_b64 s[30:31], s[28:29]
	s_cbranch_execz .LBB153_23
; %bb.56:                               ;   in Loop: Header=BB153_24 Depth=2
	v_mov_b32_e32 v19, s69
	v_add_co_u32_e32 v30, vcc, s68, v30
	v_addc_co_u32_e32 v31, vcc, v19, v31, vcc
	global_store_dwordx2 v[30:31], v[32:33], off
	s_branch .LBB153_23
.LBB153_57:                             ;   in Loop: Header=BB153_15 Depth=1
	s_andn2_b64 vcc, exec, s[34:35]
	s_cbranch_vccnz .LBB153_69
; %bb.58:                               ;   in Loop: Header=BB153_15 Depth=1
	s_load_dwordx4 s[28:31], s[36:37], 0x0
	s_waitcnt lgkmcnt(0)
	s_sub_u32 s30, s30, s97
	v_mov_b32_e32 v19, s29
	v_add_co_u32_e32 v34, vcc, s28, v53
	s_subb_u32 s31, s31, 0
	v_addc_co_u32_e32 v35, vcc, v19, v54, vcc
	v_cmp_gt_i64_e32 vcc, s[30:31], v[34:35]
	s_and_saveexec_b64 s[80:81], vcc
	s_cbranch_execz .LBB153_68
; %bb.59:                               ;   in Loop: Header=BB153_15 Depth=1
	v_readlane_b32 s84, v82, 2
	v_readlane_b32 s86, v82, 4
	;; [unrolled: 1-line block ×3, first 2 shown]
	v_lshlrev_b64 v[30:31], 3, v[34:35]
	s_mov_b64 s[82:83], s[86:87]
	v_mov_b32_e32 v19, s83
	v_add_co_u32_e32 v30, vcc, s82, v30
	v_addc_co_u32_e32 v31, vcc, v19, v31, vcc
	v_mad_u64_u32 v[32:33], s[82:83], s74, v34, v[22:23]
	v_mul_lo_u32 v19, s74, v35
	v_mul_lo_u32 v34, s75, v34
	v_add3_u32 v33, v34, v33, v19
	v_mov_b32_e32 v19, s29
	v_add_co_u32_e32 v34, vcc, s28, v67
	v_addc_co_u32_e32 v35, vcc, v68, v19, vcc
	s_mov_b64 s[82:83], 0
	v_readlane_b32 s85, v82, 3
	v_readlane_b32 s88, v82, 6
	;; [unrolled: 1-line block ×5, first 2 shown]
	s_branch .LBB153_62
.LBB153_60:                             ;   in Loop: Header=BB153_62 Depth=2
	s_or_b64 exec, exec, s[86:87]
	s_or_b64 s[28:29], s[28:29], exec
.LBB153_61:                             ;   in Loop: Header=BB153_62 Depth=2
	s_or_b64 exec, exec, s[84:85]
	v_cmp_le_i64_e32 vcc, s[30:31], v[34:35]
	s_xor_b64 s[28:29], s[28:29], -1
	s_or_b64 s[28:29], s[28:29], vcc
	v_add_co_u32_e32 v30, vcc, 0x200, v30
	v_addc_co_u32_e32 v31, vcc, 0, v31, vcc
	v_mov_b32_e32 v19, s77
	v_add_co_u32_e32 v32, vcc, s76, v32
	v_addc_co_u32_e32 v33, vcc, v33, v19, vcc
	s_and_b64 s[28:29], exec, s[28:29]
	v_add_co_u32_e32 v34, vcc, 64, v34
	s_or_b64 s[82:83], s[28:29], s[82:83]
	v_addc_co_u32_e32 v35, vcc, 0, v35, vcc
	s_andn2_b64 exec, exec, s[82:83]
	s_cbranch_execz .LBB153_67
.LBB153_62:                             ;   Parent Loop BB153_15 Depth=1
                                        ; =>  This Inner Loop Header: Depth=2
	global_load_dwordx2 v[36:37], v[30:31], off
	v_mov_b32_e32 v19, s98
	s_waitcnt vmcnt(0)
	v_subrev_co_u32_e32 v36, vcc, s97, v36
	v_subb_co_u32_e32 v37, vcc, v37, v19, vcc
	v_cmp_lt_i64_e32 vcc, v[36:37], v[26:27]
	v_cmp_gt_i64_e64 s[28:29], s[78:79], v[36:37]
	s_xor_b64 s[84:85], vcc, -1
	s_or_b64 s[84:85], s[28:29], s[84:85]
                                        ; implicit-def: $sgpr28_sgpr29
	s_and_saveexec_b64 s[86:87], s[84:85]
	s_xor_b64 s[84:85], exec, s[86:87]
; %bb.63:                               ;   in Loop: Header=BB153_62 Depth=2
	v_cmp_lt_i64_e64 s[28:29], v[36:37], v[28:29]
	v_cndmask_b32_e64 v19, v28, v36, s[28:29]
	v_cndmask_b32_e64 v36, v29, v37, s[28:29]
	v_cndmask_b32_e32 v29, v36, v29, vcc
	v_cndmask_b32_e32 v28, v19, v28, vcc
	s_and_b64 s[28:29], vcc, exec
                                        ; implicit-def: $vgpr36
; %bb.64:                               ;   in Loop: Header=BB153_62 Depth=2
	s_andn2_saveexec_b64 s[84:85], s[84:85]
	s_cbranch_execz .LBB153_61
; %bb.65:                               ;   in Loop: Header=BB153_62 Depth=2
	v_subrev_u32_e32 v19, s78, v36
	v_lshlrev_b32_e32 v19, 2, v19
	ds_write_b32 v19, v71 offset:20480
	s_and_saveexec_b64 s[86:87], s[70:71]
	s_cbranch_execz .LBB153_60
; %bb.66:                               ;   in Loop: Header=BB153_62 Depth=2
	global_load_dwordx4 v[36:39], v[32:33], off offset:-8
	v_or3_b32 v19, v19, v52, v14
	v_lshlrev_b32_e32 v19, 4, v19
	s_waitcnt vmcnt(0)
	v_mul_f64 v[40:41], v[38:39], -v[6:7]
	v_mul_f64 v[38:39], v[10:11], v[38:39]
	v_fmac_f64_e32 v[40:41], v[10:11], v[36:37]
	v_fmac_f64_e32 v[38:39], v[6:7], v[36:37]
	ds_add_f64 v19, v[40:41]
	ds_add_f64 v19, v[38:39] offset:8
	s_branch .LBB153_60
.LBB153_67:                             ;   in Loop: Header=BB153_15 Depth=1
	s_or_b64 exec, exec, s[82:83]
.LBB153_68:                             ;   in Loop: Header=BB153_15 Depth=1
	s_or_b64 exec, exec, s[80:81]
.LBB153_69:                             ;   in Loop: Header=BB153_15 Depth=1
	s_and_saveexec_b64 s[28:29], s[8:9]
	s_cbranch_execz .LBB153_74
; %bb.70:                               ;   in Loop: Header=BB153_15 Depth=1
	s_mov_b64 s[80:81], exec
	s_mov_b64 s[30:31], -1
.LBB153_71:                             ;   Parent Loop BB153_15 Depth=1
                                        ; =>  This Inner Loop Header: Depth=2
	s_ff1_i32_b64 s84, s[80:81]
	v_readlane_b32 s85, v29, s84
	v_readlane_b32 s86, v28, s84
	v_mov_b32_e32 v26, s86
	v_mov_b32_e32 v27, s85
	v_cmp_lt_u64_e32 vcc, s[30:31], v[26:27]
	s_and_b64 s[82:83], vcc, exec
	s_cselect_b32 s31, s31, s85
	s_cselect_b32 s30, s30, s86
	s_lshl_b64 s[82:83], 1, s84
	s_andn2_b64 s[80:81], s[80:81], s[82:83]
	s_cmp_lg_u64 s[80:81], 0
	s_cbranch_scc1 .LBB153_71
; %bb.72:                               ;   in Loop: Header=BB153_15 Depth=1
	v_mbcnt_lo_u32_b32 v19, exec_lo, 0
	v_mbcnt_hi_u32_b32 v19, exec_hi, v19
	v_cmp_eq_u32_e32 vcc, 0, v19
	s_and_saveexec_b64 s[80:81], vcc
	s_xor_b64 s[80:81], exec, s[80:81]
	s_cbranch_execz .LBB153_74
; %bb.73:                               ;   in Loop: Header=BB153_15 Depth=1
	v_pk_mov_b32 v[26:27], s[30:31], s[30:31] op_sel:[0,1]
	ds_min_u64 v13, v[26:27] offset:21504
.LBB153_74:                             ;   in Loop: Header=BB153_15 Depth=1
	s_or_b64 exec, exec, s[28:29]
	s_waitcnt lgkmcnt(0)
	s_barrier
	ds_read_b32 v19, v55
	s_waitcnt lgkmcnt(0)
	s_barrier
	s_and_saveexec_b64 s[28:29], s[12:13]
	s_cbranch_execz .LBB153_76
; %bb.75:                               ;   in Loop: Header=BB153_15 Depth=1
	ds_read_b32 v26, v56
	s_waitcnt lgkmcnt(0)
	v_add_u32_e32 v19, v26, v19
.LBB153_76:                             ;   in Loop: Header=BB153_15 Depth=1
	s_or_b64 exec, exec, s[28:29]
	s_barrier
	ds_write_b32 v55, v19
	s_waitcnt lgkmcnt(0)
	s_barrier
	s_and_saveexec_b64 s[28:29], s[14:15]
	s_cbranch_execz .LBB153_78
; %bb.77:                               ;   in Loop: Header=BB153_15 Depth=1
	ds_read_b32 v26, v57
	s_waitcnt lgkmcnt(0)
	v_add_u32_e32 v19, v26, v19
.LBB153_78:                             ;   in Loop: Header=BB153_15 Depth=1
	s_or_b64 exec, exec, s[28:29]
	s_barrier
	ds_write_b32 v55, v19
	;; [unrolled: 12-line block ×8, first 2 shown]
	s_waitcnt lgkmcnt(0)
	s_barrier
	ds_read_b32 v29, v13 offset:21500
	v_mov_b32_e32 v26, 0
	s_and_saveexec_b64 s[28:29], s[10:11]
	s_cbranch_execz .LBB153_92
; %bb.91:                               ;   in Loop: Header=BB153_15 Depth=1
	ds_read_b32 v26, v56
.LBB153_92:                             ;   in Loop: Header=BB153_15 Depth=1
	s_or_b64 exec, exec, s[28:29]
	s_waitcnt lgkmcnt(0)
	v_cmp_eq_u32_e32 vcc, v19, v26
	s_and_b64 s[30:31], s[10:11], vcc
	s_barrier
	s_and_saveexec_b64 s[28:29], s[30:31]
	s_cbranch_execz .LBB153_94
; %bb.93:                               ;   in Loop: Header=BB153_15 Depth=1
	ds_write_b32 v55, v13
.LBB153_94:                             ;   in Loop: Header=BB153_15 Depth=1
	s_or_b64 exec, exec, s[28:29]
	v_add_co_u32_e32 v30, vcc, -1, v24
	s_add_u32 s78, s54, s78
	v_addc_co_u32_e32 v31, vcc, -1, v25, vcc
	s_addc_u32 s79, 0, s79
	s_mov_b64 s[28:29], 0
	v_mov_b32_e32 v32, v70
	v_mov_b32_e32 v33, v69
	v_pk_mov_b32 v[26:27], v[12:13], v[12:13] op_sel:[0,1]
	s_waitcnt lgkmcnt(0)
	s_barrier
	s_branch .LBB153_96
.LBB153_95:                             ;   in Loop: Header=BB153_96 Depth=2
	s_or_b64 exec, exec, s[30:31]
	v_add_co_u32_e32 v26, vcc, 64, v26
	v_addc_co_u32_e32 v27, vcc, 0, v27, vcc
	v_subrev_u32_e32 v19, 64, v26
	v_cmp_lt_u32_e32 vcc, s67, v19
	v_add_u32_e32 v33, 0x1000, v33
	s_or_b64 s[28:29], vcc, s[28:29]
	v_add_u32_e32 v32, 0x100, v32
	s_andn2_b64 exec, exec, s[28:29]
	s_cbranch_execz .LBB153_14
.LBB153_96:                             ;   Parent Loop BB153_15 Depth=1
                                        ; =>  This Inner Loop Header: Depth=2
	ds_read_b32 v28, v32
	s_waitcnt lgkmcnt(0)
	v_cmp_ne_u32_e32 vcc, 0, v28
	s_and_saveexec_b64 s[30:31], vcc
	s_cbranch_execz .LBB153_95
; %bb.97:                               ;   in Loop: Header=BB153_96 Depth=2
	v_mov_b32_e32 v35, s79
	v_add_co_u32_e32 v34, vcc, s78, v26
	v_addc_co_u32_e32 v35, vcc, v35, v27, vcc
	v_ashrrev_i32_e32 v19, 31, v28
	v_add_co_u32_e32 v36, vcc, v24, v28
	v_addc_co_u32_e32 v37, vcc, v25, v19, vcc
	v_lshlrev_b64 v[36:37], 3, v[36:37]
	v_mov_b32_e32 v38, s39
	v_add_co_u32_e32 v36, vcc, s38, v36
	v_addc_co_u32_e32 v37, vcc, v38, v37, vcc
	global_store_dwordx2 v[36:37], v[34:35], off
	s_and_b64 exec, exec, s[70:71]
	s_cbranch_execz .LBB153_95
; %bb.98:                               ;   in Loop: Header=BB153_96 Depth=2
	v_add_co_u32_e32 v28, vcc, v30, v28
	v_addc_co_u32_e32 v19, vcc, v31, v19, vcc
	v_mul_lo_u32 v19, v19, s42
	v_mul_lo_u32 v36, v28, s43
	v_mad_u64_u32 v[34:35], s[80:81], v28, s42, 0
	v_add3_u32 v35, v35, v36, v19
	v_lshlrev_b64 v[38:39], 4, v[34:35]
	ds_read2_b64 v[34:37], v33 offset1:1
	v_add_co_u32_e32 v38, vcc, v18, v38
	v_addc_co_u32_e32 v39, vcc, v15, v39, vcc
	s_waitcnt lgkmcnt(0)
	global_store_dwordx4 v[38:39], v[34:37], off
	s_branch .LBB153_95
.LBB153_99:
	s_endpgm
	.section	.rodata,"a",@progbits
	.p2align	6, 0x0
	.amdhsa_kernel _ZN9rocsparseL38bsrgemm_block_per_row_atomic_multipassILj256ELj256ELj2Ell21rocsparse_complex_numIdEEEv20rocsparse_direction_T3_S4_PKS4_S6_NS_24const_host_device_scalarIT4_EEPKT2_S6_PKS8_SC_S6_SE_S9_SC_S6_SE_SC_PS4_PS8_PSA_21rocsparse_index_base_SI_SI_SI_bbb
		.amdhsa_group_segment_fixed_size 21512
		.amdhsa_private_segment_fixed_size 24
		.amdhsa_kernarg_size 196
		.amdhsa_user_sgpr_count 8
		.amdhsa_user_sgpr_private_segment_buffer 1
		.amdhsa_user_sgpr_dispatch_ptr 0
		.amdhsa_user_sgpr_queue_ptr 0
		.amdhsa_user_sgpr_kernarg_segment_ptr 1
		.amdhsa_user_sgpr_dispatch_id 0
		.amdhsa_user_sgpr_flat_scratch_init 1
		.amdhsa_user_sgpr_kernarg_preload_length 0
		.amdhsa_user_sgpr_kernarg_preload_offset 0
		.amdhsa_user_sgpr_private_segment_size 0
		.amdhsa_uses_dynamic_stack 0
		.amdhsa_system_sgpr_private_segment_wavefront_offset 1
		.amdhsa_system_sgpr_workgroup_id_x 1
		.amdhsa_system_sgpr_workgroup_id_y 0
		.amdhsa_system_sgpr_workgroup_id_z 0
		.amdhsa_system_sgpr_workgroup_info 0
		.amdhsa_system_vgpr_workitem_id 0
		.amdhsa_next_free_vgpr 83
		.amdhsa_next_free_sgpr 100
		.amdhsa_accum_offset 84
		.amdhsa_reserve_vcc 1
		.amdhsa_reserve_flat_scratch 1
		.amdhsa_float_round_mode_32 0
		.amdhsa_float_round_mode_16_64 0
		.amdhsa_float_denorm_mode_32 3
		.amdhsa_float_denorm_mode_16_64 3
		.amdhsa_dx10_clamp 1
		.amdhsa_ieee_mode 1
		.amdhsa_fp16_overflow 0
		.amdhsa_tg_split 0
		.amdhsa_exception_fp_ieee_invalid_op 0
		.amdhsa_exception_fp_denorm_src 0
		.amdhsa_exception_fp_ieee_div_zero 0
		.amdhsa_exception_fp_ieee_overflow 0
		.amdhsa_exception_fp_ieee_underflow 0
		.amdhsa_exception_fp_ieee_inexact 0
		.amdhsa_exception_int_div_zero 0
	.end_amdhsa_kernel
	.section	.text._ZN9rocsparseL38bsrgemm_block_per_row_atomic_multipassILj256ELj256ELj2Ell21rocsparse_complex_numIdEEEv20rocsparse_direction_T3_S4_PKS4_S6_NS_24const_host_device_scalarIT4_EEPKT2_S6_PKS8_SC_S6_SE_S9_SC_S6_SE_SC_PS4_PS8_PSA_21rocsparse_index_base_SI_SI_SI_bbb,"axG",@progbits,_ZN9rocsparseL38bsrgemm_block_per_row_atomic_multipassILj256ELj256ELj2Ell21rocsparse_complex_numIdEEEv20rocsparse_direction_T3_S4_PKS4_S6_NS_24const_host_device_scalarIT4_EEPKT2_S6_PKS8_SC_S6_SE_S9_SC_S6_SE_SC_PS4_PS8_PSA_21rocsparse_index_base_SI_SI_SI_bbb,comdat
.Lfunc_end153:
	.size	_ZN9rocsparseL38bsrgemm_block_per_row_atomic_multipassILj256ELj256ELj2Ell21rocsparse_complex_numIdEEEv20rocsparse_direction_T3_S4_PKS4_S6_NS_24const_host_device_scalarIT4_EEPKT2_S6_PKS8_SC_S6_SE_S9_SC_S6_SE_SC_PS4_PS8_PSA_21rocsparse_index_base_SI_SI_SI_bbb, .Lfunc_end153-_ZN9rocsparseL38bsrgemm_block_per_row_atomic_multipassILj256ELj256ELj2Ell21rocsparse_complex_numIdEEEv20rocsparse_direction_T3_S4_PKS4_S6_NS_24const_host_device_scalarIT4_EEPKT2_S6_PKS8_SC_S6_SE_S9_SC_S6_SE_SC_PS4_PS8_PSA_21rocsparse_index_base_SI_SI_SI_bbb
                                        ; -- End function
	.section	.AMDGPU.csdata,"",@progbits
; Kernel info:
; codeLenInByte = 4208
; NumSgprs: 106
; NumVgprs: 83
; NumAgprs: 0
; TotalNumVgprs: 83
; ScratchSize: 24
; MemoryBound: 0
; FloatMode: 240
; IeeeMode: 1
; LDSByteSize: 21512 bytes/workgroup (compile time only)
; SGPRBlocks: 13
; VGPRBlocks: 10
; NumSGPRsForWavesPerEU: 106
; NumVGPRsForWavesPerEU: 83
; AccumOffset: 84
; Occupancy: 3
; WaveLimiterHint : 1
; COMPUTE_PGM_RSRC2:SCRATCH_EN: 1
; COMPUTE_PGM_RSRC2:USER_SGPR: 8
; COMPUTE_PGM_RSRC2:TRAP_HANDLER: 0
; COMPUTE_PGM_RSRC2:TGID_X_EN: 1
; COMPUTE_PGM_RSRC2:TGID_Y_EN: 0
; COMPUTE_PGM_RSRC2:TGID_Z_EN: 0
; COMPUTE_PGM_RSRC2:TIDIG_COMP_CNT: 0
; COMPUTE_PGM_RSRC3_GFX90A:ACCUM_OFFSET: 20
; COMPUTE_PGM_RSRC3_GFX90A:TG_SPLIT: 0
	.section	.text._ZN9rocsparseL23bsrgemm_fill_wf_per_rowILj256ELj64ELj8ELj137ELj4Ell21rocsparse_complex_numIdEEEv20rocsparse_direction_T5_S4_S4_PKS4_S6_NS_24const_host_device_scalarIT6_EEPKT4_S6_PKS8_SC_S6_SE_S9_SC_S6_SE_SC_PS4_PS8_21rocsparse_index_base_SH_SH_SH_bbb,"axG",@progbits,_ZN9rocsparseL23bsrgemm_fill_wf_per_rowILj256ELj64ELj8ELj137ELj4Ell21rocsparse_complex_numIdEEEv20rocsparse_direction_T5_S4_S4_PKS4_S6_NS_24const_host_device_scalarIT6_EEPKT4_S6_PKS8_SC_S6_SE_S9_SC_S6_SE_SC_PS4_PS8_21rocsparse_index_base_SH_SH_SH_bbb,comdat
	.globl	_ZN9rocsparseL23bsrgemm_fill_wf_per_rowILj256ELj64ELj8ELj137ELj4Ell21rocsparse_complex_numIdEEEv20rocsparse_direction_T5_S4_S4_PKS4_S6_NS_24const_host_device_scalarIT6_EEPKT4_S6_PKS8_SC_S6_SE_S9_SC_S6_SE_SC_PS4_PS8_21rocsparse_index_base_SH_SH_SH_bbb ; -- Begin function _ZN9rocsparseL23bsrgemm_fill_wf_per_rowILj256ELj64ELj8ELj137ELj4Ell21rocsparse_complex_numIdEEEv20rocsparse_direction_T5_S4_S4_PKS4_S6_NS_24const_host_device_scalarIT6_EEPKT4_S6_PKS8_SC_S6_SE_S9_SC_S6_SE_SC_PS4_PS8_21rocsparse_index_base_SH_SH_SH_bbb
	.p2align	8
	.type	_ZN9rocsparseL23bsrgemm_fill_wf_per_rowILj256ELj64ELj8ELj137ELj4Ell21rocsparse_complex_numIdEEEv20rocsparse_direction_T5_S4_S4_PKS4_S6_NS_24const_host_device_scalarIT6_EEPKT4_S6_PKS8_SC_S6_SE_S9_SC_S6_SE_SC_PS4_PS8_21rocsparse_index_base_SH_SH_SH_bbb,@function
_ZN9rocsparseL23bsrgemm_fill_wf_per_rowILj256ELj64ELj8ELj137ELj4Ell21rocsparse_complex_numIdEEEv20rocsparse_direction_T5_S4_S4_PKS4_S6_NS_24const_host_device_scalarIT6_EEPKT4_S6_PKS8_SC_S6_SE_S9_SC_S6_SE_SC_PS4_PS8_21rocsparse_index_base_SH_SH_SH_bbb: ; @_ZN9rocsparseL23bsrgemm_fill_wf_per_rowILj256ELj64ELj8ELj137ELj4Ell21rocsparse_complex_numIdEEEv20rocsparse_direction_T5_S4_S4_PKS4_S6_NS_24const_host_device_scalarIT6_EEPKT4_S6_PKS8_SC_S6_SE_S9_SC_S6_SE_SC_PS4_PS8_21rocsparse_index_base_SH_SH_SH_bbb
; %bb.0:
	s_add_u32 flat_scratch_lo, s6, s9
	s_addc_u32 flat_scratch_hi, s7, 0
	s_add_u32 s0, s0, s9
	s_load_dword s9, s[4:5], 0xc0
	s_load_dwordx4 s[16:19], s[4:5], 0x30
	s_load_dwordx4 s[12:15], s[4:5], 0x70
	s_addc_u32 s1, s1, 0
	v_pk_mov_b32 v[6:7], 0, 0
	s_waitcnt lgkmcnt(0)
	s_bitcmp1_b32 s9, 0
	v_mov_b32_e32 v1, s17
	s_cselect_b64 s[52:53], -1, 0
	s_bitcmp1_b32 s9, 16
	buffer_store_dword v1, off, s[0:3], 0 offset:4
	v_mov_b32_e32 v1, s16
	s_cselect_b64 s[6:7], -1, 0
	buffer_store_dword v1, off, s[0:3], 0
	v_mov_b32_e32 v1, s13
	buffer_store_dword v1, off, s[0:3], 0 offset:12
	v_mov_b32_e32 v1, s12
	s_xor_b64 s[10:11], s[6:7], -1
	buffer_store_dword v1, off, s[0:3], 0 offset:8
	v_cndmask_b32_e64 v1, 0, 1, s[10:11]
	s_bitcmp0_b32 s9, 0
	v_cmp_ne_u32_e64 s[10:11], 1, v1
	v_pk_mov_b32 v[14:15], v[6:7], v[6:7] op_sel:[0,1]
	v_pk_mov_b32 v[16:17], v[6:7], v[6:7] op_sel:[0,1]
	s_cbranch_scc1 .LBB154_3
; %bb.1:
	s_mov_b64 s[20:21], src_private_base
	s_and_b64 s[22:23], s[6:7], exec
	s_cselect_b32 s20, s21, s17
	v_mov_b32_e32 v1, 0
	v_mov_b32_e32 v2, s16
	v_cndmask_b32_e64 v2, v2, v1, s[6:7]
	v_mov_b32_e32 v3, s20
	flat_load_dwordx2 v[14:15], v[2:3]
	s_and_b64 vcc, exec, s[10:11]
	v_pk_mov_b32 v[16:17], s[18:19], s[18:19] op_sel:[0,1]
	s_cbranch_vccnz .LBB154_3
; %bb.2:
	v_pk_mov_b32 v[2:3], s[16:17], s[16:17] op_sel:[0,1]
	flat_load_dwordx2 v[16:17], v[2:3] offset:8
.LBB154_3:
	s_load_dwordx4 s[28:31], s[4:5], 0xb0
	s_bitcmp1_b32 s9, 8
	s_cselect_b64 s[34:35], -1, 0
	s_bfe_u32 s9, s9, 0x10008
	s_cmp_eq_u32 s9, 0
	v_pk_mov_b32 v[8:9], v[6:7], v[6:7] op_sel:[0,1]
	s_cbranch_scc1 .LBB154_6
; %bb.4:
	s_mov_b64 s[16:17], src_private_base
	s_and_b64 s[18:19], s[6:7], exec
	s_cselect_b32 s9, s17, s13
	v_mov_b32_e32 v1, 8
	v_mov_b32_e32 v2, s12
	v_cndmask_b32_e64 v2, v2, v1, s[6:7]
	v_mov_b32_e32 v3, s9
	flat_load_dwordx2 v[8:9], v[2:3]
	s_and_b64 vcc, exec, s[10:11]
	v_pk_mov_b32 v[6:7], s[14:15], s[14:15] op_sel:[0,1]
	s_cbranch_vccnz .LBB154_6
; %bb.5:
	v_pk_mov_b32 v[2:3], s[12:13], s[12:13] op_sel:[0,1]
	flat_load_dwordx2 v[6:7], v[2:3] offset:8
.LBB154_6:
	s_load_dwordx4 s[44:47], s[4:5], 0xa0
	s_load_dwordx8 s[20:27], s[4:5], 0x80
	s_load_dwordx4 s[48:51], s[4:5], 0x60
	s_load_dwordx8 s[12:19], s[4:5], 0x8
	s_load_dwordx2 s[6:7], s[4:5], 0x28
	s_load_dwordx8 s[36:43], s[4:5], 0x40
	v_and_b32_e32 v1, 63, v0
	v_and_b32_e32 v2, 0xc0, v0
	v_lshrrev_b32_e32 v45, 6, v0
	v_or_b32_e32 v44, 0x2000, v2
	v_cmp_gt_u32_e32 vcc, 8, v1
	s_and_saveexec_b64 s[10:11], vcc
	s_cbranch_execz .LBB154_8
; %bb.7:
	v_lshl_add_u32 v4, v1, 3, v44
	s_waitcnt lgkmcnt(0)
	v_pk_mov_b32 v[2:3], s[14:15], s[14:15] op_sel:[0,1]
	ds_write_b64 v4, v[2:3]
.LBB154_8:
	s_or_b64 exec, exec, s[10:11]
	v_lshlrev_b32_e32 v46, 11, v45
	v_mov_b32_e32 v2, 0
	v_or_b32_e32 v10, 0xffffffc0, v1
	v_lshl_or_b32 v11, v1, 4, v46
	s_mov_b64 s[10:11], 0
	v_mov_b32_e32 v3, v2
	v_mov_b32_e32 v4, v2
	;; [unrolled: 1-line block ×3, first 2 shown]
.LBB154_9:                              ; =>This Inner Loop Header: Depth=1
	v_add_co_u32_e32 v10, vcc, 64, v10
	s_xor_b64 s[54:55], vcc, -1
	s_and_b64 s[54:55], exec, s[54:55]
	ds_write_b128 v11, v[2:5]
	s_or_b64 s[10:11], s[54:55], s[10:11]
	v_add_u32_e32 v11, 0x400, v11
	s_andn2_b64 exec, exec, s[10:11]
	s_cbranch_execnz .LBB154_9
; %bb.10:
	s_or_b64 exec, exec, s[10:11]
	v_lshl_or_b32 v2, s8, 2, v45
	v_mov_b32_e32 v3, 0
	s_waitcnt lgkmcnt(0)
	v_cmp_gt_i64_e32 vcc, s[12:13], v[2:3]
	s_barrier
	s_and_saveexec_b64 s[8:9], vcc
	s_cbranch_execz .LBB154_64
; %bb.11:
	s_cmp_eq_u64 s[6:7], 0
	s_cbranch_scc1 .LBB154_13
; %bb.12:
	s_load_dwordx2 s[8:9], s[18:19], 0x0
	v_lshlrev_b64 v[2:3], 3, v[2:3]
	s_waitcnt lgkmcnt(0)
	s_lshl_b64 s[8:9], s[8:9], 3
	s_add_u32 s6, s6, s8
	s_addc_u32 s7, s7, s9
	v_mov_b32_e32 v4, s7
	v_add_co_u32_e32 v2, vcc, s6, v2
	v_addc_co_u32_e32 v3, vcc, v4, v3, vcc
	global_load_dwordx2 v[2:3], v[2:3], off
.LBB154_13:
	s_load_dword s69, s[4:5], 0x0
	v_lshrrev_b32_e32 v47, 4, v1
	v_and_b32_e32 v4, 3, v0
	v_bfe_u32 v10, v0, 2, 2
	s_andn2_b64 vcc, exec, s[52:53]
	s_waitcnt vmcnt(0)
	v_lshlrev_b64 v[12:13], 3, v[2:3]
	s_mul_i32 s33, s16, s17
	s_mul_hi_u32 s68, s16, s16
	s_mul_i32 s8, s16, s16
	s_cbranch_vccnz .LBB154_41
; %bb.14:
	v_mov_b32_e32 v1, s37
	v_add_co_u32_e32 v0, vcc, s36, v12
	v_addc_co_u32_e32 v1, vcc, v1, v13, vcc
	global_load_dwordx4 v[0:3], v[0:1], off
	v_subrev_co_u32_e32 v5, vcc, s28, v47
	v_subb_co_u32_e64 v11, s[4:5], 0, 0, vcc
	s_mov_b32 s52, 0
	s_waitcnt vmcnt(0)
	v_subrev_co_u32_e32 v18, vcc, s28, v2
	v_subbrev_co_u32_e32 v19, vcc, 0, v3, vcc
	v_add_co_u32_e32 v20, vcc, v0, v5
	v_addc_co_u32_e32 v21, vcc, v1, v11, vcc
	v_cmp_lt_i64_e32 vcc, v[20:21], v[18:19]
	s_and_saveexec_b64 s[6:7], vcc
	s_cbranch_execz .LBB154_40
; %bb.15:
	s_waitcnt lgkmcnt(0)
	s_cmp_lg_u32 s69, 0
	v_mov_b32_e32 v5, 0
	s_cselect_b64 s[10:11], -1, 0
	s_add_i32 s9, s68, s33
	v_lshlrev_b32_e32 v22, 4, v4
	v_mov_b32_e32 v11, v5
	v_lshlrev_b32_e32 v0, 6, v10
	s_add_i32 s9, s9, s33
	v_cmp_gt_u64_e64 s[4:5], s[16:17], v[10:11]
	v_add3_u32 v11, v46, v22, v0
	v_mul_lo_u32 v2, s9, v20
	v_mul_lo_u32 v3, s8, v21
	v_mad_u64_u32 v[0:1], s[12:13], s8, v20, 0
	v_add3_u32 v1, v1, v3, v2
	v_cmp_gt_i64_e32 vcc, s[16:17], v[4:5]
	v_lshlrev_b64 v[0:1], 4, v[0:1]
	v_lshlrev_b32_e32 v2, 4, v10
	s_and_b64 s[4:5], vcc, s[4:5]
	v_add_co_u32_e32 v0, vcc, v0, v2
	v_addc_co_u32_e32 v1, vcc, 0, v1, vcc
	v_mov_b32_e32 v3, s41
	v_add_co_u32_e32 v0, vcc, s40, v0
	v_addc_co_u32_e32 v1, vcc, v1, v3, vcc
	s_lshl_b64 s[12:13], s[8:9], 6
	s_lshl_b64 s[18:19], s[16:17], 4
	s_mov_b32 s70, s28
	v_add_co_u32_e32 v24, vcc, 8, v0
	s_add_u32 s28, s50, 8
	s_mov_b32 s71, s29
	v_addc_co_u32_e32 v25, vcc, 0, v1, vcc
	s_addc_u32 s29, s51, 0
	v_mov_b32_e32 v0, s29
	v_add_co_u32_e32 v26, vcc, s28, v22
	v_mov_b32_e32 v23, v5
	v_addc_co_u32_e32 v27, vcc, 0, v0, vcc
	v_mul_lo_u32 v3, s17, v20
	v_mul_lo_u32 v5, s16, v21
	v_mad_u64_u32 v[0:1], s[50:51], s16, v20, 0
	v_add3_u32 v1, v1, v5, v3
	v_lshlrev_b64 v[0:1], 4, v[0:1]
	v_add_co_u32_e32 v2, vcc, v0, v2
	v_addc_co_u32_e32 v0, vcc, 0, v1, vcc
	v_mul_lo_u32 v3, s16, v0
	v_pk_mov_b32 v[0:1], s[40:41], s[40:41] op_sel:[0,1]
	v_mul_lo_u32 v5, s17, v2
	v_mad_u64_u32 v[0:1], s[40:41], s16, v2, v[0:1]
	v_add3_u32 v1, v5, v1, v3
	v_add_co_u32_e32 v28, vcc, 8, v0
	s_mov_b32 s72, s52
	s_lshl_b64 s[36:37], s[8:9], 4
	v_addc_co_u32_e32 v29, vcc, 0, v1, vcc
	s_mov_b64 s[40:41], 0
	v_mov_b32_e32 v5, s39
	v_mov_b32_e32 v48, s52
	;; [unrolled: 1-line block ×3, first 2 shown]
	s_branch .LBB154_17
.LBB154_16:                             ;   in Loop: Header=BB154_17 Depth=1
	s_or_b64 exec, exec, s[50:51]
	v_add_co_u32_e32 v20, vcc, 4, v20
	v_addc_co_u32_e32 v21, vcc, 0, v21, vcc
	v_mov_b32_e32 v0, s13
	v_add_co_u32_e32 v24, vcc, s12, v24
	v_addc_co_u32_e32 v25, vcc, v25, v0, vcc
	v_cmp_ge_i64_e32 vcc, v[20:21], v[18:19]
	s_or_b64 s[40:41], vcc, s[40:41]
	v_add_co_u32_e32 v28, vcc, s12, v28
	v_addc_co_u32_e32 v29, vcc, v29, v0, vcc
	s_andn2_b64 exec, exec, s[40:41]
	s_cbranch_execz .LBB154_40
.LBB154_17:                             ; =>This Loop Header: Depth=1
                                        ;     Child Loop BB154_20 Depth 2
                                        ;       Child Loop BB154_27 Depth 3
                                        ;       Child Loop BB154_23 Depth 3
	;; [unrolled: 1-line block ×3, first 2 shown]
	v_lshlrev_b64 v[0:1], 3, v[20:21]
	v_add_co_u32_e32 v0, vcc, s38, v0
	v_addc_co_u32_e32 v1, vcc, v5, v1, vcc
	global_load_dwordx2 v[0:1], v[0:1], off
	s_waitcnt vmcnt(0)
	v_subrev_co_u32_e32 v0, vcc, s70, v0
	v_subb_co_u32_e32 v1, vcc, v1, v48, vcc
	v_lshlrev_b64 v[0:1], 3, v[0:1]
	v_add_co_u32_e32 v0, vcc, s42, v0
	v_addc_co_u32_e32 v1, vcc, v49, v1, vcc
	global_load_dwordx4 v[0:3], v[0:1], off
	s_waitcnt vmcnt(0)
	v_cmp_lt_i64_e32 vcc, v[0:1], v[2:3]
	s_and_saveexec_b64 s[50:51], vcc
	s_cbranch_execz .LBB154_16
; %bb.18:                               ;   in Loop: Header=BB154_17 Depth=1
	v_mov_b32_e32 v30, s72
	v_subrev_co_u32_e32 v2, vcc, s71, v2
	v_subb_co_u32_e32 v3, vcc, v3, v30, vcc
	v_subrev_co_u32_e32 v0, vcc, s71, v0
	v_subb_co_u32_e32 v1, vcc, v1, v30, vcc
	v_mul_lo_u32 v32, s18, v1
	v_mul_lo_u32 v33, s19, v0
	v_mad_u64_u32 v[30:31], s[52:53], s18, v0, v[22:23]
	v_add3_u32 v31, v33, v31, v32
	v_pk_mov_b32 v[32:33], s[28:29], s[28:29] op_sel:[0,1]
	v_mul_lo_u32 v34, s16, v31
	v_mul_lo_u32 v35, s17, v30
	v_mad_u64_u32 v[30:31], s[52:53], s16, v30, v[32:33]
	v_add3_u32 v31, v35, v31, v34
	v_mul_lo_u32 v34, s36, v1
	v_mul_lo_u32 v35, s37, v0
	v_mad_u64_u32 v[32:33], s[52:53], s36, v0, v[26:27]
	v_add3_u32 v33, v35, v33, v34
	s_mov_b64 s[52:53], 0
	s_branch .LBB154_20
.LBB154_19:                             ;   in Loop: Header=BB154_20 Depth=2
	s_or_b64 exec, exec, s[54:55]
	v_add_co_u32_e32 v0, vcc, 1, v0
	v_addc_co_u32_e32 v1, vcc, 0, v1, vcc
	v_mov_b32_e32 v34, s37
	v_add_co_u32_e32 v30, vcc, s36, v30
	v_addc_co_u32_e32 v31, vcc, v31, v34, vcc
	v_cmp_ge_i64_e32 vcc, v[0:1], v[2:3]
	s_or_b64 s[52:53], vcc, s[52:53]
	v_add_co_u32_e32 v32, vcc, s36, v32
	v_addc_co_u32_e32 v33, vcc, v33, v34, vcc
	s_andn2_b64 exec, exec, s[52:53]
	s_cbranch_execz .LBB154_16
.LBB154_20:                             ;   Parent Loop BB154_17 Depth=1
                                        ; =>  This Loop Header: Depth=2
                                        ;       Child Loop BB154_27 Depth 3
                                        ;       Child Loop BB154_23 Depth 3
	;; [unrolled: 1-line block ×3, first 2 shown]
	s_and_saveexec_b64 s[54:55], s[4:5]
	s_cbranch_execz .LBB154_19
; %bb.21:                               ;   in Loop: Header=BB154_20 Depth=2
	v_lshlrev_b64 v[34:35], 3, v[0:1]
	v_mov_b32_e32 v36, s49
	v_add_co_u32_e32 v34, vcc, s48, v34
	v_addc_co_u32_e32 v35, vcc, v36, v35, vcc
	global_load_dwordx2 v[34:35], v[34:35], off
	s_andn2_b64 vcc, exec, s[10:11]
	s_cbranch_vccnz .LBB154_25
; %bb.22:                               ;   in Loop: Header=BB154_20 Depth=2
	v_pk_mov_b32 v[36:37], 0, 0
	s_mov_b64 s[56:57], s[16:17]
	v_pk_mov_b32 v[40:41], v[30:31], v[30:31] op_sel:[0,1]
	v_pk_mov_b32 v[42:43], v[24:25], v[24:25] op_sel:[0,1]
	;; [unrolled: 1-line block ×3, first 2 shown]
.LBB154_23:                             ;   Parent Loop BB154_17 Depth=1
                                        ;     Parent Loop BB154_20 Depth=2
                                        ; =>    This Inner Loop Header: Depth=3
	global_load_dwordx4 v[50:53], v[42:43], off offset:-8
	global_load_dwordx4 v[54:57], v[40:41], off offset:-8
	v_add_co_u32_e32 v40, vcc, 16, v40
	v_addc_co_u32_e32 v41, vcc, 0, v41, vcc
	s_add_u32 s56, s56, -1
	v_mov_b32_e32 v58, s19
	v_add_co_u32_e32 v42, vcc, s18, v42
	s_addc_u32 s57, s57, -1
	v_addc_co_u32_e32 v43, vcc, v43, v58, vcc
	s_cmp_lg_u64 s[56:57], 0
	s_waitcnt vmcnt(0)
	v_fmac_f64_e32 v[36:37], v[50:51], v[54:55]
	v_fmac_f64_e32 v[38:39], v[52:53], v[54:55]
	v_fma_f64 v[36:37], -v[52:53], v[56:57], v[36:37]
	v_fmac_f64_e32 v[38:39], v[50:51], v[56:57]
	s_cbranch_scc1 .LBB154_23
; %bb.24:                               ;   in Loop: Header=BB154_20 Depth=2
	s_branch .LBB154_28
.LBB154_25:                             ;   in Loop: Header=BB154_20 Depth=2
                                        ; implicit-def: $vgpr36_vgpr37
                                        ; implicit-def: $vgpr38_vgpr39
	s_cbranch_execz .LBB154_28
; %bb.26:                               ;   in Loop: Header=BB154_20 Depth=2
	v_pk_mov_b32 v[36:37], 0, 0
	s_mov_b64 s[56:57], s[16:17]
	v_pk_mov_b32 v[40:41], v[28:29], v[28:29] op_sel:[0,1]
	v_pk_mov_b32 v[42:43], v[32:33], v[32:33] op_sel:[0,1]
	;; [unrolled: 1-line block ×3, first 2 shown]
.LBB154_27:                             ;   Parent Loop BB154_17 Depth=1
                                        ;     Parent Loop BB154_20 Depth=2
                                        ; =>    This Inner Loop Header: Depth=3
	global_load_dwordx4 v[50:53], v[40:41], off offset:-8
	global_load_dwordx4 v[54:57], v[42:43], off offset:-8
	v_add_co_u32_e32 v40, vcc, 16, v40
	v_addc_co_u32_e32 v41, vcc, 0, v41, vcc
	s_add_u32 s56, s56, -1
	v_mov_b32_e32 v58, s19
	v_add_co_u32_e32 v42, vcc, s18, v42
	s_addc_u32 s57, s57, -1
	v_addc_co_u32_e32 v43, vcc, v43, v58, vcc
	s_cmp_eq_u64 s[56:57], 0
	s_waitcnt vmcnt(0)
	v_fmac_f64_e32 v[36:37], v[50:51], v[54:55]
	v_fmac_f64_e32 v[38:39], v[52:53], v[54:55]
	v_fma_f64 v[36:37], -v[52:53], v[56:57], v[36:37]
	v_fmac_f64_e32 v[38:39], v[50:51], v[56:57]
	s_cbranch_scc0 .LBB154_27
.LBB154_28:                             ;   in Loop: Header=BB154_20 Depth=2
	v_mov_b32_e32 v40, s72
	s_waitcnt vmcnt(0)
	v_subrev_co_u32_e32 v34, vcc, s71, v34
	v_subb_co_u32_e32 v35, vcc, v35, v40, vcc
	v_mul_f64 v[40:41], v[38:39], -v[16:17]
	v_mul_f64 v[38:39], v[14:15], v[38:39]
	v_fmac_f64_e32 v[40:41], v[14:15], v[36:37]
	v_fmac_f64_e32 v[38:39], v[16:17], v[36:37]
	v_and_b32_e32 v36, 7, v34
	s_mov_b64 s[56:57], 0
	s_branch .LBB154_30
.LBB154_29:                             ;   in Loop: Header=BB154_30 Depth=3
	s_or_b64 exec, exec, s[58:59]
	s_xor_b64 s[58:59], s[60:61], -1
	s_and_b64 s[58:59], exec, s[58:59]
	s_or_b64 s[56:57], s[58:59], s[56:57]
	s_andn2_b64 exec, exec, s[56:57]
	s_cbranch_execz .LBB154_19
.LBB154_30:                             ;   Parent Loop BB154_17 Depth=1
                                        ;     Parent Loop BB154_20 Depth=2
                                        ; =>    This Inner Loop Header: Depth=3
	v_lshl_add_u32 v37, v36, 3, v44
	ds_read_b64 v[42:43], v37
                                        ; implicit-def: $sgpr60_sgpr61
	s_waitcnt lgkmcnt(0)
	v_cmp_ne_u64_e32 vcc, v[42:43], v[34:35]
	s_and_saveexec_b64 s[58:59], vcc
	s_xor_b64 s[58:59], exec, s[58:59]
	s_cbranch_execz .LBB154_38
; %bb.31:                               ;   in Loop: Header=BB154_30 Depth=3
	v_cmp_ne_u64_e32 vcc, s[14:15], v[42:43]
                                        ; implicit-def: $sgpr60_sgpr61
	s_and_saveexec_b64 s[62:63], vcc
	s_xor_b64 s[62:63], exec, s[62:63]
; %bb.32:                               ;   in Loop: Header=BB154_30 Depth=3
	v_add_u32_e32 v36, 1, v36
	v_and_b32_e32 v36, 7, v36
	s_mov_b64 s[60:61], -1
                                        ; implicit-def: $vgpr37
; %bb.33:                               ;   in Loop: Header=BB154_30 Depth=3
	s_andn2_saveexec_b64 s[62:63], s[62:63]
	s_cbranch_execz .LBB154_37
; %bb.34:                               ;   in Loop: Header=BB154_30 Depth=3
	v_pk_mov_b32 v[42:43], s[14:15], s[14:15] op_sel:[0,1]
	ds_cmpst_rtn_b64 v[42:43], v37, v[42:43], v[34:35]
	s_mov_b64 s[64:65], -1
	s_waitcnt lgkmcnt(0)
	v_cmp_eq_u64_e32 vcc, s[14:15], v[42:43]
	s_and_saveexec_b64 s[66:67], vcc
	s_cbranch_execz .LBB154_36
; %bb.35:                               ;   in Loop: Header=BB154_30 Depth=3
	v_lshl_add_u32 v37, v36, 8, v11
	ds_add_f64 v37, v[40:41]
	ds_add_f64 v37, v[38:39] offset:8
	s_xor_b64 s[64:65], exec, -1
.LBB154_36:                             ;   in Loop: Header=BB154_30 Depth=3
	s_or_b64 exec, exec, s[66:67]
	s_andn2_b64 s[60:61], s[60:61], exec
	s_and_b64 s[64:65], s[64:65], exec
	s_or_b64 s[60:61], s[60:61], s[64:65]
.LBB154_37:                             ;   in Loop: Header=BB154_30 Depth=3
	s_or_b64 exec, exec, s[62:63]
	s_and_b64 s[60:61], s[60:61], exec
.LBB154_38:                             ;   in Loop: Header=BB154_30 Depth=3
	s_andn2_saveexec_b64 s[58:59], s[58:59]
	s_cbranch_execz .LBB154_29
; %bb.39:                               ;   in Loop: Header=BB154_30 Depth=3
	v_lshl_add_u32 v37, v36, 8, v11
	ds_add_f64 v37, v[40:41]
	ds_add_f64 v37, v[38:39] offset:8
	s_andn2_b64 s[60:61], s[60:61], exec
	s_branch .LBB154_29
.LBB154_40:
	s_or_b64 exec, exec, s[6:7]
.LBB154_41:
	s_andn2_b64 vcc, exec, s[34:35]
	s_waitcnt lgkmcnt(0)
	s_barrier
	s_cbranch_vccnz .LBB154_59
; %bb.42:
	v_mov_b32_e32 v1, s21
	v_add_co_u32_e32 v0, vcc, s20, v12
	v_addc_co_u32_e32 v1, vcc, v1, v13, vcc
	global_load_dwordx4 v[14:17], v[0:1], off
	v_subrev_co_u32_e32 v2, vcc, s31, v47
	v_subb_co_u32_e64 v3, s[4:5], 0, 0, vcc
	s_mov_b32 s9, 0
	s_waitcnt vmcnt(0)
	v_subrev_co_u32_e32 v0, vcc, s31, v16
	v_subbrev_co_u32_e32 v1, vcc, 0, v17, vcc
	v_add_co_u32_e32 v2, vcc, v14, v2
	v_addc_co_u32_e32 v3, vcc, v15, v3, vcc
	v_cmp_lt_i64_e32 vcc, v[2:3], v[0:1]
	s_and_saveexec_b64 s[10:11], vcc
	s_cbranch_execz .LBB154_58
; %bb.43:
	v_mad_u64_u32 v[14:15], s[6:7], v4, s16, 0
	v_mov_b32_e32 v16, v15
	v_mad_u64_u32 v[16:17], s[6:7], v4, s17, v[16:17]
	v_mov_b32_e32 v15, v16
	v_mov_b32_e32 v5, 0
	v_lshlrev_b64 v[14:15], 4, v[14:15]
	v_cmp_gt_i64_e32 vcc, s[16:17], v[4:5]
	v_mov_b32_e32 v11, v5
	v_mov_b32_e32 v5, s25
	v_add_co_u32_e64 v16, s[6:7], s24, v14
	v_addc_co_u32_e64 v17, s[6:7], v5, v15, s[6:7]
	v_lshlrev_b64 v[14:15], 4, v[10:11]
	v_add_co_u32_e64 v19, s[6:7], v16, v14
	v_addc_co_u32_e64 v20, s[6:7], v17, v15, s[6:7]
	v_mad_u64_u32 v[14:15], s[6:7], v10, s16, 0
	v_mov_b32_e32 v16, v15
	v_mad_u64_u32 v[16:17], s[6:7], v10, s17, v[16:17]
	v_mov_b32_e32 v15, v16
	v_lshlrev_b64 v[14:15], 4, v[14:15]
	v_cmp_gt_u64_e64 s[4:5], s[16:17], v[10:11]
	v_add_co_u32_e64 v11, s[6:7], s24, v14
	v_lshlrev_b32_e32 v18, 4, v4
	v_addc_co_u32_e64 v5, s[6:7], v5, v15, s[6:7]
	v_add_co_u32_e64 v14, s[6:7], v11, v18
	s_cmp_eq_u32 s69, 0
	v_addc_co_u32_e64 v5, s[6:7], 0, v5, s[6:7]
	s_cselect_b64 s[6:7], -1, 0
	s_add_i32 s12, s68, s33
	v_lshlrev_b32_e32 v11, 6, v10
	s_mov_b32 s38, s31
	s_add_i32 s31, s12, s33
	v_add3_u32 v11, v46, v18, v11
	s_and_b64 s[4:5], vcc, s[4:5]
	v_cndmask_b32_e64 v5, v20, v5, s[6:7]
	v_cndmask_b32_e64 v14, v19, v14, s[6:7]
	s_mov_b64 s[6:7], 0
	s_branch .LBB154_45
.LBB154_44:                             ;   in Loop: Header=BB154_45 Depth=1
	s_or_b64 exec, exec, s[12:13]
	v_add_co_u32_e32 v2, vcc, 4, v2
	v_addc_co_u32_e32 v3, vcc, 0, v3, vcc
	v_cmp_ge_i64_e32 vcc, v[2:3], v[0:1]
	s_or_b64 s[6:7], vcc, s[6:7]
	s_andn2_b64 exec, exec, s[6:7]
	s_cbranch_execz .LBB154_58
.LBB154_45:                             ; =>This Loop Header: Depth=1
                                        ;     Child Loop BB154_48 Depth 2
	s_and_saveexec_b64 s[12:13], s[4:5]
	s_cbranch_execz .LBB154_44
; %bb.46:                               ;   in Loop: Header=BB154_45 Depth=1
	v_lshlrev_b64 v[16:17], 3, v[2:3]
	v_mov_b32_e32 v15, s23
	v_add_co_u32_e32 v16, vcc, s22, v16
	v_addc_co_u32_e32 v17, vcc, v15, v17, vcc
	v_mul_lo_u32 v15, s31, v2
	v_mul_lo_u32 v20, s8, v3
	v_mad_u64_u32 v[18:19], s[18:19], s8, v2, 0
	v_add3_u32 v19, v19, v20, v15
	v_lshlrev_b64 v[18:19], 4, v[18:19]
	v_add_co_u32_e32 v18, vcc, v14, v18
	v_addc_co_u32_e32 v19, vcc, v5, v19, vcc
	global_load_dwordx2 v[16:17], v[16:17], off
	v_mov_b32_e32 v15, s9
	global_load_dwordx4 v[24:27], v[18:19], off
	s_mov_b64 s[18:19], 0
	s_waitcnt vmcnt(1)
	v_subrev_co_u32_e32 v16, vcc, s38, v16
	s_waitcnt vmcnt(0)
	v_mul_f64 v[18:19], v[26:27], -v[6:7]
	v_mul_f64 v[22:23], v[8:9], v[26:27]
	v_subb_co_u32_e32 v17, vcc, v17, v15, vcc
	v_and_b32_e32 v20, 7, v16
	v_fmac_f64_e32 v[18:19], v[8:9], v[24:25]
	v_fmac_f64_e32 v[22:23], v[6:7], v[24:25]
	s_branch .LBB154_48
.LBB154_47:                             ;   in Loop: Header=BB154_48 Depth=2
	s_or_b64 exec, exec, s[20:21]
	s_xor_b64 s[20:21], s[24:25], -1
	s_and_b64 s[20:21], exec, s[20:21]
	s_or_b64 s[18:19], s[20:21], s[18:19]
	s_andn2_b64 exec, exec, s[18:19]
	s_cbranch_execz .LBB154_44
.LBB154_48:                             ;   Parent Loop BB154_45 Depth=1
                                        ; =>  This Inner Loop Header: Depth=2
	v_lshl_add_u32 v15, v20, 3, v44
	ds_read_b64 v[24:25], v15
                                        ; implicit-def: $sgpr24_sgpr25
	s_waitcnt lgkmcnt(0)
	v_cmp_ne_u64_e32 vcc, v[24:25], v[16:17]
	s_and_saveexec_b64 s[20:21], vcc
	s_xor_b64 s[20:21], exec, s[20:21]
	s_cbranch_execz .LBB154_56
; %bb.49:                               ;   in Loop: Header=BB154_48 Depth=2
	v_cmp_ne_u64_e32 vcc, s[14:15], v[24:25]
                                        ; implicit-def: $sgpr24_sgpr25
	s_and_saveexec_b64 s[28:29], vcc
	s_xor_b64 s[28:29], exec, s[28:29]
; %bb.50:                               ;   in Loop: Header=BB154_48 Depth=2
	v_add_u32_e32 v15, 1, v20
	v_and_b32_e32 v20, 7, v15
	s_mov_b64 s[24:25], -1
                                        ; implicit-def: $vgpr15
; %bb.51:                               ;   in Loop: Header=BB154_48 Depth=2
	s_andn2_saveexec_b64 s[28:29], s[28:29]
	s_cbranch_execz .LBB154_55
; %bb.52:                               ;   in Loop: Header=BB154_48 Depth=2
	v_pk_mov_b32 v[24:25], s[14:15], s[14:15] op_sel:[0,1]
	ds_cmpst_rtn_b64 v[24:25], v15, v[24:25], v[16:17]
	s_mov_b64 s[34:35], -1
	s_waitcnt lgkmcnt(0)
	v_cmp_eq_u64_e32 vcc, s[14:15], v[24:25]
	s_and_saveexec_b64 s[36:37], vcc
	s_cbranch_execz .LBB154_54
; %bb.53:                               ;   in Loop: Header=BB154_48 Depth=2
	v_lshl_add_u32 v15, v20, 8, v11
	ds_add_f64 v15, v[18:19]
	ds_add_f64 v15, v[22:23] offset:8
	s_xor_b64 s[34:35], exec, -1
.LBB154_54:                             ;   in Loop: Header=BB154_48 Depth=2
	s_or_b64 exec, exec, s[36:37]
	s_andn2_b64 s[24:25], s[24:25], exec
	s_and_b64 s[34:35], s[34:35], exec
	s_or_b64 s[24:25], s[24:25], s[34:35]
.LBB154_55:                             ;   in Loop: Header=BB154_48 Depth=2
	s_or_b64 exec, exec, s[28:29]
	s_and_b64 s[24:25], s[24:25], exec
.LBB154_56:                             ;   in Loop: Header=BB154_48 Depth=2
	s_andn2_saveexec_b64 s[20:21], s[20:21]
	s_cbranch_execz .LBB154_47
; %bb.57:                               ;   in Loop: Header=BB154_48 Depth=2
	v_lshl_add_u32 v15, v20, 8, v11
	ds_add_f64 v15, v[18:19]
	ds_add_f64 v15, v[22:23] offset:8
	s_andn2_b64 s[24:25], s[24:25], exec
	s_branch .LBB154_47
.LBB154_58:
	s_or_b64 exec, exec, s[10:11]
.LBB154_59:
	v_mov_b32_e32 v1, s27
	v_add_co_u32_e32 v0, vcc, s26, v12
	v_addc_co_u32_e32 v1, vcc, v1, v13, vcc
	s_waitcnt lgkmcnt(0)
	s_barrier
	global_load_dwordx2 v[0:1], v[0:1], off
	s_cmp_eq_u32 s69, 0
	v_mad_u64_u32 v[2:3], s[4:5], v10, s16, 0
	v_mov_b32_e32 v5, 0
	v_lshlrev_b32_e32 v9, 6, v45
	v_lshlrev_b32_e32 v13, 3, v47
	s_movk_i32 s6, 0x2000
	s_cselect_b64 s[4:5], -1, 0
	s_add_i32 s10, s68, s33
	v_mov_b32_e32 v8, v3
	v_cmp_gt_i64_e32 vcc, s[16:17], v[4:5]
	v_mov_b32_e32 v11, v5
	v_or3_b32 v5, v9, v13, s6
	s_add_i32 s12, s10, s33
	v_mad_u64_u32 v[8:9], s[10:11], v10, s17, v[8:9]
	v_mov_b32_e32 v3, v8
	v_lshlrev_b32_e32 v12, 4, v4
	v_cndmask_b32_e64 v14, v4, v10, s[4:5]
	v_cmp_gt_u64_e64 s[6:7], s[16:17], v[10:11]
	v_cndmask_b32_e64 v4, v10, v4, s[4:5]
	v_lshlrev_b64 v[2:3], 4, v[2:3]
	v_mov_b32_e32 v7, s47
	s_and_b64 s[4:5], vcc, s[6:7]
	v_lshlrev_b32_e32 v4, 4, v4
	v_add_co_u32_e32 v2, vcc, s46, v2
	v_lshl_or_b32 v4, v47, 8, v4
	v_addc_co_u32_e32 v3, vcc, v7, v3, vcc
	v_lshl_or_b32 v8, v14, 6, v4
	v_add_co_u32_e32 v4, vcc, v2, v12
	v_addc_co_u32_e32 v7, vcc, 0, v3, vcc
	s_mov_b32 s9, 0
	v_or_b32_e32 v6, -4, v47
	v_add_u32_e32 v8, v46, v8
	s_mov_b64 s[6:7], 0
	s_waitcnt vmcnt(0)
	v_subrev_co_u32_e32 v9, vcc, s30, v0
	v_subbrev_co_u32_e32 v10, vcc, 0, v1, vcc
	s_branch .LBB154_61
.LBB154_60:                             ;   in Loop: Header=BB154_61 Depth=1
	s_or_b64 exec, exec, s[10:11]
	v_add_co_u32_e32 v6, vcc, 4, v6
	s_xor_b64 s[10:11], vcc, -1
	s_and_b64 s[10:11], exec, s[10:11]
	v_add_u32_e32 v8, 0x400, v8
	s_or_b64 s[6:7], s[10:11], s[6:7]
	v_add_u32_e32 v5, 32, v5
	s_andn2_b64 exec, exec, s[6:7]
	s_cbranch_execz .LBB154_64
.LBB154_61:                             ; =>This Inner Loop Header: Depth=1
	ds_read_b64 v[0:1], v5
	s_waitcnt lgkmcnt(0)
	v_cmp_gt_i64_e32 vcc, s[14:15], v[0:1]
	s_and_saveexec_b64 s[10:11], vcc
	s_cbranch_execz .LBB154_60
; %bb.62:                               ;   in Loop: Header=BB154_61 Depth=1
	ds_read_b128 v[12:15], v44
	ds_read_b128 v[16:19], v44 offset:16
	ds_read_b128 v[20:23], v44 offset:32
	;; [unrolled: 1-line block ×3, first 2 shown]
	s_waitcnt lgkmcnt(3)
	v_cmp_gt_i64_e32 vcc, v[0:1], v[12:13]
	v_cndmask_b32_e64 v2, 0, 1, vcc
	v_add_co_u32_e32 v2, vcc, v9, v2
	v_addc_co_u32_e32 v3, vcc, 0, v10, vcc
	v_cmp_gt_i64_e32 vcc, v[0:1], v[14:15]
	v_cndmask_b32_e64 v11, 0, 1, vcc
	v_add_co_u32_e32 v2, vcc, v2, v11
	v_addc_co_u32_e32 v3, vcc, 0, v3, vcc
	s_waitcnt lgkmcnt(2)
	v_cmp_gt_i64_e32 vcc, v[0:1], v[16:17]
	v_cndmask_b32_e64 v11, 0, 1, vcc
	v_add_co_u32_e32 v2, vcc, v2, v11
	v_addc_co_u32_e32 v3, vcc, 0, v3, vcc
	v_cmp_gt_i64_e32 vcc, v[0:1], v[18:19]
	v_cndmask_b32_e64 v11, 0, 1, vcc
	v_add_co_u32_e32 v2, vcc, v2, v11
	v_addc_co_u32_e32 v3, vcc, 0, v3, vcc
	;; [unrolled: 9-line block ×4, first 2 shown]
	v_mov_b32_e32 v11, s9
	v_add_co_u32_e32 v0, vcc, s30, v0
	v_addc_co_u32_e32 v1, vcc, v1, v11, vcc
	v_lshlrev_b64 v[12:13], 3, v[2:3]
	v_mov_b32_e32 v11, s45
	v_add_co_u32_e32 v12, vcc, s44, v12
	v_addc_co_u32_e32 v13, vcc, v11, v13, vcc
	global_store_dwordx2 v[12:13], v[0:1], off
	s_and_b64 exec, exec, s[4:5]
	s_cbranch_execz .LBB154_60
; %bb.63:                               ;   in Loop: Header=BB154_61 Depth=1
	v_mul_lo_u32 v11, s12, v2
	v_mul_lo_u32 v3, s8, v3
	v_mad_u64_u32 v[0:1], s[16:17], s8, v2, 0
	v_add3_u32 v1, v1, v3, v11
	v_lshlrev_b64 v[12:13], 4, v[0:1]
	ds_read2_b64 v[0:3], v8 offset1:1
	v_add_co_u32_e32 v12, vcc, v4, v12
	v_addc_co_u32_e32 v13, vcc, v7, v13, vcc
	s_waitcnt lgkmcnt(0)
	global_store_dwordx4 v[12:13], v[0:3], off
	s_branch .LBB154_60
.LBB154_64:
	s_endpgm
	.section	.rodata,"a",@progbits
	.p2align	6, 0x0
	.amdhsa_kernel _ZN9rocsparseL23bsrgemm_fill_wf_per_rowILj256ELj64ELj8ELj137ELj4Ell21rocsparse_complex_numIdEEEv20rocsparse_direction_T5_S4_S4_PKS4_S6_NS_24const_host_device_scalarIT6_EEPKT4_S6_PKS8_SC_S6_SE_S9_SC_S6_SE_SC_PS4_PS8_21rocsparse_index_base_SH_SH_SH_bbb
		.amdhsa_group_segment_fixed_size 8448
		.amdhsa_private_segment_fixed_size 24
		.amdhsa_kernarg_size 196
		.amdhsa_user_sgpr_count 8
		.amdhsa_user_sgpr_private_segment_buffer 1
		.amdhsa_user_sgpr_dispatch_ptr 0
		.amdhsa_user_sgpr_queue_ptr 0
		.amdhsa_user_sgpr_kernarg_segment_ptr 1
		.amdhsa_user_sgpr_dispatch_id 0
		.amdhsa_user_sgpr_flat_scratch_init 1
		.amdhsa_user_sgpr_kernarg_preload_length 0
		.amdhsa_user_sgpr_kernarg_preload_offset 0
		.amdhsa_user_sgpr_private_segment_size 0
		.amdhsa_uses_dynamic_stack 0
		.amdhsa_system_sgpr_private_segment_wavefront_offset 1
		.amdhsa_system_sgpr_workgroup_id_x 1
		.amdhsa_system_sgpr_workgroup_id_y 0
		.amdhsa_system_sgpr_workgroup_id_z 0
		.amdhsa_system_sgpr_workgroup_info 0
		.amdhsa_system_vgpr_workitem_id 0
		.amdhsa_next_free_vgpr 59
		.amdhsa_next_free_sgpr 73
		.amdhsa_accum_offset 60
		.amdhsa_reserve_vcc 1
		.amdhsa_reserve_flat_scratch 1
		.amdhsa_float_round_mode_32 0
		.amdhsa_float_round_mode_16_64 0
		.amdhsa_float_denorm_mode_32 3
		.amdhsa_float_denorm_mode_16_64 3
		.amdhsa_dx10_clamp 1
		.amdhsa_ieee_mode 1
		.amdhsa_fp16_overflow 0
		.amdhsa_tg_split 0
		.amdhsa_exception_fp_ieee_invalid_op 0
		.amdhsa_exception_fp_denorm_src 0
		.amdhsa_exception_fp_ieee_div_zero 0
		.amdhsa_exception_fp_ieee_overflow 0
		.amdhsa_exception_fp_ieee_underflow 0
		.amdhsa_exception_fp_ieee_inexact 0
		.amdhsa_exception_int_div_zero 0
	.end_amdhsa_kernel
	.section	.text._ZN9rocsparseL23bsrgemm_fill_wf_per_rowILj256ELj64ELj8ELj137ELj4Ell21rocsparse_complex_numIdEEEv20rocsparse_direction_T5_S4_S4_PKS4_S6_NS_24const_host_device_scalarIT6_EEPKT4_S6_PKS8_SC_S6_SE_S9_SC_S6_SE_SC_PS4_PS8_21rocsparse_index_base_SH_SH_SH_bbb,"axG",@progbits,_ZN9rocsparseL23bsrgemm_fill_wf_per_rowILj256ELj64ELj8ELj137ELj4Ell21rocsparse_complex_numIdEEEv20rocsparse_direction_T5_S4_S4_PKS4_S6_NS_24const_host_device_scalarIT6_EEPKT4_S6_PKS8_SC_S6_SE_S9_SC_S6_SE_SC_PS4_PS8_21rocsparse_index_base_SH_SH_SH_bbb,comdat
.Lfunc_end154:
	.size	_ZN9rocsparseL23bsrgemm_fill_wf_per_rowILj256ELj64ELj8ELj137ELj4Ell21rocsparse_complex_numIdEEEv20rocsparse_direction_T5_S4_S4_PKS4_S6_NS_24const_host_device_scalarIT6_EEPKT4_S6_PKS8_SC_S6_SE_S9_SC_S6_SE_SC_PS4_PS8_21rocsparse_index_base_SH_SH_SH_bbb, .Lfunc_end154-_ZN9rocsparseL23bsrgemm_fill_wf_per_rowILj256ELj64ELj8ELj137ELj4Ell21rocsparse_complex_numIdEEEv20rocsparse_direction_T5_S4_S4_PKS4_S6_NS_24const_host_device_scalarIT6_EEPKT4_S6_PKS8_SC_S6_SE_S9_SC_S6_SE_SC_PS4_PS8_21rocsparse_index_base_SH_SH_SH_bbb
                                        ; -- End function
	.section	.AMDGPU.csdata,"",@progbits
; Kernel info:
; codeLenInByte = 3228
; NumSgprs: 79
; NumVgprs: 59
; NumAgprs: 0
; TotalNumVgprs: 59
; ScratchSize: 24
; MemoryBound: 0
; FloatMode: 240
; IeeeMode: 1
; LDSByteSize: 8448 bytes/workgroup (compile time only)
; SGPRBlocks: 9
; VGPRBlocks: 7
; NumSGPRsForWavesPerEU: 79
; NumVGPRsForWavesPerEU: 59
; AccumOffset: 60
; Occupancy: 7
; WaveLimiterHint : 1
; COMPUTE_PGM_RSRC2:SCRATCH_EN: 1
; COMPUTE_PGM_RSRC2:USER_SGPR: 8
; COMPUTE_PGM_RSRC2:TRAP_HANDLER: 0
; COMPUTE_PGM_RSRC2:TGID_X_EN: 1
; COMPUTE_PGM_RSRC2:TGID_Y_EN: 0
; COMPUTE_PGM_RSRC2:TGID_Z_EN: 0
; COMPUTE_PGM_RSRC2:TIDIG_COMP_CNT: 0
; COMPUTE_PGM_RSRC3_GFX90A:ACCUM_OFFSET: 14
; COMPUTE_PGM_RSRC3_GFX90A:TG_SPLIT: 0
	.section	.text._ZN9rocsparseL23bsrgemm_fill_wf_per_rowILj256ELj64ELj16ELj137ELj4Ell21rocsparse_complex_numIdEEEv20rocsparse_direction_T5_S4_S4_PKS4_S6_NS_24const_host_device_scalarIT6_EEPKT4_S6_PKS8_SC_S6_SE_S9_SC_S6_SE_SC_PS4_PS8_21rocsparse_index_base_SH_SH_SH_bbb,"axG",@progbits,_ZN9rocsparseL23bsrgemm_fill_wf_per_rowILj256ELj64ELj16ELj137ELj4Ell21rocsparse_complex_numIdEEEv20rocsparse_direction_T5_S4_S4_PKS4_S6_NS_24const_host_device_scalarIT6_EEPKT4_S6_PKS8_SC_S6_SE_S9_SC_S6_SE_SC_PS4_PS8_21rocsparse_index_base_SH_SH_SH_bbb,comdat
	.globl	_ZN9rocsparseL23bsrgemm_fill_wf_per_rowILj256ELj64ELj16ELj137ELj4Ell21rocsparse_complex_numIdEEEv20rocsparse_direction_T5_S4_S4_PKS4_S6_NS_24const_host_device_scalarIT6_EEPKT4_S6_PKS8_SC_S6_SE_S9_SC_S6_SE_SC_PS4_PS8_21rocsparse_index_base_SH_SH_SH_bbb ; -- Begin function _ZN9rocsparseL23bsrgemm_fill_wf_per_rowILj256ELj64ELj16ELj137ELj4Ell21rocsparse_complex_numIdEEEv20rocsparse_direction_T5_S4_S4_PKS4_S6_NS_24const_host_device_scalarIT6_EEPKT4_S6_PKS8_SC_S6_SE_S9_SC_S6_SE_SC_PS4_PS8_21rocsparse_index_base_SH_SH_SH_bbb
	.p2align	8
	.type	_ZN9rocsparseL23bsrgemm_fill_wf_per_rowILj256ELj64ELj16ELj137ELj4Ell21rocsparse_complex_numIdEEEv20rocsparse_direction_T5_S4_S4_PKS4_S6_NS_24const_host_device_scalarIT6_EEPKT4_S6_PKS8_SC_S6_SE_S9_SC_S6_SE_SC_PS4_PS8_21rocsparse_index_base_SH_SH_SH_bbb,@function
_ZN9rocsparseL23bsrgemm_fill_wf_per_rowILj256ELj64ELj16ELj137ELj4Ell21rocsparse_complex_numIdEEEv20rocsparse_direction_T5_S4_S4_PKS4_S6_NS_24const_host_device_scalarIT6_EEPKT4_S6_PKS8_SC_S6_SE_S9_SC_S6_SE_SC_PS4_PS8_21rocsparse_index_base_SH_SH_SH_bbb: ; @_ZN9rocsparseL23bsrgemm_fill_wf_per_rowILj256ELj64ELj16ELj137ELj4Ell21rocsparse_complex_numIdEEEv20rocsparse_direction_T5_S4_S4_PKS4_S6_NS_24const_host_device_scalarIT6_EEPKT4_S6_PKS8_SC_S6_SE_S9_SC_S6_SE_SC_PS4_PS8_21rocsparse_index_base_SH_SH_SH_bbb
; %bb.0:
	s_load_dword s9, s[6:7], 0xc0
	s_load_dwordx2 s[2:3], s[4:5], 0x4
	s_load_dwordx4 s[16:19], s[6:7], 0x30
	s_load_dwordx4 s[12:15], s[6:7], 0x70
	v_and_b32_e32 v9, 0x3ff, v0
	v_bfe_u32 v2, v0, 10, 10
	s_waitcnt lgkmcnt(0)
	s_bitcmp1_b32 s9, 0
	s_cselect_b64 s[4:5], -1, 0
	s_bitcmp1_b32 s9, 16
	s_cselect_b64 s[0:1], -1, 0
	s_lshr_b32 s2, s2, 16
	s_mul_i32 s2, s2, s3
	v_mul_lo_u32 v1, s2, v9
	v_mad_u32_u24 v1, v2, s3, v1
	v_bfe_u32 v0, v0, 20, 10
	v_add_lshl_u32 v0, v1, v0, 3
	v_pk_mov_b32 v[2:3], s[16:17], s[16:17] op_sel:[0,1]
	v_pk_mov_b32 v[4:5], s[12:13], s[12:13] op_sel:[0,1]
	s_xor_b64 s[2:3], s[0:1], -1
	ds_write2st64_b64 v0, v[4:5], v[2:3] offset0:33 offset1:37
	v_pk_mov_b32 v[4:5], 0, 0
	v_cndmask_b32_e64 v1, 0, 1, s[2:3]
	s_bitcmp0_b32 s9, 0
	v_cmp_ne_u32_e64 s[2:3], 1, v1
	v_pk_mov_b32 v[14:15], v[4:5], v[4:5] op_sel:[0,1]
	v_pk_mov_b32 v[16:17], v[4:5], v[4:5] op_sel:[0,1]
	s_cbranch_scc1 .LBB155_3
; %bb.1:
	s_mov_b64 s[10:11], src_shared_base
	s_and_b64 s[20:21], s[0:1], exec
	v_add_u32_e32 v1, 0x4a00, v0
	s_cselect_b32 s10, s11, s17
	v_mov_b32_e32 v2, s16
	v_cndmask_b32_e64 v2, v2, v1, s[0:1]
	v_mov_b32_e32 v3, s10
	flat_load_dwordx2 v[14:15], v[2:3]
	s_and_b64 vcc, exec, s[2:3]
	v_pk_mov_b32 v[16:17], s[18:19], s[18:19] op_sel:[0,1]
	s_cbranch_vccnz .LBB155_3
; %bb.2:
	v_pk_mov_b32 v[2:3], s[16:17], s[16:17] op_sel:[0,1]
	flat_load_dwordx2 v[16:17], v[2:3] offset:8
.LBB155_3:
	s_load_dwordx4 s[28:31], s[6:7], 0xb0
	s_bitcmp1_b32 s9, 8
	s_cselect_b64 s[10:11], -1, 0
	s_bfe_u32 s9, s9, 0x10008
	s_cmp_eq_u32 s9, 0
	v_pk_mov_b32 v[6:7], v[4:5], v[4:5] op_sel:[0,1]
	s_cbranch_scc1 .LBB155_6
; %bb.4:
	s_mov_b64 s[16:17], src_shared_base
	s_and_b64 s[18:19], s[0:1], exec
	v_add_u32_e32 v0, 0x4200, v0
	s_cselect_b32 s9, s17, s13
	v_mov_b32_e32 v1, s12
	v_cndmask_b32_e64 v0, v1, v0, s[0:1]
	v_mov_b32_e32 v1, s9
	flat_load_dwordx2 v[6:7], v[0:1]
	s_and_b64 vcc, exec, s[2:3]
	v_pk_mov_b32 v[4:5], s[14:15], s[14:15] op_sel:[0,1]
	s_cbranch_vccnz .LBB155_6
; %bb.5:
	v_pk_mov_b32 v[0:1], s[12:13], s[12:13] op_sel:[0,1]
	flat_load_dwordx2 v[4:5], v[0:1] offset:8
.LBB155_6:
	s_load_dwordx4 s[44:47], s[6:7], 0xa0
	s_load_dwordx8 s[20:27], s[6:7], 0x80
	s_load_dwordx4 s[48:51], s[6:7], 0x60
	s_load_dwordx8 s[12:19], s[6:7], 0x8
	s_load_dwordx2 s[0:1], s[6:7], 0x28
	s_load_dwordx8 s[36:43], s[6:7], 0x40
	v_and_b32_e32 v8, 63, v9
	v_lshrrev_b32_e32 v45, 6, v9
	v_mov_b32_e32 v0, 0x4000
	v_lshl_or_b32 v44, v45, 7, v0
	v_cmp_gt_u32_e32 vcc, 16, v8
	s_and_saveexec_b64 s[2:3], vcc
	s_cbranch_execz .LBB155_8
; %bb.7:
	v_lshl_add_u32 v2, v8, 3, v44
	s_waitcnt lgkmcnt(0)
	v_pk_mov_b32 v[0:1], s[14:15], s[14:15] op_sel:[0,1]
	ds_write_b64 v2, v[0:1]
.LBB155_8:
	s_or_b64 exec, exec, s[2:3]
	v_lshlrev_b32_e32 v46, 12, v45
	v_mov_b32_e32 v0, 0
	v_or_b32_e32 v10, 0xffffffc0, v8
	v_lshl_or_b32 v11, v8, 4, v46
	s_mov_b64 s[2:3], 0
	v_mov_b32_e32 v1, v0
	v_mov_b32_e32 v2, v0
	;; [unrolled: 1-line block ×3, first 2 shown]
	s_movk_i32 s9, 0xbf
.LBB155_9:                              ; =>This Inner Loop Header: Depth=1
	v_add_u32_e32 v10, 64, v10
	v_cmp_lt_u32_e32 vcc, s9, v10
	ds_write_b128 v11, v[0:3]
	s_or_b64 s[2:3], vcc, s[2:3]
	v_add_u32_e32 v11, 0x400, v11
	s_andn2_b64 exec, exec, s[2:3]
	s_cbranch_execnz .LBB155_9
; %bb.10:
	s_or_b64 exec, exec, s[2:3]
	v_lshl_or_b32 v0, s8, 2, v45
	v_mov_b32_e32 v1, 0
	s_waitcnt lgkmcnt(0)
	v_cmp_gt_i64_e32 vcc, s[12:13], v[0:1]
	s_barrier
	s_and_saveexec_b64 s[2:3], vcc
	s_cbranch_execz .LBB155_64
; %bb.11:
	s_cmp_eq_u64 s[0:1], 0
	s_cbranch_scc1 .LBB155_13
; %bb.12:
	s_load_dwordx2 s[2:3], s[18:19], 0x0
	v_lshlrev_b64 v[0:1], 3, v[0:1]
	s_waitcnt lgkmcnt(0)
	s_lshl_b64 s[2:3], s[2:3], 3
	s_add_u32 s0, s0, s2
	s_addc_u32 s1, s1, s3
	v_mov_b32_e32 v2, s1
	v_add_co_u32_e32 v0, vcc, s0, v0
	v_addc_co_u32_e32 v1, vcc, v2, v1, vcc
	global_load_dwordx2 v[0:1], v[0:1], off
.LBB155_13:
	s_load_dword s65, s[6:7], 0x0
	v_lshrrev_b32_e32 v47, 4, v8
	v_and_b32_e32 v8, 3, v9
	v_bfe_u32 v10, v9, 2, 2
	s_andn2_b64 vcc, exec, s[4:5]
	s_waitcnt vmcnt(0)
	v_lshlrev_b64 v[12:13], 3, v[0:1]
	s_mul_i32 s33, s16, s17
	s_mul_hi_u32 s64, s16, s16
	s_mul_i32 s4, s16, s16
	s_cbranch_vccnz .LBB155_41
; %bb.14:
	v_mov_b32_e32 v1, s37
	v_add_co_u32_e32 v0, vcc, s36, v12
	v_addc_co_u32_e32 v1, vcc, v1, v13, vcc
	global_load_dwordx4 v[0:3], v[0:1], off
	v_subrev_co_u32_e32 v9, vcc, s28, v47
	v_subb_co_u32_e64 v11, s[0:1], 0, 0, vcc
	s_mov_b32 s36, 0
	s_waitcnt vmcnt(0)
	v_subrev_co_u32_e32 v18, vcc, s28, v2
	v_subbrev_co_u32_e32 v19, vcc, 0, v3, vcc
	v_add_co_u32_e32 v20, vcc, v0, v9
	v_addc_co_u32_e32 v21, vcc, v1, v11, vcc
	v_cmp_lt_i64_e32 vcc, v[20:21], v[18:19]
	s_and_saveexec_b64 s[2:3], vcc
	s_cbranch_execz .LBB155_40
; %bb.15:
	v_mov_b32_e32 v9, 0
	v_mov_b32_e32 v11, v9
	v_cmp_gt_i64_e32 vcc, s[16:17], v[8:9]
	v_cmp_gt_u64_e64 s[0:1], s[16:17], v[10:11]
	s_waitcnt lgkmcnt(0)
	s_cmp_lg_u32 s65, 0
	s_cselect_b64 s[52:53], -1, 0
	s_and_b64 s[6:7], vcc, s[0:1]
	s_add_i32 s0, s64, s33
	v_lshlrev_b32_e32 v22, 4, v8
	v_lshlrev_b32_e32 v0, 6, v10
	s_add_i32 s5, s0, s33
	v_add3_u32 v11, v46, v22, v0
	v_mul_lo_u32 v2, s5, v20
	v_mul_lo_u32 v3, s4, v21
	v_mad_u64_u32 v[0:1], s[0:1], s4, v20, 0
	v_add3_u32 v1, v1, v3, v2
	v_lshlrev_b64 v[0:1], 4, v[0:1]
	v_lshlrev_b32_e32 v2, 4, v10
	v_add_co_u32_e32 v0, vcc, v0, v2
	v_addc_co_u32_e32 v1, vcc, 0, v1, vcc
	v_mov_b32_e32 v3, s41
	v_add_co_u32_e32 v0, vcc, s40, v0
	v_addc_co_u32_e32 v1, vcc, v1, v3, vcc
	s_lshl_b64 s[8:9], s[4:5], 6
	s_lshl_b64 s[12:13], s[16:17], 4
	v_add_co_u32_e32 v24, vcc, 8, v0
	s_add_u32 s18, s50, 8
	v_addc_co_u32_e32 v25, vcc, 0, v1, vcc
	s_addc_u32 s19, s51, 0
	v_mov_b32_e32 v0, s19
	v_add_co_u32_e32 v26, vcc, s18, v22
	v_mov_b32_e32 v23, v9
	v_addc_co_u32_e32 v27, vcc, 0, v0, vcc
	v_mul_lo_u32 v3, s17, v20
	v_mul_lo_u32 v9, s16, v21
	v_mad_u64_u32 v[0:1], s[0:1], s16, v20, 0
	v_add3_u32 v1, v1, v9, v3
	v_lshlrev_b64 v[0:1], 4, v[0:1]
	v_add_co_u32_e32 v2, vcc, v0, v2
	v_addc_co_u32_e32 v0, vcc, 0, v1, vcc
	v_mul_lo_u32 v3, s16, v0
	v_pk_mov_b32 v[0:1], s[40:41], s[40:41] op_sel:[0,1]
	v_mul_lo_u32 v9, s17, v2
	v_mad_u64_u32 v[0:1], s[0:1], s16, v2, v[0:1]
	v_add3_u32 v1, v9, v1, v3
	v_add_co_u32_e32 v28, vcc, 8, v0
	v_cndmask_b32_e64 v0, 0, 1, s[52:53]
	s_mov_b32 s66, s28
	s_mov_b32 s67, s29
	;; [unrolled: 1-line block ×3, first 2 shown]
	s_lshl_b64 s[28:29], s[4:5], 4
	v_addc_co_u32_e32 v29, vcc, 0, v1, vcc
	s_mov_b64 s[34:35], 0
	v_mov_b32_e32 v9, s39
	v_mov_b32_e32 v48, s36
	;; [unrolled: 1-line block ×4, first 2 shown]
	v_cmp_ne_u32_e64 s[0:1], 1, v0
	s_branch .LBB155_17
.LBB155_16:                             ;   in Loop: Header=BB155_17 Depth=1
	s_or_b64 exec, exec, s[36:37]
	v_add_co_u32_e32 v20, vcc, 4, v20
	v_addc_co_u32_e32 v21, vcc, 0, v21, vcc
	v_mov_b32_e32 v0, s9
	v_add_co_u32_e32 v24, vcc, s8, v24
	v_addc_co_u32_e32 v25, vcc, v25, v0, vcc
	v_cmp_ge_i64_e32 vcc, v[20:21], v[18:19]
	s_or_b64 s[34:35], vcc, s[34:35]
	v_add_co_u32_e32 v28, vcc, s8, v28
	v_addc_co_u32_e32 v29, vcc, v29, v0, vcc
	s_andn2_b64 exec, exec, s[34:35]
	s_cbranch_execz .LBB155_40
.LBB155_17:                             ; =>This Loop Header: Depth=1
                                        ;     Child Loop BB155_20 Depth 2
                                        ;       Child Loop BB155_27 Depth 3
                                        ;       Child Loop BB155_23 Depth 3
	;; [unrolled: 1-line block ×3, first 2 shown]
	v_lshlrev_b64 v[0:1], 3, v[20:21]
	v_add_co_u32_e32 v0, vcc, s38, v0
	v_addc_co_u32_e32 v1, vcc, v9, v1, vcc
	global_load_dwordx2 v[0:1], v[0:1], off
	s_waitcnt vmcnt(0)
	v_subrev_co_u32_e32 v0, vcc, s66, v0
	v_subb_co_u32_e32 v1, vcc, v1, v48, vcc
	v_lshlrev_b64 v[0:1], 3, v[0:1]
	v_add_co_u32_e32 v0, vcc, s42, v0
	v_addc_co_u32_e32 v1, vcc, v49, v1, vcc
	global_load_dwordx4 v[0:3], v[0:1], off
	s_waitcnt vmcnt(0)
	v_cmp_lt_i64_e32 vcc, v[0:1], v[2:3]
	s_and_saveexec_b64 s[36:37], vcc
	s_cbranch_execz .LBB155_16
; %bb.18:                               ;   in Loop: Header=BB155_17 Depth=1
	v_mov_b32_e32 v30, s68
	v_subrev_co_u32_e32 v2, vcc, s67, v2
	v_subb_co_u32_e32 v3, vcc, v3, v30, vcc
	v_subrev_co_u32_e32 v0, vcc, s67, v0
	v_subb_co_u32_e32 v1, vcc, v1, v30, vcc
	v_mul_lo_u32 v32, s12, v1
	v_mul_lo_u32 v33, s13, v0
	v_mad_u64_u32 v[30:31], s[40:41], s12, v0, v[22:23]
	v_add3_u32 v31, v33, v31, v32
	v_pk_mov_b32 v[32:33], s[18:19], s[18:19] op_sel:[0,1]
	v_mul_lo_u32 v34, s16, v31
	v_mul_lo_u32 v35, s17, v30
	v_mad_u64_u32 v[30:31], s[40:41], s16, v30, v[32:33]
	v_add3_u32 v31, v35, v31, v34
	v_mul_lo_u32 v34, s28, v1
	v_mul_lo_u32 v35, s29, v0
	v_mad_u64_u32 v[32:33], s[40:41], s28, v0, v[26:27]
	v_add3_u32 v33, v35, v33, v34
	s_mov_b64 s[40:41], 0
	s_branch .LBB155_20
.LBB155_19:                             ;   in Loop: Header=BB155_20 Depth=2
	s_or_b64 exec, exec, s[50:51]
	v_add_co_u32_e32 v0, vcc, 1, v0
	v_addc_co_u32_e32 v1, vcc, 0, v1, vcc
	v_mov_b32_e32 v34, s29
	v_add_co_u32_e32 v30, vcc, s28, v30
	v_addc_co_u32_e32 v31, vcc, v31, v34, vcc
	v_cmp_ge_i64_e32 vcc, v[0:1], v[2:3]
	s_or_b64 s[40:41], vcc, s[40:41]
	v_add_co_u32_e32 v32, vcc, s28, v32
	v_addc_co_u32_e32 v33, vcc, v33, v34, vcc
	s_andn2_b64 exec, exec, s[40:41]
	s_cbranch_execz .LBB155_16
.LBB155_20:                             ;   Parent Loop BB155_17 Depth=1
                                        ; =>  This Loop Header: Depth=2
                                        ;       Child Loop BB155_27 Depth 3
                                        ;       Child Loop BB155_23 Depth 3
	;; [unrolled: 1-line block ×3, first 2 shown]
	s_and_saveexec_b64 s[50:51], s[6:7]
	s_cbranch_execz .LBB155_19
; %bb.21:                               ;   in Loop: Header=BB155_20 Depth=2
	v_lshlrev_b64 v[34:35], 3, v[0:1]
	v_mov_b32_e32 v36, s49
	v_add_co_u32_e32 v34, vcc, s48, v34
	v_addc_co_u32_e32 v35, vcc, v36, v35, vcc
	global_load_dwordx2 v[36:37], v[34:35], off
	s_and_b64 vcc, exec, s[0:1]
	s_cbranch_vccnz .LBB155_25
; %bb.22:                               ;   in Loop: Header=BB155_20 Depth=2
	v_pk_mov_b32 v[34:35], 0, 0
	s_mov_b64 s[52:53], s[16:17]
	v_pk_mov_b32 v[40:41], v[30:31], v[30:31] op_sel:[0,1]
	v_pk_mov_b32 v[42:43], v[24:25], v[24:25] op_sel:[0,1]
	;; [unrolled: 1-line block ×3, first 2 shown]
.LBB155_23:                             ;   Parent Loop BB155_17 Depth=1
                                        ;     Parent Loop BB155_20 Depth=2
                                        ; =>    This Inner Loop Header: Depth=3
	global_load_dwordx4 v[52:55], v[42:43], off offset:-8
	global_load_dwordx4 v[56:59], v[40:41], off offset:-8
	v_add_co_u32_e32 v42, vcc, s12, v42
	v_addc_co_u32_e32 v43, vcc, v43, v50, vcc
	s_add_u32 s52, s52, -1
	v_add_co_u32_e32 v40, vcc, 16, v40
	s_addc_u32 s53, s53, -1
	v_addc_co_u32_e32 v41, vcc, 0, v41, vcc
	s_cmp_lg_u64 s[52:53], 0
	s_waitcnt vmcnt(0)
	v_fmac_f64_e32 v[34:35], v[52:53], v[56:57]
	v_fmac_f64_e32 v[38:39], v[54:55], v[56:57]
	v_fma_f64 v[34:35], -v[54:55], v[58:59], v[34:35]
	v_fmac_f64_e32 v[38:39], v[52:53], v[58:59]
	s_cbranch_scc1 .LBB155_23
; %bb.24:                               ;   in Loop: Header=BB155_20 Depth=2
	s_branch .LBB155_28
.LBB155_25:                             ;   in Loop: Header=BB155_20 Depth=2
                                        ; implicit-def: $vgpr34_vgpr35
                                        ; implicit-def: $vgpr38_vgpr39
	s_cbranch_execz .LBB155_28
; %bb.26:                               ;   in Loop: Header=BB155_20 Depth=2
	v_pk_mov_b32 v[34:35], 0, 0
	s_mov_b64 s[52:53], s[16:17]
	v_pk_mov_b32 v[40:41], v[28:29], v[28:29] op_sel:[0,1]
	v_pk_mov_b32 v[42:43], v[32:33], v[32:33] op_sel:[0,1]
	;; [unrolled: 1-line block ×3, first 2 shown]
.LBB155_27:                             ;   Parent Loop BB155_17 Depth=1
                                        ;     Parent Loop BB155_20 Depth=2
                                        ; =>    This Inner Loop Header: Depth=3
	global_load_dwordx4 v[52:55], v[40:41], off offset:-8
	global_load_dwordx4 v[56:59], v[42:43], off offset:-8
	v_add_co_u32_e32 v42, vcc, s12, v42
	v_addc_co_u32_e32 v43, vcc, v43, v50, vcc
	s_add_u32 s52, s52, -1
	v_add_co_u32_e32 v40, vcc, 16, v40
	s_addc_u32 s53, s53, -1
	v_addc_co_u32_e32 v41, vcc, 0, v41, vcc
	s_cmp_eq_u64 s[52:53], 0
	s_waitcnt vmcnt(0)
	v_fmac_f64_e32 v[34:35], v[52:53], v[56:57]
	v_fmac_f64_e32 v[38:39], v[54:55], v[56:57]
	v_fma_f64 v[34:35], -v[54:55], v[58:59], v[34:35]
	v_fmac_f64_e32 v[38:39], v[52:53], v[58:59]
	s_cbranch_scc0 .LBB155_27
.LBB155_28:                             ;   in Loop: Header=BB155_20 Depth=2
	v_mov_b32_e32 v40, s68
	s_waitcnt vmcnt(0)
	v_subrev_co_u32_e32 v36, vcc, s67, v36
	v_subb_co_u32_e32 v37, vcc, v37, v40, vcc
	v_mul_f64 v[40:41], v[38:39], -v[16:17]
	v_mul_f64 v[38:39], v[14:15], v[38:39]
	v_fmac_f64_e32 v[40:41], v[14:15], v[34:35]
	v_fmac_f64_e32 v[38:39], v[16:17], v[34:35]
	v_lshl_add_u32 v34, v36, 3, v36
	v_and_b32_e32 v34, 15, v34
	s_mov_b64 s[52:53], 0
	s_branch .LBB155_30
.LBB155_29:                             ;   in Loop: Header=BB155_30 Depth=3
	s_or_b64 exec, exec, s[54:55]
	s_xor_b64 s[54:55], s[56:57], -1
	s_and_b64 s[54:55], exec, s[54:55]
	s_or_b64 s[52:53], s[54:55], s[52:53]
	s_andn2_b64 exec, exec, s[52:53]
	s_cbranch_execz .LBB155_19
.LBB155_30:                             ;   Parent Loop BB155_17 Depth=1
                                        ;     Parent Loop BB155_20 Depth=2
                                        ; =>    This Inner Loop Header: Depth=3
	v_lshl_add_u32 v35, v34, 3, v44
	ds_read_b64 v[42:43], v35
                                        ; implicit-def: $sgpr56_sgpr57
	s_waitcnt lgkmcnt(0)
	v_cmp_ne_u64_e32 vcc, v[42:43], v[36:37]
	s_and_saveexec_b64 s[54:55], vcc
	s_xor_b64 s[54:55], exec, s[54:55]
	s_cbranch_execz .LBB155_38
; %bb.31:                               ;   in Loop: Header=BB155_30 Depth=3
	v_cmp_ne_u64_e32 vcc, s[14:15], v[42:43]
                                        ; implicit-def: $sgpr56_sgpr57
	s_and_saveexec_b64 s[58:59], vcc
	s_xor_b64 s[58:59], exec, s[58:59]
; %bb.32:                               ;   in Loop: Header=BB155_30 Depth=3
	v_add_u32_e32 v34, 1, v34
	v_and_b32_e32 v34, 15, v34
	s_mov_b64 s[56:57], -1
                                        ; implicit-def: $vgpr35
; %bb.33:                               ;   in Loop: Header=BB155_30 Depth=3
	s_andn2_saveexec_b64 s[58:59], s[58:59]
	s_cbranch_execz .LBB155_37
; %bb.34:                               ;   in Loop: Header=BB155_30 Depth=3
	v_pk_mov_b32 v[42:43], s[14:15], s[14:15] op_sel:[0,1]
	ds_cmpst_rtn_b64 v[42:43], v35, v[42:43], v[36:37]
	s_mov_b64 s[60:61], -1
	s_waitcnt lgkmcnt(0)
	v_cmp_eq_u64_e32 vcc, s[14:15], v[42:43]
	s_and_saveexec_b64 s[62:63], vcc
	s_cbranch_execz .LBB155_36
; %bb.35:                               ;   in Loop: Header=BB155_30 Depth=3
	v_lshl_add_u32 v35, v34, 8, v11
	ds_add_f64 v35, v[40:41]
	ds_add_f64 v35, v[38:39] offset:8
	s_xor_b64 s[60:61], exec, -1
.LBB155_36:                             ;   in Loop: Header=BB155_30 Depth=3
	s_or_b64 exec, exec, s[62:63]
	s_andn2_b64 s[56:57], s[56:57], exec
	s_and_b64 s[60:61], s[60:61], exec
	s_or_b64 s[56:57], s[56:57], s[60:61]
.LBB155_37:                             ;   in Loop: Header=BB155_30 Depth=3
	s_or_b64 exec, exec, s[58:59]
	s_and_b64 s[56:57], s[56:57], exec
.LBB155_38:                             ;   in Loop: Header=BB155_30 Depth=3
	s_andn2_saveexec_b64 s[54:55], s[54:55]
	s_cbranch_execz .LBB155_29
; %bb.39:                               ;   in Loop: Header=BB155_30 Depth=3
	v_lshl_add_u32 v35, v34, 8, v11
	ds_add_f64 v35, v[40:41]
	ds_add_f64 v35, v[38:39] offset:8
	s_andn2_b64 s[56:57], s[56:57], exec
	s_branch .LBB155_29
.LBB155_40:
	s_or_b64 exec, exec, s[2:3]
.LBB155_41:
	s_andn2_b64 vcc, exec, s[10:11]
	s_waitcnt lgkmcnt(0)
	s_barrier
	s_cbranch_vccnz .LBB155_59
; %bb.42:
	v_mov_b32_e32 v1, s21
	v_add_co_u32_e32 v0, vcc, s20, v12
	v_addc_co_u32_e32 v1, vcc, v1, v13, vcc
	global_load_dwordx4 v[14:17], v[0:1], off
	v_subrev_co_u32_e32 v2, vcc, s31, v47
	v_subb_co_u32_e64 v3, s[0:1], 0, 0, vcc
	s_mov_b32 s5, 0
	s_waitcnt vmcnt(0)
	v_subrev_co_u32_e32 v0, vcc, s31, v16
	v_subbrev_co_u32_e32 v1, vcc, 0, v17, vcc
	v_add_co_u32_e32 v2, vcc, v14, v2
	v_addc_co_u32_e32 v3, vcc, v15, v3, vcc
	v_cmp_lt_i64_e32 vcc, v[2:3], v[0:1]
	s_and_saveexec_b64 s[6:7], vcc
	s_cbranch_execz .LBB155_58
; %bb.43:
	v_mad_u64_u32 v[14:15], s[2:3], v8, s16, 0
	v_mov_b32_e32 v16, v15
	v_mad_u64_u32 v[16:17], s[2:3], v8, s17, v[16:17]
	v_mov_b32_e32 v15, v16
	v_mov_b32_e32 v9, 0
	v_lshlrev_b64 v[14:15], 4, v[14:15]
	v_cmp_gt_i64_e32 vcc, s[16:17], v[8:9]
	v_mov_b32_e32 v11, v9
	v_mov_b32_e32 v9, s25
	v_add_co_u32_e64 v16, s[2:3], s24, v14
	v_addc_co_u32_e64 v17, s[2:3], v9, v15, s[2:3]
	v_lshlrev_b64 v[14:15], 4, v[10:11]
	v_add_co_u32_e64 v19, s[2:3], v16, v14
	v_addc_co_u32_e64 v20, s[2:3], v17, v15, s[2:3]
	v_mad_u64_u32 v[14:15], s[2:3], v10, s16, 0
	v_mov_b32_e32 v16, v15
	v_mad_u64_u32 v[16:17], s[2:3], v10, s17, v[16:17]
	v_mov_b32_e32 v15, v16
	v_lshlrev_b64 v[14:15], 4, v[14:15]
	v_cmp_gt_u64_e64 s[0:1], s[16:17], v[10:11]
	v_add_co_u32_e64 v11, s[2:3], s24, v14
	v_lshlrev_b32_e32 v18, 4, v8
	v_addc_co_u32_e64 v9, s[2:3], v9, v15, s[2:3]
	v_add_co_u32_e64 v14, s[2:3], v11, v18
	s_cmp_eq_u32 s65, 0
	v_addc_co_u32_e64 v9, s[2:3], 0, v9, s[2:3]
	s_cselect_b64 s[2:3], -1, 0
	s_add_i32 s8, s64, s33
	v_lshlrev_b32_e32 v11, 6, v10
	s_mov_b32 s34, s31
	s_add_i32 s31, s8, s33
	v_add3_u32 v11, v46, v18, v11
	s_and_b64 s[0:1], vcc, s[0:1]
	v_cndmask_b32_e64 v9, v20, v9, s[2:3]
	v_cndmask_b32_e64 v14, v19, v14, s[2:3]
	s_mov_b64 s[2:3], 0
	s_branch .LBB155_45
.LBB155_44:                             ;   in Loop: Header=BB155_45 Depth=1
	s_or_b64 exec, exec, s[8:9]
	v_add_co_u32_e32 v2, vcc, 4, v2
	v_addc_co_u32_e32 v3, vcc, 0, v3, vcc
	v_cmp_ge_i64_e32 vcc, v[2:3], v[0:1]
	s_or_b64 s[2:3], vcc, s[2:3]
	s_andn2_b64 exec, exec, s[2:3]
	s_cbranch_execz .LBB155_58
.LBB155_45:                             ; =>This Loop Header: Depth=1
                                        ;     Child Loop BB155_48 Depth 2
	s_and_saveexec_b64 s[8:9], s[0:1]
	s_cbranch_execz .LBB155_44
; %bb.46:                               ;   in Loop: Header=BB155_45 Depth=1
	v_lshlrev_b64 v[16:17], 3, v[2:3]
	v_mov_b32_e32 v15, s23
	v_add_co_u32_e32 v16, vcc, s22, v16
	v_addc_co_u32_e32 v17, vcc, v15, v17, vcc
	v_mul_lo_u32 v15, s31, v2
	v_mul_lo_u32 v20, s4, v3
	v_mad_u64_u32 v[18:19], s[10:11], s4, v2, 0
	v_add3_u32 v19, v19, v20, v15
	v_lshlrev_b64 v[18:19], 4, v[18:19]
	v_add_co_u32_e32 v18, vcc, v14, v18
	global_load_dwordx2 v[16:17], v[16:17], off
	v_addc_co_u32_e32 v19, vcc, v9, v19, vcc
	global_load_dwordx4 v[24:27], v[18:19], off
	v_mov_b32_e32 v15, s5
	s_mov_b64 s[10:11], 0
	s_waitcnt vmcnt(1)
	v_subrev_co_u32_e32 v16, vcc, s34, v16
	v_subb_co_u32_e32 v17, vcc, v17, v15, vcc
	v_lshl_add_u32 v15, v16, 3, v16
	s_waitcnt vmcnt(0)
	v_mul_f64 v[18:19], v[26:27], -v[4:5]
	v_mul_f64 v[20:21], v[6:7], v[26:27]
	v_and_b32_e32 v22, 15, v15
	v_fmac_f64_e32 v[18:19], v[6:7], v[24:25]
	v_fmac_f64_e32 v[20:21], v[4:5], v[24:25]
	s_branch .LBB155_48
.LBB155_47:                             ;   in Loop: Header=BB155_48 Depth=2
	s_or_b64 exec, exec, s[12:13]
	s_xor_b64 s[12:13], s[18:19], -1
	s_and_b64 s[12:13], exec, s[12:13]
	s_or_b64 s[10:11], s[12:13], s[10:11]
	s_andn2_b64 exec, exec, s[10:11]
	s_cbranch_execz .LBB155_44
.LBB155_48:                             ;   Parent Loop BB155_45 Depth=1
                                        ; =>  This Inner Loop Header: Depth=2
	v_lshl_add_u32 v15, v22, 3, v44
	ds_read_b64 v[24:25], v15
                                        ; implicit-def: $sgpr18_sgpr19
	s_waitcnt lgkmcnt(0)
	v_cmp_ne_u64_e32 vcc, v[24:25], v[16:17]
	s_and_saveexec_b64 s[12:13], vcc
	s_xor_b64 s[12:13], exec, s[12:13]
	s_cbranch_execz .LBB155_56
; %bb.49:                               ;   in Loop: Header=BB155_48 Depth=2
	v_cmp_ne_u64_e32 vcc, s[14:15], v[24:25]
                                        ; implicit-def: $sgpr18_sgpr19
	s_and_saveexec_b64 s[20:21], vcc
	s_xor_b64 s[20:21], exec, s[20:21]
; %bb.50:                               ;   in Loop: Header=BB155_48 Depth=2
	v_add_u32_e32 v15, 1, v22
	v_and_b32_e32 v22, 15, v15
	s_mov_b64 s[18:19], -1
                                        ; implicit-def: $vgpr15
; %bb.51:                               ;   in Loop: Header=BB155_48 Depth=2
	s_andn2_saveexec_b64 s[20:21], s[20:21]
	s_cbranch_execz .LBB155_55
; %bb.52:                               ;   in Loop: Header=BB155_48 Depth=2
	v_pk_mov_b32 v[24:25], s[14:15], s[14:15] op_sel:[0,1]
	ds_cmpst_rtn_b64 v[24:25], v15, v[24:25], v[16:17]
	s_mov_b64 s[24:25], -1
	s_waitcnt lgkmcnt(0)
	v_cmp_eq_u64_e32 vcc, s[14:15], v[24:25]
	s_and_saveexec_b64 s[28:29], vcc
	s_cbranch_execz .LBB155_54
; %bb.53:                               ;   in Loop: Header=BB155_48 Depth=2
	v_lshl_add_u32 v15, v22, 8, v11
	ds_add_f64 v15, v[18:19]
	ds_add_f64 v15, v[20:21] offset:8
	s_xor_b64 s[24:25], exec, -1
.LBB155_54:                             ;   in Loop: Header=BB155_48 Depth=2
	s_or_b64 exec, exec, s[28:29]
	s_andn2_b64 s[18:19], s[18:19], exec
	s_and_b64 s[24:25], s[24:25], exec
	s_or_b64 s[18:19], s[18:19], s[24:25]
.LBB155_55:                             ;   in Loop: Header=BB155_48 Depth=2
	s_or_b64 exec, exec, s[20:21]
	s_and_b64 s[18:19], s[18:19], exec
.LBB155_56:                             ;   in Loop: Header=BB155_48 Depth=2
	s_andn2_saveexec_b64 s[12:13], s[12:13]
	s_cbranch_execz .LBB155_47
; %bb.57:                               ;   in Loop: Header=BB155_48 Depth=2
	v_lshl_add_u32 v15, v22, 8, v11
	ds_add_f64 v15, v[18:19]
	ds_add_f64 v15, v[20:21] offset:8
	s_andn2_b64 s[18:19], s[18:19], exec
	s_branch .LBB155_47
.LBB155_58:
	s_or_b64 exec, exec, s[6:7]
.LBB155_59:
	v_mov_b32_e32 v1, s27
	v_add_co_u32_e32 v0, vcc, s26, v12
	v_addc_co_u32_e32 v1, vcc, v1, v13, vcc
	s_waitcnt lgkmcnt(0)
	s_barrier
	global_load_dwordx2 v[0:1], v[0:1], off
	s_cmp_eq_u32 s65, 0
	v_mad_u64_u32 v[2:3], s[0:1], v10, s16, 0
	v_lshlrev_b32_e32 v5, 7, v45
	v_lshlrev_b32_e32 v7, 3, v47
	s_movk_i32 s2, 0x4000
	s_cselect_b64 s[0:1], -1, 0
	s_add_i32 s6, s64, s33
	v_mov_b32_e32 v6, v3
	v_mov_b32_e32 v9, 0
	v_or3_b32 v5, v5, v7, s2
	s_add_i32 s8, s6, s33
	v_mad_u64_u32 v[6:7], s[6:7], v10, s17, v[6:7]
	v_mov_b32_e32 v11, v9
	v_mov_b32_e32 v3, v6
	v_cmp_gt_i64_e32 vcc, s[16:17], v[8:9]
	v_cmp_gt_u64_e64 s[2:3], s[16:17], v[10:11]
	v_cndmask_b32_e64 v7, v10, v8, s[0:1]
	v_lshlrev_b64 v[2:3], 4, v[2:3]
	v_mov_b32_e32 v12, s47
	v_cndmask_b32_e64 v9, v8, v10, s[0:1]
	s_and_b64 s[0:1], vcc, s[2:3]
	v_lshlrev_b32_e32 v6, 4, v7
	v_add_co_u32_e32 v2, vcc, s46, v2
	v_lshlrev_b32_e32 v13, 4, v8
	v_lshl_or_b32 v6, v47, 8, v6
	v_addc_co_u32_e32 v3, vcc, v12, v3, vcc
	v_lshl_or_b32 v8, v9, 6, v6
	v_add_co_u32_e32 v6, vcc, v2, v13
	v_addc_co_u32_e32 v7, vcc, 0, v3, vcc
	s_mov_b32 s5, 0
	v_or_b32_e32 v4, -4, v47
	v_add_u32_e32 v8, v46, v8
	s_mov_b64 s[2:3], 0
	s_waitcnt vmcnt(0)
	v_subrev_co_u32_e32 v9, vcc, s30, v0
	v_subbrev_co_u32_e32 v10, vcc, 0, v1, vcc
	s_branch .LBB155_61
.LBB155_60:                             ;   in Loop: Header=BB155_61 Depth=1
	s_or_b64 exec, exec, s[6:7]
	v_add_u32_e32 v4, 4, v4
	v_cmp_lt_u32_e32 vcc, 11, v4
	v_add_u32_e32 v8, 0x400, v8
	s_or_b64 s[2:3], vcc, s[2:3]
	v_add_u32_e32 v5, 32, v5
	s_andn2_b64 exec, exec, s[2:3]
	s_cbranch_execz .LBB155_64
.LBB155_61:                             ; =>This Inner Loop Header: Depth=1
	ds_read_b64 v[0:1], v5
	s_waitcnt lgkmcnt(0)
	v_cmp_gt_i64_e32 vcc, s[14:15], v[0:1]
	s_and_saveexec_b64 s[6:7], vcc
	s_cbranch_execz .LBB155_60
; %bb.62:                               ;   in Loop: Header=BB155_61 Depth=1
	ds_read_b128 v[12:15], v44
	ds_read_b128 v[16:19], v44 offset:16
	ds_read_b128 v[20:23], v44 offset:32
	;; [unrolled: 1-line block ×3, first 2 shown]
	s_waitcnt lgkmcnt(3)
	v_cmp_gt_i64_e32 vcc, v[0:1], v[12:13]
	v_cndmask_b32_e64 v2, 0, 1, vcc
	v_add_co_u32_e32 v2, vcc, v9, v2
	v_addc_co_u32_e32 v3, vcc, 0, v10, vcc
	v_cmp_gt_i64_e32 vcc, v[0:1], v[14:15]
	v_cndmask_b32_e64 v11, 0, 1, vcc
	v_add_co_u32_e32 v2, vcc, v2, v11
	v_addc_co_u32_e32 v3, vcc, 0, v3, vcc
	s_waitcnt lgkmcnt(2)
	v_cmp_gt_i64_e32 vcc, v[0:1], v[16:17]
	v_cndmask_b32_e64 v11, 0, 1, vcc
	v_add_co_u32_e32 v2, vcc, v2, v11
	v_addc_co_u32_e32 v3, vcc, 0, v3, vcc
	v_cmp_gt_i64_e32 vcc, v[0:1], v[18:19]
	v_cndmask_b32_e64 v11, 0, 1, vcc
	v_add_co_u32_e32 v2, vcc, v2, v11
	v_addc_co_u32_e32 v3, vcc, 0, v3, vcc
	s_waitcnt lgkmcnt(1)
	v_cmp_gt_i64_e32 vcc, v[0:1], v[20:21]
	v_cndmask_b32_e64 v11, 0, 1, vcc
	v_add_co_u32_e32 v2, vcc, v2, v11
	v_addc_co_u32_e32 v3, vcc, 0, v3, vcc
	v_cmp_gt_i64_e32 vcc, v[0:1], v[22:23]
	v_cndmask_b32_e64 v11, 0, 1, vcc
	v_add_co_u32_e32 v2, vcc, v2, v11
	v_addc_co_u32_e32 v3, vcc, 0, v3, vcc
	s_waitcnt lgkmcnt(0)
	v_cmp_gt_i64_e32 vcc, v[0:1], v[24:25]
	v_cndmask_b32_e64 v11, 0, 1, vcc
	v_add_co_u32_e32 v2, vcc, v2, v11
	v_addc_co_u32_e32 v3, vcc, 0, v3, vcc
	ds_read_b128 v[12:15], v44 offset:64
	ds_read_b128 v[16:19], v44 offset:80
	v_cmp_gt_i64_e32 vcc, v[0:1], v[26:27]
	v_cndmask_b32_e64 v11, 0, 1, vcc
	v_add_co_u32_e32 v2, vcc, v2, v11
	v_addc_co_u32_e32 v3, vcc, 0, v3, vcc
	s_waitcnt lgkmcnt(1)
	v_cmp_gt_i64_e32 vcc, v[0:1], v[12:13]
	v_cndmask_b32_e64 v11, 0, 1, vcc
	v_add_co_u32_e32 v2, vcc, v2, v11
	v_addc_co_u32_e32 v3, vcc, 0, v3, vcc
	v_cmp_gt_i64_e32 vcc, v[0:1], v[14:15]
	v_cndmask_b32_e64 v11, 0, 1, vcc
	v_add_co_u32_e32 v2, vcc, v2, v11
	v_addc_co_u32_e32 v3, vcc, 0, v3, vcc
	s_waitcnt lgkmcnt(0)
	v_cmp_gt_i64_e32 vcc, v[0:1], v[16:17]
	v_cndmask_b32_e64 v11, 0, 1, vcc
	v_add_co_u32_e32 v2, vcc, v2, v11
	v_addc_co_u32_e32 v3, vcc, 0, v3, vcc
	ds_read_b128 v[12:15], v44 offset:96
	v_cmp_gt_i64_e32 vcc, v[0:1], v[18:19]
	ds_read_b128 v[16:19], v44 offset:112
	v_cndmask_b32_e64 v11, 0, 1, vcc
	v_add_co_u32_e32 v2, vcc, v2, v11
	v_addc_co_u32_e32 v3, vcc, 0, v3, vcc
	s_waitcnt lgkmcnt(1)
	v_cmp_gt_i64_e32 vcc, v[0:1], v[12:13]
	v_cndmask_b32_e64 v11, 0, 1, vcc
	v_add_co_u32_e32 v2, vcc, v2, v11
	v_addc_co_u32_e32 v3, vcc, 0, v3, vcc
	v_cmp_gt_i64_e32 vcc, v[0:1], v[14:15]
	v_cndmask_b32_e64 v11, 0, 1, vcc
	v_add_co_u32_e32 v2, vcc, v2, v11
	v_addc_co_u32_e32 v3, vcc, 0, v3, vcc
	s_waitcnt lgkmcnt(0)
	v_cmp_gt_i64_e32 vcc, v[0:1], v[16:17]
	v_cndmask_b32_e64 v11, 0, 1, vcc
	v_add_co_u32_e32 v2, vcc, v2, v11
	v_addc_co_u32_e32 v3, vcc, 0, v3, vcc
	v_cmp_gt_i64_e32 vcc, v[0:1], v[18:19]
	v_cndmask_b32_e64 v11, 0, 1, vcc
	v_add_co_u32_e32 v2, vcc, v2, v11
	v_addc_co_u32_e32 v3, vcc, 0, v3, vcc
	v_mov_b32_e32 v11, s5
	v_add_co_u32_e32 v0, vcc, s30, v0
	v_addc_co_u32_e32 v1, vcc, v1, v11, vcc
	v_lshlrev_b64 v[12:13], 3, v[2:3]
	v_mov_b32_e32 v11, s45
	v_add_co_u32_e32 v12, vcc, s44, v12
	v_addc_co_u32_e32 v13, vcc, v11, v13, vcc
	global_store_dwordx2 v[12:13], v[0:1], off
	s_and_b64 exec, exec, s[0:1]
	s_cbranch_execz .LBB155_60
; %bb.63:                               ;   in Loop: Header=BB155_61 Depth=1
	v_mul_lo_u32 v11, s8, v2
	v_mul_lo_u32 v3, s4, v3
	v_mad_u64_u32 v[0:1], s[10:11], s4, v2, 0
	v_add3_u32 v1, v1, v3, v11
	v_lshlrev_b64 v[12:13], 4, v[0:1]
	ds_read2_b64 v[0:3], v8 offset1:1
	v_add_co_u32_e32 v12, vcc, v6, v12
	v_addc_co_u32_e32 v13, vcc, v7, v13, vcc
	s_waitcnt lgkmcnt(0)
	global_store_dwordx4 v[12:13], v[0:3], off
	s_branch .LBB155_60
.LBB155_64:
	s_endpgm
	.section	.rodata,"a",@progbits
	.p2align	6, 0x0
	.amdhsa_kernel _ZN9rocsparseL23bsrgemm_fill_wf_per_rowILj256ELj64ELj16ELj137ELj4Ell21rocsparse_complex_numIdEEEv20rocsparse_direction_T5_S4_S4_PKS4_S6_NS_24const_host_device_scalarIT6_EEPKT4_S6_PKS8_SC_S6_SE_S9_SC_S6_SE_SC_PS4_PS8_21rocsparse_index_base_SH_SH_SH_bbb
		.amdhsa_group_segment_fixed_size 20992
		.amdhsa_private_segment_fixed_size 0
		.amdhsa_kernarg_size 196
		.amdhsa_user_sgpr_count 8
		.amdhsa_user_sgpr_private_segment_buffer 1
		.amdhsa_user_sgpr_dispatch_ptr 1
		.amdhsa_user_sgpr_queue_ptr 0
		.amdhsa_user_sgpr_kernarg_segment_ptr 1
		.amdhsa_user_sgpr_dispatch_id 0
		.amdhsa_user_sgpr_flat_scratch_init 0
		.amdhsa_user_sgpr_kernarg_preload_length 0
		.amdhsa_user_sgpr_kernarg_preload_offset 0
		.amdhsa_user_sgpr_private_segment_size 0
		.amdhsa_uses_dynamic_stack 0
		.amdhsa_system_sgpr_private_segment_wavefront_offset 0
		.amdhsa_system_sgpr_workgroup_id_x 1
		.amdhsa_system_sgpr_workgroup_id_y 0
		.amdhsa_system_sgpr_workgroup_id_z 0
		.amdhsa_system_sgpr_workgroup_info 0
		.amdhsa_system_vgpr_workitem_id 2
		.amdhsa_next_free_vgpr 60
		.amdhsa_next_free_sgpr 69
		.amdhsa_accum_offset 60
		.amdhsa_reserve_vcc 1
		.amdhsa_reserve_flat_scratch 0
		.amdhsa_float_round_mode_32 0
		.amdhsa_float_round_mode_16_64 0
		.amdhsa_float_denorm_mode_32 3
		.amdhsa_float_denorm_mode_16_64 3
		.amdhsa_dx10_clamp 1
		.amdhsa_ieee_mode 1
		.amdhsa_fp16_overflow 0
		.amdhsa_tg_split 0
		.amdhsa_exception_fp_ieee_invalid_op 0
		.amdhsa_exception_fp_denorm_src 0
		.amdhsa_exception_fp_ieee_div_zero 0
		.amdhsa_exception_fp_ieee_overflow 0
		.amdhsa_exception_fp_ieee_underflow 0
		.amdhsa_exception_fp_ieee_inexact 0
		.amdhsa_exception_int_div_zero 0
	.end_amdhsa_kernel
	.section	.text._ZN9rocsparseL23bsrgemm_fill_wf_per_rowILj256ELj64ELj16ELj137ELj4Ell21rocsparse_complex_numIdEEEv20rocsparse_direction_T5_S4_S4_PKS4_S6_NS_24const_host_device_scalarIT6_EEPKT4_S6_PKS8_SC_S6_SE_S9_SC_S6_SE_SC_PS4_PS8_21rocsparse_index_base_SH_SH_SH_bbb,"axG",@progbits,_ZN9rocsparseL23bsrgemm_fill_wf_per_rowILj256ELj64ELj16ELj137ELj4Ell21rocsparse_complex_numIdEEEv20rocsparse_direction_T5_S4_S4_PKS4_S6_NS_24const_host_device_scalarIT6_EEPKT4_S6_PKS8_SC_S6_SE_S9_SC_S6_SE_SC_PS4_PS8_21rocsparse_index_base_SH_SH_SH_bbb,comdat
.Lfunc_end155:
	.size	_ZN9rocsparseL23bsrgemm_fill_wf_per_rowILj256ELj64ELj16ELj137ELj4Ell21rocsparse_complex_numIdEEEv20rocsparse_direction_T5_S4_S4_PKS4_S6_NS_24const_host_device_scalarIT6_EEPKT4_S6_PKS8_SC_S6_SE_S9_SC_S6_SE_SC_PS4_PS8_21rocsparse_index_base_SH_SH_SH_bbb, .Lfunc_end155-_ZN9rocsparseL23bsrgemm_fill_wf_per_rowILj256ELj64ELj16ELj137ELj4Ell21rocsparse_complex_numIdEEEv20rocsparse_direction_T5_S4_S4_PKS4_S6_NS_24const_host_device_scalarIT6_EEPKT4_S6_PKS8_SC_S6_SE_S9_SC_S6_SE_SC_PS4_PS8_21rocsparse_index_base_SH_SH_SH_bbb
                                        ; -- End function
	.section	.AMDGPU.csdata,"",@progbits
; Kernel info:
; codeLenInByte = 3492
; NumSgprs: 73
; NumVgprs: 60
; NumAgprs: 0
; TotalNumVgprs: 60
; ScratchSize: 0
; MemoryBound: 0
; FloatMode: 240
; IeeeMode: 1
; LDSByteSize: 20992 bytes/workgroup (compile time only)
; SGPRBlocks: 9
; VGPRBlocks: 7
; NumSGPRsForWavesPerEU: 73
; NumVGPRsForWavesPerEU: 60
; AccumOffset: 60
; Occupancy: 3
; WaveLimiterHint : 1
; COMPUTE_PGM_RSRC2:SCRATCH_EN: 0
; COMPUTE_PGM_RSRC2:USER_SGPR: 8
; COMPUTE_PGM_RSRC2:TRAP_HANDLER: 0
; COMPUTE_PGM_RSRC2:TGID_X_EN: 1
; COMPUTE_PGM_RSRC2:TGID_Y_EN: 0
; COMPUTE_PGM_RSRC2:TGID_Z_EN: 0
; COMPUTE_PGM_RSRC2:TIDIG_COMP_CNT: 2
; COMPUTE_PGM_RSRC3_GFX90A:ACCUM_OFFSET: 14
; COMPUTE_PGM_RSRC3_GFX90A:TG_SPLIT: 0
	.section	.text._ZN9rocsparseL38bsrgemm_block_per_row_atomic_multipassILj256ELj32ELj4Ell21rocsparse_complex_numIdEEEv20rocsparse_direction_T3_S4_PKS4_S6_NS_24const_host_device_scalarIT4_EEPKT2_S6_PKS8_SC_S6_SE_S9_SC_S6_SE_SC_PS4_PS8_PSA_21rocsparse_index_base_SI_SI_SI_bbb,"axG",@progbits,_ZN9rocsparseL38bsrgemm_block_per_row_atomic_multipassILj256ELj32ELj4Ell21rocsparse_complex_numIdEEEv20rocsparse_direction_T3_S4_PKS4_S6_NS_24const_host_device_scalarIT4_EEPKT2_S6_PKS8_SC_S6_SE_S9_SC_S6_SE_SC_PS4_PS8_PSA_21rocsparse_index_base_SI_SI_SI_bbb,comdat
	.globl	_ZN9rocsparseL38bsrgemm_block_per_row_atomic_multipassILj256ELj32ELj4Ell21rocsparse_complex_numIdEEEv20rocsparse_direction_T3_S4_PKS4_S6_NS_24const_host_device_scalarIT4_EEPKT2_S6_PKS8_SC_S6_SE_S9_SC_S6_SE_SC_PS4_PS8_PSA_21rocsparse_index_base_SI_SI_SI_bbb ; -- Begin function _ZN9rocsparseL38bsrgemm_block_per_row_atomic_multipassILj256ELj32ELj4Ell21rocsparse_complex_numIdEEEv20rocsparse_direction_T3_S4_PKS4_S6_NS_24const_host_device_scalarIT4_EEPKT2_S6_PKS8_SC_S6_SE_S9_SC_S6_SE_SC_PS4_PS8_PSA_21rocsparse_index_base_SI_SI_SI_bbb
	.p2align	8
	.type	_ZN9rocsparseL38bsrgemm_block_per_row_atomic_multipassILj256ELj32ELj4Ell21rocsparse_complex_numIdEEEv20rocsparse_direction_T3_S4_PKS4_S6_NS_24const_host_device_scalarIT4_EEPKT2_S6_PKS8_SC_S6_SE_S9_SC_S6_SE_SC_PS4_PS8_PSA_21rocsparse_index_base_SI_SI_SI_bbb,@function
_ZN9rocsparseL38bsrgemm_block_per_row_atomic_multipassILj256ELj32ELj4Ell21rocsparse_complex_numIdEEEv20rocsparse_direction_T3_S4_PKS4_S6_NS_24const_host_device_scalarIT4_EEPKT2_S6_PKS8_SC_S6_SE_S9_SC_S6_SE_SC_PS4_PS8_PSA_21rocsparse_index_base_SI_SI_SI_bbb: ; @_ZN9rocsparseL38bsrgemm_block_per_row_atomic_multipassILj256ELj32ELj4Ell21rocsparse_complex_numIdEEEv20rocsparse_direction_T3_S4_PKS4_S6_NS_24const_host_device_scalarIT4_EEPKT2_S6_PKS8_SC_S6_SE_S9_SC_S6_SE_SC_PS4_PS8_PSA_21rocsparse_index_base_SI_SI_SI_bbb
; %bb.0:
	s_add_u32 flat_scratch_lo, s6, s9
	s_addc_u32 flat_scratch_hi, s7, 0
	s_add_u32 s0, s0, s9
	s_load_dword s9, s[4:5], 0xc0
	s_load_dwordx4 s[28:31], s[4:5], 0xb0
	s_load_dwordx4 s[16:19], s[4:5], 0x28
	;; [unrolled: 1-line block ×3, first 2 shown]
	s_addc_u32 s1, s1, 0
	s_waitcnt lgkmcnt(0)
	s_bitcmp1_b32 s9, 0
	s_cselect_b64 s[20:21], -1, 0
	s_bitcmp1_b32 s9, 16
	v_mov_b32_e32 v1, s17
	s_cselect_b64 s[6:7], -1, 0
	buffer_store_dword v1, off, s[0:3], 0 offset:4
	v_mov_b32_e32 v1, s16
	s_xor_b64 s[10:11], s[6:7], -1
	buffer_store_dword v1, off, s[0:3], 0
	v_mov_b32_e32 v1, s13
	v_pk_mov_b32 v[8:9], 0, 0
	buffer_store_dword v1, off, s[0:3], 0 offset:12
	v_mov_b32_e32 v1, s12
	s_bitcmp0_b32 s9, 0
	v_pk_mov_b32 v[6:7], v[8:9], v[8:9] op_sel:[0,1]
	v_pk_mov_b32 v[10:11], v[8:9], v[8:9] op_sel:[0,1]
	buffer_store_dword v1, off, s[0:3], 0 offset:8
	s_cbranch_scc1 .LBB156_3
; %bb.1:
	s_mov_b64 s[22:23], src_private_base
	s_and_b64 s[24:25], s[6:7], exec
	s_cselect_b32 s22, s23, s17
	v_mov_b32_e32 v1, 0
	v_mov_b32_e32 v2, s16
	v_cndmask_b32_e64 v2, v2, v1, s[6:7]
	v_mov_b32_e32 v3, s22
	flat_load_dwordx2 v[6:7], v[2:3]
	s_andn2_b64 vcc, exec, s[10:11]
	v_pk_mov_b32 v[10:11], s[18:19], s[18:19] op_sel:[0,1]
	s_cbranch_vccnz .LBB156_3
; %bb.2:
	v_pk_mov_b32 v[2:3], s[16:17], s[16:17] op_sel:[0,1]
	flat_load_dwordx2 v[10:11], v[2:3] offset:8
.LBB156_3:
	s_load_dwordx2 s[16:17], s[4:5], 0x20
	s_bitcmp1_b32 s9, 8
	s_cselect_b64 s[34:35], -1, 0
	s_bfe_u32 s9, s9, 0x10008
	s_cmp_eq_u32 s9, 0
	v_pk_mov_b32 v[12:13], v[8:9], v[8:9] op_sel:[0,1]
	s_cbranch_scc1 .LBB156_6
; %bb.4:
	s_mov_b64 s[18:19], src_private_base
	s_and_b64 s[22:23], s[6:7], exec
	s_cselect_b32 s9, s19, s13
	v_mov_b32_e32 v1, 8
	v_mov_b32_e32 v2, s12
	v_cndmask_b32_e64 v2, v2, v1, s[6:7]
	v_mov_b32_e32 v3, s9
	flat_load_dwordx2 v[12:13], v[2:3]
	s_andn2_b64 vcc, exec, s[10:11]
	v_pk_mov_b32 v[8:9], s[14:15], s[14:15] op_sel:[0,1]
	s_cbranch_vccnz .LBB156_6
; %bb.5:
	v_pk_mov_b32 v[2:3], s[12:13], s[12:13] op_sel:[0,1]
	flat_load_dwordx2 v[8:9], v[2:3] offset:8
.LBB156_6:
	s_load_dwordx2 s[10:11], s[4:5], 0x38
	s_waitcnt lgkmcnt(0)
	s_cmp_eq_u64 s[16:17], 0
	s_mov_b32 s9, 0
	s_cbranch_scc1 .LBB156_8
; %bb.7:
	s_load_dwordx2 s[6:7], s[4:5], 0x18
	s_waitcnt lgkmcnt(0)
	s_load_dwordx2 s[6:7], s[6:7], 0x0
	s_waitcnt lgkmcnt(0)
	s_lshl_b64 s[6:7], s[6:7], 3
	s_add_u32 s12, s16, s6
	s_addc_u32 s13, s17, s7
	s_lshl_b64 s[6:7], s[8:9], 3
	s_add_u32 s6, s12, s6
	s_addc_u32 s7, s13, s7
	s_load_dwordx2 s[8:9], s[6:7], 0x0
.LBB156_8:
	v_cndmask_b32_e64 v1, 0, 1, s[20:21]
	s_mov_b64 s[60:61], 0
	v_cmp_ne_u32_e64 s[6:7], 1, v1
	s_andn2_b64 vcc, exec, s[20:21]
	s_mov_b64 s[62:63], 0
	s_cbranch_vccz .LBB156_11
; %bb.9:
	s_and_b64 vcc, exec, s[6:7]
	s_cbranch_vccz .LBB156_12
.LBB156_10:
	s_load_dwordx4 s[52:55], s[4:5], 0x8
	s_waitcnt lgkmcnt(0)
	v_cmp_lt_i64_e64 s[6:7], s[52:53], 1
	s_and_b64 vcc, exec, s[6:7]
	s_cbranch_vccz .LBB156_13
	s_branch .LBB156_95
.LBB156_11:
	s_waitcnt lgkmcnt(0)
	s_lshl_b64 s[12:13], s[8:9], 3
	s_add_u32 s12, s10, s12
	s_addc_u32 s13, s11, s13
	s_load_dwordx2 s[12:13], s[12:13], 0x0
	s_waitcnt lgkmcnt(0)
	s_sub_u32 s62, s12, s28
	s_subb_u32 s63, s13, 0
	s_and_b64 vcc, exec, s[6:7]
	s_cbranch_vccnz .LBB156_10
.LBB156_12:
	s_waitcnt lgkmcnt(0)
	s_lshl_b64 s[6:7], s[8:9], 3
	s_add_u32 s6, s10, s6
	s_addc_u32 s7, s11, s7
	s_load_dwordx2 s[6:7], s[6:7], 0x8
	s_waitcnt lgkmcnt(0)
	s_sub_u32 s60, s6, s28
	s_subb_u32 s61, s7, 0
	s_load_dwordx4 s[52:55], s[4:5], 0x8
	s_waitcnt lgkmcnt(0)
	v_cmp_lt_i64_e64 s[6:7], s[52:53], 1
	s_and_b64 vcc, exec, s[6:7]
	s_cbranch_vccnz .LBB156_95
.LBB156_13:
	s_load_dwordx2 s[64:65], s[4:5], 0xa8
	s_load_dwordx4 s[56:59], s[4:5], 0x98
	s_load_dwordx8 s[36:43], s[4:5], 0x78
	s_load_dwordx2 s[26:27], s[4:5], 0x60
	s_load_dwordx8 s[44:51], s[4:5], 0x40
	s_lshl_b64 s[12:13], s[8:9], 3
	s_mul_i32 s10, s54, s55
	s_waitcnt lgkmcnt(0)
	s_add_u32 s6, s42, s12
	s_addc_u32 s7, s43, s13
	s_load_dwordx2 s[6:7], s[6:7], 0x0
	s_mul_hi_u32 s11, s54, s54
	v_bfe_u32 v4, v0, 2, 2
	v_lshlrev_b32_e32 v21, 4, v0
	v_pk_mov_b32 v[2:3], s[60:61], s[60:61] op_sel:[0,1]
	s_waitcnt lgkmcnt(0)
	s_sub_u32 s76, s6, s30
	s_subb_u32 s77, s7, 0
	s_add_i32 s11, s11, s10
	s_add_i32 s43, s11, s10
	v_mad_u64_u32 v[18:19], s[10:11], v4, s54, 0
	v_mov_b32_e32 v20, v19
	v_mad_u64_u32 v[22:23], s[10:11], v4, s55, v[20:21]
	v_mov_b32_e32 v19, v22
	v_lshlrev_b64 v[22:23], 4, v[18:19]
	v_and_b32_e32 v16, 3, v0
	v_cmp_lt_i64_e32 vcc, s[62:63], v[2:3]
	v_mov_b32_e32 v3, s47
	v_add_co_u32_e64 v20, s[10:11], s46, v22
	v_addc_co_u32_e64 v3, s[10:11], v3, v23, s[10:11]
	v_lshlrev_b32_e32 v18, 4, v16
	v_mov_b32_e32 v2, 0
	v_add_co_u32_e64 v49, s[10:11], v20, v18
	v_mov_b32_e32 v17, v2
	v_mov_b32_e32 v5, v2
	v_addc_co_u32_e64 v50, s[10:11], 0, v3, s[10:11]
	v_cmp_gt_i64_e64 s[16:17], s[54:55], v[16:17]
	v_cmp_gt_i64_e64 s[10:11], s[54:55], v[4:5]
	s_and_b64 s[46:47], s[16:17], s[10:11]
	v_mad_u64_u32 v[24:25], s[10:11], v16, s54, 0
	v_mov_b32_e32 v20, v25
	v_mad_u64_u32 v[26:27], s[10:11], v16, s55, v[20:21]
	v_mov_b32_e32 v25, v26
	v_lshlrev_b64 v[24:25], 4, v[24:25]
	v_mov_b32_e32 v3, s41
	v_add_co_u32_e64 v17, s[10:11], s40, v24
	v_addc_co_u32_e64 v20, s[10:11], v3, v25, s[10:11]
	v_lshlrev_b64 v[26:27], 4, v[4:5]
	v_cmp_gt_u64_e64 s[14:15], s[54:55], v[4:5]
	v_add_co_u32_e64 v5, s[10:11], v17, v26
	s_load_dword s18, s[4:5], 0x0
	v_addc_co_u32_e64 v20, s[10:11], v20, v27, s[10:11]
	v_add_co_u32_e64 v17, s[10:11], s40, v22
	v_addc_co_u32_e64 v3, s[10:11], v3, v23, s[10:11]
	v_add_co_u32_e64 v28, s[10:11], v17, v18
	v_lshrrev_b32_e32 v14, 4, v0
	v_addc_co_u32_e64 v3, s[10:11], 0, v3, s[10:11]
	s_waitcnt lgkmcnt(0)
	s_cmp_eq_u32 s18, 0
	v_subrev_co_u32_e64 v51, s[10:11], s31, v14
	v_and_b32_e32 v1, 15, v0
	s_cselect_b64 s[24:25], -1, 0
	s_cmp_lg_u32 s18, 0
	v_subb_co_u32_e64 v52, s[10:11], 0, 0, s[10:11]
	s_cselect_b64 s[40:41], -1, 0
	s_add_u32 s36, s36, s12
	v_cmp_eq_u32_e64 s[10:11], 15, v1
	v_and_b32_e32 v1, 31, v0
	s_addc_u32 s37, s37, s13
	v_add_co_u32_e64 v30, s[12:13], -1, v1
	v_mov_b32_e32 v31, 0x3000
	v_lshl_add_u32 v54, v30, 2, v31
	v_mov_b32_e32 v30, s59
	v_add_co_u32_e64 v24, s[18:19], s58, v24
	v_addc_co_u32_e64 v25, s[18:19], v30, v25, s[18:19]
	v_add_co_u32_e64 v24, s[18:19], v24, v26
	v_addc_co_u32_e64 v25, s[18:19], v25, v27, s[18:19]
	v_add_co_u32_e64 v22, s[18:19], s58, v22
	s_and_b64 s[58:59], s[20:21], vcc
	s_and_b64 s[66:67], s[16:17], s[14:15]
	s_mov_b32 s93, s31
	s_add_u32 s31, s48, 8
	s_addc_u32 s95, s49, 0
	s_add_u32 s96, s56, -8
	s_movk_i32 s6, 0x200
	s_addc_u32 s97, s57, -1
	v_cmp_gt_u32_e64 s[4:5], 32, v0
	v_cmp_gt_u32_e64 s[6:7], s6, v0
	v_cmp_eq_u32_e64 s[8:9], 0, v0
	v_and_b32_e32 v17, 12, v0
	v_addc_co_u32_e64 v23, s[18:19], v30, v23, s[18:19]
	v_lshl_or_b32 v55, v0, 2, v31
	v_or_b32_e32 v60, 0xffffff00, v0
	s_add_u32 s56, s26, 8
	v_lshlrev_b32_e32 v0, 4, v4
	v_add_co_u32_e64 v22, s[18:19], v22, v18
	s_addc_u32 s57, s27, 0
	v_lshl_or_b32 v0, v14, 8, v0
	v_addc_co_u32_e64 v23, s[18:19], 0, v23, s[18:19]
	v_cndmask_b32_e64 v3, v20, v3, s[24:25]
	v_cndmask_b32_e64 v20, v24, v22, s[24:25]
	v_add_u32_e32 v61, 0x2000, v0
	v_mov_b32_e32 v0, s57
	v_add_co_u32_e32 v22, vcc, s56, v18
	v_lshlrev_b32_e32 v29, 2, v1
	v_cmp_ne_u32_e64 s[14:15], 0, v1
	v_cmp_lt_u32_e64 s[16:17], 1, v1
	v_cmp_lt_u32_e64 s[18:19], 3, v1
	;; [unrolled: 1-line block ×4, first 2 shown]
	v_cndmask_b32_e64 v5, v5, v28, s[24:25]
	v_cndmask_b32_e64 v1, v25, v23, s[24:25]
	v_addc_co_u32_e32 v23, vcc, 0, v0, vcc
	v_add_co_u32_e32 v24, vcc, 8, v5
	v_addc_co_u32_e32 v25, vcc, 0, v3, vcc
	s_mov_b32 s33, 0
	s_mul_i32 s42, s54, s54
	v_or_b32_e32 v53, 0x3000, v29
	v_add_u32_e32 v56, 0x2ff8, v29
	v_add_u32_e32 v57, 0x2ff0, v29
	;; [unrolled: 1-line block ×4, first 2 shown]
	v_and_b32_e32 v0, 0xfc0, v21
	v_add_co_u32_e32 v63, vcc, 16, v51
	v_mov_b32_e32 v28, 32
	v_mov_b32_e32 v15, v2
	v_or_b32_e32 v48, 0x2000, v21
	v_mov_b32_e32 v19, v2
	s_mov_b32 s92, s33
	s_mov_b32 s94, s33
	s_lshl_b64 s[68:69], s[54:55], 4
	s_lshl_b64 s[70:71], s[42:43], 4
	v_or_b32_e32 v62, 0x2000, v0
	s_lshl_b64 s[72:73], s[42:43], 8
	v_addc_co_u32_e32 v64, vcc, 0, v52, vcc
	v_lshl_or_b32 v65, v14, 2, v31
	s_mov_b64 s[74:75], 0
	v_mov_b32_e32 v29, 0
	v_pk_mov_b32 v[26:27], s[76:77], s[76:77] op_sel:[0,1]
	v_mov_b32_e32 v66, 1
	s_branch .LBB156_15
.LBB156_14:                             ;   in Loop: Header=BB156_15 Depth=1
	s_or_b64 exec, exec, s[24:25]
	s_barrier
	ds_read_b64 v[4:5], v2 offset:12416
	v_ashrrev_i32_e32 v0, 31, v28
	v_add_co_u32_e32 v26, vcc, v26, v28
	v_addc_co_u32_e32 v27, vcc, v27, v0, vcc
	s_waitcnt lgkmcnt(0)
	v_add_co_u32_e32 v28, vcc, 32, v4
	v_addc_co_u32_e32 v29, vcc, 0, v5, vcc
	v_cmp_le_i64_e32 vcc, s[52:53], v[4:5]
	v_readfirstlane_b32 s74, v4
	v_readfirstlane_b32 s75, v5
	s_barrier
	s_cbranch_vccnz .LBB156_95
.LBB156_15:                             ; =>This Loop Header: Depth=1
                                        ;     Child Loop BB156_19 Depth 2
                                        ;     Child Loop BB156_25 Depth 2
                                        ;       Child Loop BB156_41 Depth 3
                                        ;         Child Loop BB156_53 Depth 4
                                        ;         Child Loop BB156_49 Depth 4
                                        ;     Child Loop BB156_63 Depth 2
                                        ;     Child Loop BB156_72 Depth 2
	;; [unrolled: 1-line block ×3, first 2 shown]
	s_and_saveexec_b64 s[24:25], s[4:5]
	s_cbranch_execz .LBB156_17
; %bb.16:                               ;   in Loop: Header=BB156_15 Depth=1
	ds_write_b32 v55, v2
.LBB156_17:                             ;   in Loop: Header=BB156_15 Depth=1
	s_or_b64 exec, exec, s[24:25]
	s_and_saveexec_b64 s[24:25], s[6:7]
	s_cbranch_execz .LBB156_20
; %bb.18:                               ;   in Loop: Header=BB156_15 Depth=1
	s_mov_b64 s[26:27], 0
	v_mov_b32_e32 v0, v21
	v_mov_b32_e32 v30, v60
.LBB156_19:                             ;   Parent Loop BB156_15 Depth=1
                                        ; =>  This Inner Loop Header: Depth=2
	v_add_co_u32_e32 v30, vcc, 0x100, v30
	s_xor_b64 s[76:77], vcc, -1
	v_mov_b32_e32 v3, v2
	v_mov_b32_e32 v4, v2
	;; [unrolled: 1-line block ×3, first 2 shown]
	s_and_b64 s[76:77], exec, s[76:77]
	ds_write_b128 v0, v[2:5]
	s_or_b64 s[26:27], s[76:77], s[26:27]
	v_add_u32_e32 v0, 0x1000, v0
	s_andn2_b64 exec, exec, s[26:27]
	s_cbranch_execnz .LBB156_19
.LBB156_20:                             ;   in Loop: Header=BB156_15 Depth=1
	s_or_b64 exec, exec, s[24:25]
	s_and_saveexec_b64 s[24:25], s[8:9]
	s_cbranch_execz .LBB156_22
; %bb.21:                               ;   in Loop: Header=BB156_15 Depth=1
	v_pk_mov_b32 v[4:5], s[52:53], s[52:53] op_sel:[0,1]
	ds_write_b64 v2, v[4:5] offset:12416
.LBB156_22:                             ;   in Loop: Header=BB156_15 Depth=1
	s_or_b64 exec, exec, s[24:25]
	s_andn2_b64 vcc, exec, s[58:59]
	v_pk_mov_b32 v[30:31], s[52:53], s[52:53] op_sel:[0,1]
	s_waitcnt lgkmcnt(0)
	s_barrier
	s_cbranch_vccnz .LBB156_58
; %bb.23:                               ;   in Loop: Header=BB156_15 Depth=1
	s_cmp_lg_u64 s[74:75], 0
	s_cselect_b64 s[76:77], -1, 0
	v_pk_mov_b32 v[30:31], s[52:53], s[52:53] op_sel:[0,1]
	s_mov_b64 s[78:79], s[62:63]
	s_branch .LBB156_25
.LBB156_24:                             ;   in Loop: Header=BB156_25 Depth=2
	s_or_b64 exec, exec, s[26:27]
	s_add_u32 s78, s78, 16
	s_addc_u32 s79, s79, 0
	v_pk_mov_b32 v[4:5], s[60:61], s[60:61] op_sel:[0,1]
	v_cmp_lt_i64_e32 vcc, s[78:79], v[4:5]
	s_cbranch_vccz .LBB156_58
.LBB156_25:                             ;   Parent Loop BB156_15 Depth=1
                                        ; =>  This Loop Header: Depth=2
                                        ;       Child Loop BB156_41 Depth 3
                                        ;         Child Loop BB156_53 Depth 4
                                        ;         Child Loop BB156_49 Depth 4
	v_mov_b32_e32 v0, s79
	v_add_co_u32_e32 v34, vcc, s78, v14
	v_addc_co_u32_e32 v35, vcc, 0, v0, vcc
	v_cmp_gt_i64_e64 s[24:25], s[60:61], v[34:35]
	s_barrier
	s_and_saveexec_b64 s[26:27], s[24:25]
	s_cbranch_execz .LBB156_30
; %bb.26:                               ;   in Loop: Header=BB156_25 Depth=2
	s_and_saveexec_b64 s[80:81], s[66:67]
	s_xor_b64 s[80:81], exec, s[80:81]
	s_cbranch_execz .LBB156_28
; %bb.27:                               ;   in Loop: Header=BB156_25 Depth=2
	v_mul_lo_u32 v0, v35, s42
	v_mul_lo_u32 v3, v34, s43
	v_mad_u64_u32 v[4:5], s[82:83], v34, s42, 0
	v_add3_u32 v5, v5, v3, v0
	v_lshlrev_b64 v[4:5], 4, v[4:5]
	v_add_co_u32_e32 v4, vcc, v49, v4
	v_addc_co_u32_e32 v5, vcc, v50, v5, vcc
	global_load_dwordx4 v[36:39], v[4:5], off
	s_waitcnt vmcnt(0)
	ds_write2_b64 v48, v[36:37], v[38:39] offset1:1
.LBB156_28:                             ;   in Loop: Header=BB156_25 Depth=2
	s_andn2_saveexec_b64 s[80:81], s[80:81]
	s_cbranch_execz .LBB156_30
; %bb.29:                               ;   in Loop: Header=BB156_25 Depth=2
	v_mov_b32_e32 v3, v2
	v_mov_b32_e32 v4, v2
	;; [unrolled: 1-line block ×3, first 2 shown]
	ds_write_b128 v48, v[2:5]
.LBB156_30:                             ;   in Loop: Header=BB156_25 Depth=2
	s_or_b64 exec, exec, s[26:27]
	v_pk_mov_b32 v[32:33], 0, 0
	v_lshlrev_b64 v[4:5], 3, v[34:35]
	s_waitcnt lgkmcnt(0)
	s_barrier
	s_and_saveexec_b64 s[80:81], s[24:25]
	s_cbranch_execz .LBB156_56
; %bb.31:                               ;   in Loop: Header=BB156_25 Depth=2
	v_mov_b32_e32 v0, s45
	v_add_co_u32_e32 v32, vcc, s44, v4
	v_addc_co_u32_e32 v33, vcc, v0, v5, vcc
	global_load_dwordx2 v[34:35], v[32:33], off
	s_and_b64 vcc, exec, s[76:77]
	s_cbranch_vccz .LBB156_33
; %bb.32:                               ;   in Loop: Header=BB156_25 Depth=2
	v_mov_b32_e32 v0, s65
	v_add_co_u32_e32 v32, vcc, s64, v4
	v_addc_co_u32_e32 v33, vcc, v0, v5, vcc
	global_load_dwordx2 v[32:33], v[32:33], off
	s_mov_b64 s[26:27], 0
	s_branch .LBB156_34
.LBB156_33:                             ;   in Loop: Header=BB156_25 Depth=2
	s_mov_b64 s[26:27], -1
                                        ; implicit-def: $vgpr32_vgpr33
.LBB156_34:                             ;   in Loop: Header=BB156_25 Depth=2
	v_mov_b32_e32 v0, s92
	s_waitcnt vmcnt(0)
	v_subrev_co_u32_e32 v34, vcc, s28, v34
	v_subb_co_u32_e32 v35, vcc, v35, v0, vcc
	s_andn2_b64 vcc, exec, s[26:27]
	v_lshlrev_b64 v[34:35], 3, v[34:35]
	s_cbranch_vccnz .LBB156_36
; %bb.35:                               ;   in Loop: Header=BB156_25 Depth=2
	v_mov_b32_e32 v0, s49
	v_add_co_u32_e32 v32, vcc, s48, v34
	v_addc_co_u32_e32 v33, vcc, v0, v35, vcc
	global_load_dwordx2 v[32:33], v[32:33], off
	v_mov_b32_e32 v0, s33
	s_waitcnt vmcnt(0)
	v_subrev_co_u32_e32 v32, vcc, s29, v32
	v_subb_co_u32_e32 v33, vcc, v33, v0, vcc
.LBB156_36:                             ;   in Loop: Header=BB156_25 Depth=2
	v_mov_b32_e32 v0, s95
	v_add_co_u32_e32 v34, vcc, s31, v34
	v_addc_co_u32_e32 v35, vcc, v0, v35, vcc
	global_load_dwordx2 v[34:35], v[34:35], off
	v_mov_b32_e32 v0, s33
	s_waitcnt vmcnt(0)
	v_subrev_co_u32_e32 v34, vcc, s29, v34
	v_subb_co_u32_e32 v35, vcc, v35, v0, vcc
	v_cmp_lt_i64_e32 vcc, v[32:33], v[34:35]
	s_and_saveexec_b64 s[82:83], vcc
	s_cbranch_execz .LBB156_55
; %bb.37:                               ;   in Loop: Header=BB156_25 Depth=2
	v_mad_u64_u32 v[36:37], s[26:27], s68, v32, v[18:19]
	v_mul_lo_u32 v0, s68, v33
	v_mul_lo_u32 v3, s69, v32
	v_add3_u32 v0, v3, v37, v0
	v_pk_mov_b32 v[38:39], s[56:57], s[56:57] op_sel:[0,1]
	v_mul_lo_u32 v3, s55, v36
	v_mul_lo_u32 v0, s54, v0
	v_mad_u64_u32 v[36:37], s[26:27], s54, v36, v[38:39]
	v_add3_u32 v37, v3, v37, v0
	v_mad_u64_u32 v[38:39], s[26:27], s70, v32, v[22:23]
	v_mul_lo_u32 v0, s70, v33
	v_mul_lo_u32 v3, s71, v32
	v_add3_u32 v39, v3, v39, v0
	s_mov_b64 s[84:85], 0
	v_pk_mov_b32 v[40:41], v[32:33], v[32:33] op_sel:[0,1]
	s_branch .LBB156_41
.LBB156_38:                             ;   in Loop: Header=BB156_41 Depth=3
	v_lshlrev_b32_e32 v0, 4, v0
	v_or3_b32 v0, v0, v17, v16
	v_mul_f64 v[46:47], v[44:45], -v[10:11]
	v_lshlrev_b32_e32 v0, 4, v0
	v_fmac_f64_e32 v[46:47], v[6:7], v[42:43]
	v_mul_f64 v[44:45], v[6:7], v[44:45]
	v_fmac_f64_e32 v[44:45], v[10:11], v[42:43]
	ds_add_f64 v0, v[46:47]
	ds_add_f64 v0, v[44:45] offset:8
.LBB156_39:                             ;   in Loop: Header=BB156_41 Depth=3
	s_or_b64 exec, exec, s[88:89]
	s_or_b64 s[26:27], s[26:27], exec
.LBB156_40:                             ;   in Loop: Header=BB156_41 Depth=3
	s_or_b64 exec, exec, s[86:87]
	v_add_co_u32_e32 v40, vcc, 1, v40
	v_addc_co_u32_e32 v41, vcc, 0, v41, vcc
	v_cmp_ge_i64_e32 vcc, v[40:41], v[34:35]
	s_xor_b64 s[26:27], s[26:27], -1
	s_or_b64 s[26:27], s[26:27], vcc
	v_mov_b32_e32 v0, s71
	v_add_co_u32_e32 v36, vcc, s70, v36
	v_addc_co_u32_e32 v37, vcc, v37, v0, vcc
	s_and_b64 s[26:27], exec, s[26:27]
	v_add_co_u32_e32 v38, vcc, s70, v38
	s_or_b64 s[84:85], s[26:27], s[84:85]
	v_addc_co_u32_e32 v39, vcc, v39, v0, vcc
	s_andn2_b64 exec, exec, s[84:85]
	s_cbranch_execz .LBB156_54
.LBB156_41:                             ;   Parent Loop BB156_15 Depth=1
                                        ;     Parent Loop BB156_25 Depth=2
                                        ; =>    This Loop Header: Depth=3
                                        ;         Child Loop BB156_53 Depth 4
                                        ;         Child Loop BB156_49 Depth 4
	v_lshlrev_b64 v[42:43], 3, v[40:41]
	v_mov_b32_e32 v0, s51
	v_add_co_u32_e32 v42, vcc, s50, v42
	v_addc_co_u32_e32 v43, vcc, v0, v43, vcc
	global_load_dwordx2 v[42:43], v[42:43], off
	v_mov_b32_e32 v0, s33
	s_waitcnt vmcnt(0)
	v_subrev_co_u32_e32 v42, vcc, s29, v42
	v_subb_co_u32_e32 v43, vcc, v43, v0, vcc
	v_cmp_gt_i64_e64 s[26:27], s[74:75], v[42:43]
	v_cmp_ge_i64_e32 vcc, v[42:43], v[28:29]
	s_or_b64 s[86:87], s[26:27], vcc
                                        ; implicit-def: $sgpr26_sgpr27
	s_and_saveexec_b64 s[88:89], s[86:87]
	s_xor_b64 s[86:87], exec, s[88:89]
	s_cbranch_execz .LBB156_45
; %bb.42:                               ;   in Loop: Header=BB156_41 Depth=3
	s_mov_b64 s[26:27], -1
	s_and_saveexec_b64 s[88:89], vcc
; %bb.43:                               ;   in Loop: Header=BB156_41 Depth=3
	v_cmp_lt_i64_e32 vcc, v[42:43], v[30:31]
	v_cndmask_b32_e32 v31, v31, v43, vcc
	v_cndmask_b32_e32 v30, v30, v42, vcc
	s_xor_b64 s[26:27], exec, -1
	v_pk_mov_b32 v[32:33], v[40:41], v[40:41] op_sel:[0,1]
; %bb.44:                               ;   in Loop: Header=BB156_41 Depth=3
	s_or_b64 exec, exec, s[88:89]
	s_and_b64 s[26:27], s[26:27], exec
                                        ; implicit-def: $vgpr42_vgpr43
.LBB156_45:                             ;   in Loop: Header=BB156_41 Depth=3
	s_andn2_saveexec_b64 s[86:87], s[86:87]
	s_cbranch_execz .LBB156_40
; %bb.46:                               ;   in Loop: Header=BB156_41 Depth=3
	v_subrev_u32_e32 v0, s74, v42
	v_lshlrev_b32_e32 v3, 2, v0
	ds_write_b32 v3, v66 offset:12288
	s_and_saveexec_b64 s[88:89], s[46:47]
	s_cbranch_execz .LBB156_39
; %bb.47:                               ;   in Loop: Header=BB156_41 Depth=3
	s_andn2_b64 vcc, exec, s[40:41]
	s_cbranch_vccnz .LBB156_51
; %bb.48:                               ;   in Loop: Header=BB156_41 Depth=3
	v_pk_mov_b32 v[42:43], 0, 0
	v_mov_b32_e32 v3, v61
	s_mov_b64 s[90:91], s[54:55]
	v_pk_mov_b32 v[46:47], v[36:37], v[36:37] op_sel:[0,1]
	v_pk_mov_b32 v[44:45], v[42:43], v[42:43] op_sel:[0,1]
.LBB156_49:                             ;   Parent Loop BB156_15 Depth=1
                                        ;     Parent Loop BB156_25 Depth=2
                                        ;       Parent Loop BB156_41 Depth=3
                                        ; =>      This Inner Loop Header: Depth=4
	global_load_dwordx4 v[68:71], v[46:47], off offset:-8
	ds_read_b128 v[72:75], v3
	s_add_u32 s90, s90, -1
	v_add_co_u32_e32 v46, vcc, 16, v46
	s_addc_u32 s91, s91, -1
	v_addc_co_u32_e32 v47, vcc, 0, v47, vcc
	v_add_u32_e32 v3, 64, v3
	s_cmp_lg_u64 s[90:91], 0
	s_waitcnt vmcnt(0) lgkmcnt(0)
	v_fmac_f64_e32 v[42:43], v[72:73], v[68:69]
	v_fmac_f64_e32 v[44:45], v[74:75], v[68:69]
	v_fma_f64 v[42:43], -v[74:75], v[70:71], v[42:43]
	v_fmac_f64_e32 v[44:45], v[72:73], v[70:71]
	s_cbranch_scc1 .LBB156_49
; %bb.50:                               ;   in Loop: Header=BB156_41 Depth=3
	s_branch .LBB156_38
.LBB156_51:                             ;   in Loop: Header=BB156_41 Depth=3
                                        ; implicit-def: $vgpr42_vgpr43
                                        ; implicit-def: $vgpr44_vgpr45
	s_cbranch_execz .LBB156_38
; %bb.52:                               ;   in Loop: Header=BB156_41 Depth=3
	v_pk_mov_b32 v[42:43], 0, 0
	v_mov_b32_e32 v3, v62
	v_pk_mov_b32 v[46:47], v[38:39], v[38:39] op_sel:[0,1]
	s_mov_b64 s[90:91], s[54:55]
	v_pk_mov_b32 v[44:45], v[42:43], v[42:43] op_sel:[0,1]
.LBB156_53:                             ;   Parent Loop BB156_15 Depth=1
                                        ;     Parent Loop BB156_25 Depth=2
                                        ;       Parent Loop BB156_41 Depth=3
                                        ; =>      This Inner Loop Header: Depth=4
	global_load_dwordx4 v[68:71], v[46:47], off offset:-8
	ds_read_b128 v[72:75], v3
	s_add_u32 s90, s90, -1
	v_mov_b32_e32 v67, s69
	v_add_co_u32_e32 v46, vcc, s68, v46
	s_addc_u32 s91, s91, -1
	v_add_u32_e32 v3, 16, v3
	v_addc_co_u32_e32 v47, vcc, v47, v67, vcc
	s_cmp_eq_u64 s[90:91], 0
	s_waitcnt vmcnt(0) lgkmcnt(0)
	v_fmac_f64_e32 v[42:43], v[72:73], v[68:69]
	v_fmac_f64_e32 v[44:45], v[74:75], v[68:69]
	v_fma_f64 v[42:43], -v[74:75], v[70:71], v[42:43]
	v_fmac_f64_e32 v[44:45], v[72:73], v[70:71]
	s_cbranch_scc0 .LBB156_53
	s_branch .LBB156_38
.LBB156_54:                             ;   in Loop: Header=BB156_25 Depth=2
	s_or_b64 exec, exec, s[84:85]
.LBB156_55:                             ;   in Loop: Header=BB156_25 Depth=2
	s_or_b64 exec, exec, s[82:83]
.LBB156_56:                             ;   in Loop: Header=BB156_25 Depth=2
	s_or_b64 exec, exec, s[80:81]
	s_waitcnt lgkmcnt(0)
	s_barrier
	s_and_saveexec_b64 s[26:27], s[24:25]
	s_cbranch_execz .LBB156_24
; %bb.57:                               ;   in Loop: Header=BB156_25 Depth=2
	v_mov_b32_e32 v0, s65
	v_add_co_u32_e32 v4, vcc, s64, v4
	v_addc_co_u32_e32 v5, vcc, v0, v5, vcc
	global_store_dwordx2 v[4:5], v[32:33], off
	s_branch .LBB156_24
.LBB156_58:                             ;   in Loop: Header=BB156_15 Depth=1
	s_andn2_b64 vcc, exec, s[34:35]
	s_cbranch_vccnz .LBB156_70
; %bb.59:                               ;   in Loop: Header=BB156_15 Depth=1
	s_load_dwordx4 s[24:27], s[36:37], 0x0
	s_waitcnt lgkmcnt(0)
	s_sub_u32 s26, s26, s93
	v_mov_b32_e32 v0, s25
	v_add_co_u32_e32 v34, vcc, s24, v51
	s_subb_u32 s27, s27, 0
	v_addc_co_u32_e32 v35, vcc, v0, v52, vcc
	v_cmp_gt_i64_e32 vcc, s[26:27], v[34:35]
	s_and_saveexec_b64 s[76:77], vcc
	s_cbranch_execz .LBB156_69
; %bb.60:                               ;   in Loop: Header=BB156_15 Depth=1
	v_lshlrev_b64 v[4:5], 3, v[34:35]
	v_mov_b32_e32 v0, s39
	v_add_co_u32_e32 v4, vcc, s38, v4
	v_addc_co_u32_e32 v5, vcc, v0, v5, vcc
	v_mad_u64_u32 v[32:33], s[78:79], s70, v34, v[24:25]
	v_mul_lo_u32 v0, s70, v35
	v_mul_lo_u32 v3, s71, v34
	v_add3_u32 v33, v3, v33, v0
	v_mov_b32_e32 v0, s25
	v_add_co_u32_e32 v34, vcc, s24, v63
	v_addc_co_u32_e32 v35, vcc, v64, v0, vcc
	s_mov_b64 s[78:79], 0
	s_branch .LBB156_63
.LBB156_61:                             ;   in Loop: Header=BB156_63 Depth=2
	s_or_b64 exec, exec, s[82:83]
	s_or_b64 s[24:25], s[24:25], exec
.LBB156_62:                             ;   in Loop: Header=BB156_63 Depth=2
	s_or_b64 exec, exec, s[80:81]
	v_cmp_le_i64_e32 vcc, s[26:27], v[34:35]
	s_xor_b64 s[24:25], s[24:25], -1
	s_or_b64 s[24:25], s[24:25], vcc
	v_add_co_u32_e32 v4, vcc, 0x80, v4
	v_addc_co_u32_e32 v5, vcc, 0, v5, vcc
	v_mov_b32_e32 v0, s73
	v_add_co_u32_e32 v32, vcc, s72, v32
	v_addc_co_u32_e32 v33, vcc, v33, v0, vcc
	s_and_b64 s[24:25], exec, s[24:25]
	v_add_co_u32_e32 v34, vcc, 16, v34
	s_or_b64 s[78:79], s[24:25], s[78:79]
	v_addc_co_u32_e32 v35, vcc, 0, v35, vcc
	s_andn2_b64 exec, exec, s[78:79]
	s_cbranch_execz .LBB156_68
.LBB156_63:                             ;   Parent Loop BB156_15 Depth=1
                                        ; =>  This Inner Loop Header: Depth=2
	global_load_dwordx2 v[36:37], v[4:5], off
	v_mov_b32_e32 v0, s94
	s_waitcnt vmcnt(0)
	v_subrev_co_u32_e32 v36, vcc, s93, v36
	v_subb_co_u32_e32 v37, vcc, v37, v0, vcc
	v_cmp_lt_i64_e32 vcc, v[36:37], v[28:29]
	v_cmp_gt_i64_e64 s[24:25], s[74:75], v[36:37]
	s_xor_b64 s[80:81], vcc, -1
	s_or_b64 s[80:81], s[24:25], s[80:81]
                                        ; implicit-def: $sgpr24_sgpr25
	s_and_saveexec_b64 s[82:83], s[80:81]
	s_xor_b64 s[80:81], exec, s[82:83]
; %bb.64:                               ;   in Loop: Header=BB156_63 Depth=2
	v_cmp_lt_i64_e64 s[24:25], v[36:37], v[30:31]
	v_cndmask_b32_e64 v0, v30, v36, s[24:25]
	v_cndmask_b32_e64 v3, v31, v37, s[24:25]
	v_cndmask_b32_e32 v31, v3, v31, vcc
	v_cndmask_b32_e32 v30, v0, v30, vcc
	s_and_b64 s[24:25], vcc, exec
                                        ; implicit-def: $vgpr36
; %bb.65:                               ;   in Loop: Header=BB156_63 Depth=2
	s_andn2_saveexec_b64 s[80:81], s[80:81]
	s_cbranch_execz .LBB156_62
; %bb.66:                               ;   in Loop: Header=BB156_63 Depth=2
	v_subrev_u32_e32 v0, s74, v36
	v_lshlrev_b32_e32 v3, 2, v0
	ds_write_b32 v3, v66 offset:12288
	s_and_saveexec_b64 s[82:83], s[66:67]
	s_cbranch_execz .LBB156_61
; %bb.67:                               ;   in Loop: Header=BB156_63 Depth=2
	global_load_dwordx4 v[36:39], v[32:33], off offset:-8
	v_lshlrev_b32_e32 v0, 4, v0
	v_or3_b32 v0, v0, v17, v16
	v_lshlrev_b32_e32 v0, 4, v0
	s_waitcnt vmcnt(0)
	v_mul_f64 v[40:41], v[38:39], -v[8:9]
	v_mul_f64 v[38:39], v[12:13], v[38:39]
	v_fmac_f64_e32 v[40:41], v[12:13], v[36:37]
	v_fmac_f64_e32 v[38:39], v[8:9], v[36:37]
	ds_add_f64 v0, v[40:41]
	ds_add_f64 v0, v[38:39] offset:8
	s_branch .LBB156_61
.LBB156_68:                             ;   in Loop: Header=BB156_15 Depth=1
	s_or_b64 exec, exec, s[78:79]
.LBB156_69:                             ;   in Loop: Header=BB156_15 Depth=1
	s_or_b64 exec, exec, s[76:77]
.LBB156_70:                             ;   in Loop: Header=BB156_15 Depth=1
	s_and_saveexec_b64 s[24:25], s[10:11]
	s_cbranch_execz .LBB156_75
; %bb.71:                               ;   in Loop: Header=BB156_15 Depth=1
	s_mov_b64 s[76:77], exec
	s_mov_b64 s[26:27], -1
.LBB156_72:                             ;   Parent Loop BB156_15 Depth=1
                                        ; =>  This Inner Loop Header: Depth=2
	s_ff1_i32_b64 s80, s[76:77]
	v_readlane_b32 s81, v31, s80
	v_readlane_b32 s82, v30, s80
	v_mov_b32_e32 v4, s82
	v_mov_b32_e32 v5, s81
	v_cmp_lt_u64_e32 vcc, s[26:27], v[4:5]
	s_and_b64 s[78:79], vcc, exec
	s_cselect_b32 s27, s27, s81
	s_cselect_b32 s26, s26, s82
	s_lshl_b64 s[78:79], 1, s80
	s_andn2_b64 s[76:77], s[76:77], s[78:79]
	s_cmp_lg_u64 s[76:77], 0
	s_cbranch_scc1 .LBB156_72
; %bb.73:                               ;   in Loop: Header=BB156_15 Depth=1
	v_mbcnt_lo_u32_b32 v0, exec_lo, 0
	v_mbcnt_hi_u32_b32 v0, exec_hi, v0
	v_cmp_eq_u32_e32 vcc, 0, v0
	s_and_saveexec_b64 s[76:77], vcc
	s_xor_b64 s[76:77], exec, s[76:77]
	s_cbranch_execz .LBB156_75
; %bb.74:                               ;   in Loop: Header=BB156_15 Depth=1
	v_pk_mov_b32 v[4:5], s[26:27], s[26:27] op_sel:[0,1]
	ds_min_u64 v2, v[4:5] offset:12416
.LBB156_75:                             ;   in Loop: Header=BB156_15 Depth=1
	s_or_b64 exec, exec, s[24:25]
	s_waitcnt lgkmcnt(0)
	s_barrier
	ds_read_b32 v0, v53
	s_waitcnt lgkmcnt(0)
	s_barrier
	s_and_saveexec_b64 s[24:25], s[14:15]
	s_cbranch_execz .LBB156_77
; %bb.76:                               ;   in Loop: Header=BB156_15 Depth=1
	ds_read_b32 v3, v54
	s_waitcnt lgkmcnt(0)
	v_add_u32_e32 v0, v3, v0
.LBB156_77:                             ;   in Loop: Header=BB156_15 Depth=1
	s_or_b64 exec, exec, s[24:25]
	s_barrier
	ds_write_b32 v53, v0
	s_waitcnt lgkmcnt(0)
	s_barrier
	s_and_saveexec_b64 s[24:25], s[16:17]
	s_cbranch_execz .LBB156_79
; %bb.78:                               ;   in Loop: Header=BB156_15 Depth=1
	ds_read_b32 v3, v56
	s_waitcnt lgkmcnt(0)
	v_add_u32_e32 v0, v3, v0
.LBB156_79:                             ;   in Loop: Header=BB156_15 Depth=1
	s_or_b64 exec, exec, s[24:25]
	s_barrier
	ds_write_b32 v53, v0
	;; [unrolled: 12-line block ×5, first 2 shown]
	s_waitcnt lgkmcnt(0)
	s_barrier
	ds_read_b32 v28, v2 offset:12412
	v_mov_b32_e32 v3, 0
	s_and_saveexec_b64 s[24:25], s[12:13]
	s_cbranch_execz .LBB156_87
; %bb.86:                               ;   in Loop: Header=BB156_15 Depth=1
	ds_read_b32 v3, v54
.LBB156_87:                             ;   in Loop: Header=BB156_15 Depth=1
	s_or_b64 exec, exec, s[24:25]
	s_waitcnt lgkmcnt(0)
	v_cmp_eq_u32_e32 vcc, v0, v3
	s_and_b64 s[26:27], s[12:13], vcc
	s_barrier
	s_and_saveexec_b64 s[24:25], s[26:27]
	s_cbranch_execz .LBB156_89
; %bb.88:                               ;   in Loop: Header=BB156_15 Depth=1
	ds_write_b32 v53, v2
.LBB156_89:                             ;   in Loop: Header=BB156_15 Depth=1
	s_or_b64 exec, exec, s[24:25]
	s_waitcnt lgkmcnt(0)
	s_barrier
	s_and_saveexec_b64 s[24:25], s[6:7]
	s_cbranch_execz .LBB156_14
; %bb.90:                               ;   in Loop: Header=BB156_15 Depth=1
	v_add_co_u32_e32 v29, vcc, -1, v26
	s_add_u32 s76, s30, s74
	v_addc_co_u32_e32 v30, vcc, -1, v27, vcc
	s_addc_u32 s77, 0, s75
	s_mov_b64 s[26:27], 0
	v_mov_b32_e32 v31, v65
	v_mov_b32_e32 v32, v21
	v_pk_mov_b32 v[4:5], v[14:15], v[14:15] op_sel:[0,1]
	s_branch .LBB156_92
.LBB156_91:                             ;   in Loop: Header=BB156_92 Depth=2
	s_or_b64 exec, exec, s[74:75]
	v_add_co_u32_e32 v4, vcc, 16, v4
	v_addc_co_u32_e32 v5, vcc, 0, v5, vcc
	v_add_u32_e32 v0, -16, v4
	v_cmp_lt_u32_e32 vcc, 15, v0
	v_add_u32_e32 v32, 0x1000, v32
	s_or_b64 s[26:27], vcc, s[26:27]
	v_add_u32_e32 v31, 64, v31
	s_andn2_b64 exec, exec, s[26:27]
	s_cbranch_execz .LBB156_14
.LBB156_92:                             ;   Parent Loop BB156_15 Depth=1
                                        ; =>  This Inner Loop Header: Depth=2
	ds_read_b32 v0, v31
	s_waitcnt lgkmcnt(0)
	v_cmp_ne_u32_e32 vcc, 0, v0
	s_and_saveexec_b64 s[74:75], vcc
	s_cbranch_execz .LBB156_91
; %bb.93:                               ;   in Loop: Header=BB156_92 Depth=2
	v_mov_b32_e32 v33, s77
	v_add_co_u32_e32 v34, vcc, s76, v4
	v_addc_co_u32_e32 v35, vcc, v33, v5, vcc
	v_ashrrev_i32_e32 v3, 31, v0
	v_add_co_u32_e32 v36, vcc, v26, v0
	v_addc_co_u32_e32 v37, vcc, v27, v3, vcc
	v_lshlrev_b64 v[36:37], 3, v[36:37]
	v_mov_b32_e32 v33, s97
	v_add_co_u32_e32 v36, vcc, s96, v36
	v_addc_co_u32_e32 v37, vcc, v33, v37, vcc
	global_store_dwordx2 v[36:37], v[34:35], off
	s_and_b64 exec, exec, s[66:67]
	s_cbranch_execz .LBB156_91
; %bb.94:                               ;   in Loop: Header=BB156_92 Depth=2
	v_add_co_u32_e32 v0, vcc, v29, v0
	v_addc_co_u32_e32 v3, vcc, v30, v3, vcc
	v_mul_lo_u32 v3, v3, s42
	v_mul_lo_u32 v33, v0, s43
	v_mad_u64_u32 v[34:35], s[78:79], v0, s42, 0
	v_add3_u32 v35, v35, v33, v3
	v_lshlrev_b64 v[38:39], 4, v[34:35]
	ds_read2_b64 v[34:37], v32 offset1:1
	v_add_co_u32_e32 v38, vcc, v20, v38
	v_addc_co_u32_e32 v39, vcc, v1, v39, vcc
	s_waitcnt lgkmcnt(0)
	global_store_dwordx4 v[38:39], v[34:37], off
	s_branch .LBB156_91
.LBB156_95:
	s_endpgm
	.section	.rodata,"a",@progbits
	.p2align	6, 0x0
	.amdhsa_kernel _ZN9rocsparseL38bsrgemm_block_per_row_atomic_multipassILj256ELj32ELj4Ell21rocsparse_complex_numIdEEEv20rocsparse_direction_T3_S4_PKS4_S6_NS_24const_host_device_scalarIT4_EEPKT2_S6_PKS8_SC_S6_SE_S9_SC_S6_SE_SC_PS4_PS8_PSA_21rocsparse_index_base_SI_SI_SI_bbb
		.amdhsa_group_segment_fixed_size 12424
		.amdhsa_private_segment_fixed_size 24
		.amdhsa_kernarg_size 196
		.amdhsa_user_sgpr_count 8
		.amdhsa_user_sgpr_private_segment_buffer 1
		.amdhsa_user_sgpr_dispatch_ptr 0
		.amdhsa_user_sgpr_queue_ptr 0
		.amdhsa_user_sgpr_kernarg_segment_ptr 1
		.amdhsa_user_sgpr_dispatch_id 0
		.amdhsa_user_sgpr_flat_scratch_init 1
		.amdhsa_user_sgpr_kernarg_preload_length 0
		.amdhsa_user_sgpr_kernarg_preload_offset 0
		.amdhsa_user_sgpr_private_segment_size 0
		.amdhsa_uses_dynamic_stack 0
		.amdhsa_system_sgpr_private_segment_wavefront_offset 1
		.amdhsa_system_sgpr_workgroup_id_x 1
		.amdhsa_system_sgpr_workgroup_id_y 0
		.amdhsa_system_sgpr_workgroup_id_z 0
		.amdhsa_system_sgpr_workgroup_info 0
		.amdhsa_system_vgpr_workitem_id 0
		.amdhsa_next_free_vgpr 76
		.amdhsa_next_free_sgpr 98
		.amdhsa_accum_offset 76
		.amdhsa_reserve_vcc 1
		.amdhsa_reserve_flat_scratch 1
		.amdhsa_float_round_mode_32 0
		.amdhsa_float_round_mode_16_64 0
		.amdhsa_float_denorm_mode_32 3
		.amdhsa_float_denorm_mode_16_64 3
		.amdhsa_dx10_clamp 1
		.amdhsa_ieee_mode 1
		.amdhsa_fp16_overflow 0
		.amdhsa_tg_split 0
		.amdhsa_exception_fp_ieee_invalid_op 0
		.amdhsa_exception_fp_denorm_src 0
		.amdhsa_exception_fp_ieee_div_zero 0
		.amdhsa_exception_fp_ieee_overflow 0
		.amdhsa_exception_fp_ieee_underflow 0
		.amdhsa_exception_fp_ieee_inexact 0
		.amdhsa_exception_int_div_zero 0
	.end_amdhsa_kernel
	.section	.text._ZN9rocsparseL38bsrgemm_block_per_row_atomic_multipassILj256ELj32ELj4Ell21rocsparse_complex_numIdEEEv20rocsparse_direction_T3_S4_PKS4_S6_NS_24const_host_device_scalarIT4_EEPKT2_S6_PKS8_SC_S6_SE_S9_SC_S6_SE_SC_PS4_PS8_PSA_21rocsparse_index_base_SI_SI_SI_bbb,"axG",@progbits,_ZN9rocsparseL38bsrgemm_block_per_row_atomic_multipassILj256ELj32ELj4Ell21rocsparse_complex_numIdEEEv20rocsparse_direction_T3_S4_PKS4_S6_NS_24const_host_device_scalarIT4_EEPKT2_S6_PKS8_SC_S6_SE_S9_SC_S6_SE_SC_PS4_PS8_PSA_21rocsparse_index_base_SI_SI_SI_bbb,comdat
.Lfunc_end156:
	.size	_ZN9rocsparseL38bsrgemm_block_per_row_atomic_multipassILj256ELj32ELj4Ell21rocsparse_complex_numIdEEEv20rocsparse_direction_T3_S4_PKS4_S6_NS_24const_host_device_scalarIT4_EEPKT2_S6_PKS8_SC_S6_SE_S9_SC_S6_SE_SC_PS4_PS8_PSA_21rocsparse_index_base_SI_SI_SI_bbb, .Lfunc_end156-_ZN9rocsparseL38bsrgemm_block_per_row_atomic_multipassILj256ELj32ELj4Ell21rocsparse_complex_numIdEEEv20rocsparse_direction_T3_S4_PKS4_S6_NS_24const_host_device_scalarIT4_EEPKT2_S6_PKS8_SC_S6_SE_S9_SC_S6_SE_SC_PS4_PS8_PSA_21rocsparse_index_base_SI_SI_SI_bbb
                                        ; -- End function
	.section	.AMDGPU.csdata,"",@progbits
; Kernel info:
; codeLenInByte = 3848
; NumSgprs: 104
; NumVgprs: 76
; NumAgprs: 0
; TotalNumVgprs: 76
; ScratchSize: 24
; MemoryBound: 0
; FloatMode: 240
; IeeeMode: 1
; LDSByteSize: 12424 bytes/workgroup (compile time only)
; SGPRBlocks: 12
; VGPRBlocks: 9
; NumSGPRsForWavesPerEU: 104
; NumVGPRsForWavesPerEU: 76
; AccumOffset: 76
; Occupancy: 5
; WaveLimiterHint : 1
; COMPUTE_PGM_RSRC2:SCRATCH_EN: 1
; COMPUTE_PGM_RSRC2:USER_SGPR: 8
; COMPUTE_PGM_RSRC2:TRAP_HANDLER: 0
; COMPUTE_PGM_RSRC2:TGID_X_EN: 1
; COMPUTE_PGM_RSRC2:TGID_Y_EN: 0
; COMPUTE_PGM_RSRC2:TGID_Z_EN: 0
; COMPUTE_PGM_RSRC2:TIDIG_COMP_CNT: 0
; COMPUTE_PGM_RSRC3_GFX90A:ACCUM_OFFSET: 18
; COMPUTE_PGM_RSRC3_GFX90A:TG_SPLIT: 0
	.section	.text._ZN9rocsparseL38bsrgemm_block_per_row_atomic_multipassILj256ELj64ELj4Ell21rocsparse_complex_numIdEEEv20rocsparse_direction_T3_S4_PKS4_S6_NS_24const_host_device_scalarIT4_EEPKT2_S6_PKS8_SC_S6_SE_S9_SC_S6_SE_SC_PS4_PS8_PSA_21rocsparse_index_base_SI_SI_SI_bbb,"axG",@progbits,_ZN9rocsparseL38bsrgemm_block_per_row_atomic_multipassILj256ELj64ELj4Ell21rocsparse_complex_numIdEEEv20rocsparse_direction_T3_S4_PKS4_S6_NS_24const_host_device_scalarIT4_EEPKT2_S6_PKS8_SC_S6_SE_S9_SC_S6_SE_SC_PS4_PS8_PSA_21rocsparse_index_base_SI_SI_SI_bbb,comdat
	.globl	_ZN9rocsparseL38bsrgemm_block_per_row_atomic_multipassILj256ELj64ELj4Ell21rocsparse_complex_numIdEEEv20rocsparse_direction_T3_S4_PKS4_S6_NS_24const_host_device_scalarIT4_EEPKT2_S6_PKS8_SC_S6_SE_S9_SC_S6_SE_SC_PS4_PS8_PSA_21rocsparse_index_base_SI_SI_SI_bbb ; -- Begin function _ZN9rocsparseL38bsrgemm_block_per_row_atomic_multipassILj256ELj64ELj4Ell21rocsparse_complex_numIdEEEv20rocsparse_direction_T3_S4_PKS4_S6_NS_24const_host_device_scalarIT4_EEPKT2_S6_PKS8_SC_S6_SE_S9_SC_S6_SE_SC_PS4_PS8_PSA_21rocsparse_index_base_SI_SI_SI_bbb
	.p2align	8
	.type	_ZN9rocsparseL38bsrgemm_block_per_row_atomic_multipassILj256ELj64ELj4Ell21rocsparse_complex_numIdEEEv20rocsparse_direction_T3_S4_PKS4_S6_NS_24const_host_device_scalarIT4_EEPKT2_S6_PKS8_SC_S6_SE_S9_SC_S6_SE_SC_PS4_PS8_PSA_21rocsparse_index_base_SI_SI_SI_bbb,@function
_ZN9rocsparseL38bsrgemm_block_per_row_atomic_multipassILj256ELj64ELj4Ell21rocsparse_complex_numIdEEEv20rocsparse_direction_T3_S4_PKS4_S6_NS_24const_host_device_scalarIT4_EEPKT2_S6_PKS8_SC_S6_SE_S9_SC_S6_SE_SC_PS4_PS8_PSA_21rocsparse_index_base_SI_SI_SI_bbb: ; @_ZN9rocsparseL38bsrgemm_block_per_row_atomic_multipassILj256ELj64ELj4Ell21rocsparse_complex_numIdEEEv20rocsparse_direction_T3_S4_PKS4_S6_NS_24const_host_device_scalarIT4_EEPKT2_S6_PKS8_SC_S6_SE_S9_SC_S6_SE_SC_PS4_PS8_PSA_21rocsparse_index_base_SI_SI_SI_bbb
; %bb.0:
	s_add_u32 flat_scratch_lo, s6, s9
	s_addc_u32 flat_scratch_hi, s7, 0
	s_add_u32 s0, s0, s9
	s_load_dword s9, s[4:5], 0xc0
	s_load_dwordx4 s[28:31], s[4:5], 0xb0
	s_load_dwordx4 s[16:19], s[4:5], 0x28
	;; [unrolled: 1-line block ×3, first 2 shown]
	s_addc_u32 s1, s1, 0
	s_waitcnt lgkmcnt(0)
	s_bitcmp1_b32 s9, 0
	s_cselect_b64 s[20:21], -1, 0
	s_bitcmp1_b32 s9, 16
	v_mov_b32_e32 v1, s17
	s_cselect_b64 s[6:7], -1, 0
	buffer_store_dword v1, off, s[0:3], 0 offset:4
	v_mov_b32_e32 v1, s16
	s_xor_b64 s[10:11], s[6:7], -1
	buffer_store_dword v1, off, s[0:3], 0
	v_mov_b32_e32 v1, s13
	v_pk_mov_b32 v[6:7], 0, 0
	buffer_store_dword v1, off, s[0:3], 0 offset:12
	v_mov_b32_e32 v1, s12
	s_bitcmp0_b32 s9, 0
	v_pk_mov_b32 v[4:5], v[6:7], v[6:7] op_sel:[0,1]
	v_pk_mov_b32 v[8:9], v[6:7], v[6:7] op_sel:[0,1]
	buffer_store_dword v1, off, s[0:3], 0 offset:8
	s_cbranch_scc1 .LBB157_3
; %bb.1:
	s_mov_b64 s[22:23], src_private_base
	s_and_b64 s[24:25], s[6:7], exec
	s_cselect_b32 s22, s23, s17
	v_mov_b32_e32 v1, 0
	v_mov_b32_e32 v2, s16
	v_cndmask_b32_e64 v2, v2, v1, s[6:7]
	v_mov_b32_e32 v3, s22
	flat_load_dwordx2 v[4:5], v[2:3]
	s_andn2_b64 vcc, exec, s[10:11]
	v_pk_mov_b32 v[8:9], s[18:19], s[18:19] op_sel:[0,1]
	s_cbranch_vccnz .LBB157_3
; %bb.2:
	v_pk_mov_b32 v[2:3], s[16:17], s[16:17] op_sel:[0,1]
	flat_load_dwordx2 v[8:9], v[2:3] offset:8
.LBB157_3:
	s_load_dwordx2 s[16:17], s[4:5], 0x20
	s_bitcmp1_b32 s9, 8
	s_cselect_b64 s[34:35], -1, 0
	s_bfe_u32 s9, s9, 0x10008
	s_cmp_eq_u32 s9, 0
	v_pk_mov_b32 v[10:11], v[6:7], v[6:7] op_sel:[0,1]
	s_cbranch_scc1 .LBB157_6
; %bb.4:
	s_mov_b64 s[18:19], src_private_base
	s_and_b64 s[22:23], s[6:7], exec
	s_cselect_b32 s9, s19, s13
	v_mov_b32_e32 v1, 8
	v_mov_b32_e32 v2, s12
	v_cndmask_b32_e64 v2, v2, v1, s[6:7]
	v_mov_b32_e32 v3, s9
	flat_load_dwordx2 v[10:11], v[2:3]
	s_andn2_b64 vcc, exec, s[10:11]
	v_pk_mov_b32 v[6:7], s[14:15], s[14:15] op_sel:[0,1]
	s_cbranch_vccnz .LBB157_6
; %bb.5:
	v_pk_mov_b32 v[2:3], s[12:13], s[12:13] op_sel:[0,1]
	flat_load_dwordx2 v[6:7], v[2:3] offset:8
.LBB157_6:
	s_load_dwordx2 s[10:11], s[4:5], 0x38
	s_waitcnt lgkmcnt(0)
	s_cmp_eq_u64 s[16:17], 0
	s_mov_b32 s9, 0
	s_cbranch_scc1 .LBB157_8
; %bb.7:
	s_load_dwordx2 s[6:7], s[4:5], 0x18
	s_waitcnt lgkmcnt(0)
	s_load_dwordx2 s[6:7], s[6:7], 0x0
	s_waitcnt lgkmcnt(0)
	s_lshl_b64 s[6:7], s[6:7], 3
	s_add_u32 s12, s16, s6
	s_addc_u32 s13, s17, s7
	s_lshl_b64 s[6:7], s[8:9], 3
	s_add_u32 s6, s12, s6
	s_addc_u32 s7, s13, s7
	s_load_dwordx2 s[8:9], s[6:7], 0x0
.LBB157_8:
	v_cndmask_b32_e64 v1, 0, 1, s[20:21]
	s_mov_b64 s[60:61], 0
	v_cmp_ne_u32_e64 s[6:7], 1, v1
	s_andn2_b64 vcc, exec, s[20:21]
	s_mov_b64 s[62:63], 0
	s_cbranch_vccz .LBB157_11
; %bb.9:
	s_and_b64 vcc, exec, s[6:7]
	s_cbranch_vccz .LBB157_12
.LBB157_10:
	s_load_dwordx4 s[52:55], s[4:5], 0x8
	s_waitcnt lgkmcnt(0)
	v_cmp_lt_i64_e64 s[6:7], s[52:53], 1
	s_and_b64 vcc, exec, s[6:7]
	s_cbranch_vccz .LBB157_13
	s_branch .LBB157_95
.LBB157_11:
	s_waitcnt lgkmcnt(0)
	s_lshl_b64 s[12:13], s[8:9], 3
	s_add_u32 s12, s10, s12
	s_addc_u32 s13, s11, s13
	s_load_dwordx2 s[12:13], s[12:13], 0x0
	s_waitcnt lgkmcnt(0)
	s_sub_u32 s62, s12, s28
	s_subb_u32 s63, s13, 0
	s_and_b64 vcc, exec, s[6:7]
	s_cbranch_vccnz .LBB157_10
.LBB157_12:
	s_waitcnt lgkmcnt(0)
	s_lshl_b64 s[6:7], s[8:9], 3
	s_add_u32 s6, s10, s6
	s_addc_u32 s7, s11, s7
	s_load_dwordx2 s[6:7], s[6:7], 0x8
	s_waitcnt lgkmcnt(0)
	s_sub_u32 s60, s6, s28
	s_subb_u32 s61, s7, 0
	s_load_dwordx4 s[52:55], s[4:5], 0x8
	s_waitcnt lgkmcnt(0)
	v_cmp_lt_i64_e64 s[6:7], s[52:53], 1
	s_and_b64 vcc, exec, s[6:7]
	s_cbranch_vccnz .LBB157_95
.LBB157_13:
	s_load_dwordx2 s[64:65], s[4:5], 0xa8
	s_load_dwordx4 s[56:59], s[4:5], 0x98
	s_load_dwordx8 s[36:43], s[4:5], 0x78
	s_load_dwordx2 s[26:27], s[4:5], 0x60
	s_load_dwordx8 s[44:51], s[4:5], 0x40
	s_lshl_b64 s[10:11], s[8:9], 3
	s_mul_i32 s8, s54, s55
	s_waitcnt lgkmcnt(0)
	s_add_u32 s6, s42, s10
	s_addc_u32 s7, s43, s11
	s_load_dwordx2 s[6:7], s[6:7], 0x0
	s_mul_hi_u32 s9, s54, s54
	v_bfe_u32 v2, v0, 2, 2
	v_pk_mov_b32 v[16:17], s[60:61], s[60:61] op_sel:[0,1]
	v_cmp_lt_i64_e32 vcc, s[62:63], v[16:17]
	s_waitcnt lgkmcnt(0)
	s_sub_u32 s76, s6, s30
	s_subb_u32 s77, s7, 0
	s_add_i32 s9, s9, s8
	s_add_i32 s43, s9, s8
	v_mad_u64_u32 v[16:17], s[8:9], v2, s54, 0
	v_mov_b32_e32 v18, v17
	v_mad_u64_u32 v[18:19], s[8:9], v2, s55, v[18:19]
	v_mov_b32_e32 v17, v18
	v_lshlrev_b64 v[18:19], 4, v[16:17]
	v_and_b32_e32 v14, 3, v0
	v_mov_b32_e32 v16, s47
	v_add_co_u32_e64 v20, s[8:9], s46, v18
	v_addc_co_u32_e64 v21, s[8:9], v16, v19, s[8:9]
	v_lshlrev_b32_e32 v16, 4, v14
	v_mov_b32_e32 v13, 0
	v_add_co_u32_e64 v50, s[8:9], v20, v16
	v_mov_b32_e32 v15, v13
	v_mov_b32_e32 v3, v13
	v_addc_co_u32_e64 v51, s[8:9], 0, v21, s[8:9]
	v_cmp_gt_i64_e64 s[14:15], s[54:55], v[14:15]
	v_cmp_gt_i64_e64 s[8:9], s[54:55], v[2:3]
	s_and_b64 s[46:47], s[14:15], s[8:9]
	v_mad_u64_u32 v[20:21], s[8:9], v14, s54, 0
	v_mov_b32_e32 v22, v21
	v_mad_u64_u32 v[22:23], s[8:9], v14, s55, v[22:23]
	v_mov_b32_e32 v21, v22
	v_lshlrev_b64 v[20:21], 4, v[20:21]
	v_cmp_gt_u64_e64 s[12:13], s[54:55], v[2:3]
	v_lshlrev_b64 v[22:23], 4, v[2:3]
	v_mov_b32_e32 v3, s59
	v_add_co_u32_e64 v15, s[8:9], s58, v20
	v_addc_co_u32_e64 v24, s[8:9], v3, v21, s[8:9]
	v_add_co_u32_e64 v25, s[8:9], v15, v22
	v_addc_co_u32_e64 v15, s[8:9], v24, v23, s[8:9]
	;; [unrolled: 2-line block ×3, first 2 shown]
	s_load_dword s16, s[4:5], 0x0
	v_add_co_u32_e64 v24, s[8:9], v24, v16
	v_lshrrev_b32_e32 v12, 4, v0
	v_addc_co_u32_e64 v3, s[8:9], 0, v3, s[8:9]
	v_subrev_co_u32_e64 v53, s[8:9], s31, v12
	v_subb_co_u32_e64 v54, s[8:9], 0, 0, s[8:9]
	v_mov_b32_e32 v26, s41
	v_add_co_u32_e64 v20, s[8:9], s40, v20
	s_waitcnt lgkmcnt(0)
	s_cmp_eq_u32 s16, 0
	v_addc_co_u32_e64 v21, s[8:9], v26, v21, s[8:9]
	s_cselect_b64 s[24:25], -1, 0
	s_cmp_lg_u32 s16, 0
	v_add_co_u32_e64 v20, s[8:9], v20, v22
	s_cselect_b64 s[58:59], -1, 0
	s_add_u32 s36, s36, s10
	v_addc_co_u32_e64 v21, s[8:9], v21, v23, s[8:9]
	s_addc_u32 s37, s37, s11
	v_add_co_u32_e64 v18, s[8:9], s40, v18
	s_and_b64 s[40:41], s[20:21], vcc
	s_and_b64 s[66:67], s[14:15], s[12:13]
	s_mov_b32 s93, s31
	s_add_u32 s31, s48, 8
	v_addc_co_u32_e64 v19, s[8:9], v26, v19, s[8:9]
	s_addc_u32 s95, s49, 0
	v_add_co_u32_e64 v22, s[8:9], v18, v16
	s_add_u32 s96, s56, -8
	v_and_b32_e32 v1, 15, v0
	v_addc_co_u32_e64 v19, s[8:9], 0, v19, s[8:9]
	v_mov_b32_e32 v26, 0x5000
	s_addc_u32 s97, s57, -1
	v_cmp_gt_u32_e64 s[4:5], 64, v0
	v_cmp_eq_u32_e64 s[6:7], 0, v0
	v_lshlrev_b32_e32 v48, 4, v0
	v_and_b32_e32 v52, 12, v0
	v_cmp_eq_u32_e64 s[8:9], 15, v1
	v_and_b32_e32 v1, 63, v0
	v_lshl_or_b32 v57, v0, 2, v26
	v_or_b32_e32 v63, 0xffffff00, v0
	s_add_u32 s56, s26, 8
	v_lshlrev_b32_e32 v0, 4, v2
	s_addc_u32 s57, s27, 0
	v_lshl_or_b32 v0, v12, 8, v0
	v_cndmask_b32_e64 v15, v15, v3, s[24:25]
	v_cndmask_b32_e64 v3, v20, v22, s[24:25]
	v_add_u32_e32 v64, 0x4000, v0
	v_mov_b32_e32 v0, s57
	v_add_co_u32_e32 v20, vcc, s56, v16
	v_lshlrev_b32_e32 v18, 2, v1
	v_add_co_u32_e64 v23, s[10:11], -1, v1
	v_cmp_ne_u32_e64 s[12:13], 0, v1
	v_cmp_lt_u32_e64 s[14:15], 1, v1
	v_cmp_lt_u32_e64 s[16:17], 3, v1
	;; [unrolled: 1-line block ×5, first 2 shown]
	v_cndmask_b32_e64 v1, v21, v19, s[24:25]
	v_addc_co_u32_e32 v21, vcc, 0, v0, vcc
	v_add_co_u32_e32 v22, vcc, 8, v3
	v_lshl_add_u32 v56, v23, 2, v26
	v_addc_co_u32_e32 v23, vcc, 0, v1, vcc
	s_mov_b32 s33, 0
	s_mul_i32 s42, s54, s54
	v_and_b32_e32 v0, 0xfc0, v48
	v_add_co_u32_e32 v66, vcc, 16, v53
	v_lshl_or_b32 v68, v12, 2, v26
	v_mov_b32_e32 v26, 64
	v_or_b32_e32 v49, 0x4000, v48
	v_mov_b32_e32 v17, v13
	s_mov_b32 s92, s33
	s_mov_b32 s94, s33
	v_or_b32_e32 v55, 0x5000, v18
	v_add_u32_e32 v58, 0x4ff8, v18
	v_add_u32_e32 v59, 0x4ff0, v18
	;; [unrolled: 1-line block ×5, first 2 shown]
	v_cndmask_b32_e64 v18, v25, v24, s[24:25]
	s_lshl_b64 s[68:69], s[54:55], 4
	s_lshl_b64 s[70:71], s[42:43], 4
	v_or_b32_e32 v65, 0x4000, v0
	s_lshl_b64 s[72:73], s[42:43], 8
	v_addc_co_u32_e32 v67, vcc, 0, v54, vcc
	s_mov_b64 s[74:75], 0
	v_mov_b32_e32 v27, 0
	v_pk_mov_b32 v[24:25], s[76:77], s[76:77] op_sel:[0,1]
	v_mov_b32_e32 v0, v13
	v_mov_b32_e32 v1, v13
	;; [unrolled: 1-line block ×4, first 2 shown]
	s_movk_i32 s98, 0x2ff
	v_mov_b32_e32 v69, 1
	s_branch .LBB157_15
.LBB157_14:                             ;   in Loop: Header=BB157_15 Depth=1
	s_or_b64 exec, exec, s[24:25]
	s_barrier
	ds_read_b64 v[30:31], v13 offset:20736
	v_ashrrev_i32_e32 v19, 31, v29
	v_add_co_u32_e32 v24, vcc, v24, v29
	v_addc_co_u32_e32 v25, vcc, v25, v19, vcc
	s_waitcnt lgkmcnt(0)
	v_add_co_u32_e32 v26, vcc, 64, v30
	v_addc_co_u32_e32 v27, vcc, 0, v31, vcc
	v_cmp_le_i64_e32 vcc, s[52:53], v[30:31]
	v_readfirstlane_b32 s74, v30
	v_readfirstlane_b32 s75, v31
	s_barrier
	s_cbranch_vccnz .LBB157_95
.LBB157_15:                             ; =>This Loop Header: Depth=1
                                        ;     Child Loop BB157_18 Depth 2
                                        ;     Child Loop BB157_24 Depth 2
                                        ;       Child Loop BB157_40 Depth 3
                                        ;         Child Loop BB157_52 Depth 4
                                        ;         Child Loop BB157_48 Depth 4
                                        ;     Child Loop BB157_62 Depth 2
                                        ;     Child Loop BB157_71 Depth 2
	;; [unrolled: 1-line block ×3, first 2 shown]
	s_and_saveexec_b64 s[24:25], s[4:5]
	s_cbranch_execz .LBB157_17
; %bb.16:                               ;   in Loop: Header=BB157_15 Depth=1
	ds_write_b32 v57, v13
.LBB157_17:                             ;   in Loop: Header=BB157_15 Depth=1
	s_or_b64 exec, exec, s[24:25]
	s_mov_b64 s[24:25], 0
	v_mov_b32_e32 v19, v48
	v_mov_b32_e32 v28, v63
.LBB157_18:                             ;   Parent Loop BB157_15 Depth=1
                                        ; =>  This Inner Loop Header: Depth=2
	v_add_u32_e32 v28, 0x100, v28
	v_cmp_lt_u32_e32 vcc, s98, v28
	ds_write_b128 v19, v[0:3]
	s_or_b64 s[24:25], vcc, s[24:25]
	v_add_u32_e32 v19, 0x1000, v19
	s_andn2_b64 exec, exec, s[24:25]
	s_cbranch_execnz .LBB157_18
; %bb.19:                               ;   in Loop: Header=BB157_15 Depth=1
	s_or_b64 exec, exec, s[24:25]
	s_and_saveexec_b64 s[24:25], s[6:7]
	s_cbranch_execz .LBB157_21
; %bb.20:                               ;   in Loop: Header=BB157_15 Depth=1
	v_pk_mov_b32 v[28:29], s[52:53], s[52:53] op_sel:[0,1]
	ds_write_b64 v13, v[28:29] offset:20736
.LBB157_21:                             ;   in Loop: Header=BB157_15 Depth=1
	s_or_b64 exec, exec, s[24:25]
	s_andn2_b64 vcc, exec, s[40:41]
	v_pk_mov_b32 v[28:29], s[52:53], s[52:53] op_sel:[0,1]
	s_waitcnt lgkmcnt(0)
	s_barrier
	s_cbranch_vccnz .LBB157_57
; %bb.22:                               ;   in Loop: Header=BB157_15 Depth=1
	s_cmp_lg_u64 s[74:75], 0
	s_cselect_b64 s[76:77], -1, 0
	v_pk_mov_b32 v[28:29], s[52:53], s[52:53] op_sel:[0,1]
	s_mov_b64 s[78:79], s[62:63]
	s_branch .LBB157_24
.LBB157_23:                             ;   in Loop: Header=BB157_24 Depth=2
	s_or_b64 exec, exec, s[26:27]
	s_add_u32 s78, s78, 16
	s_addc_u32 s79, s79, 0
	v_pk_mov_b32 v[30:31], s[60:61], s[60:61] op_sel:[0,1]
	v_cmp_lt_i64_e32 vcc, s[78:79], v[30:31]
	s_cbranch_vccz .LBB157_57
.LBB157_24:                             ;   Parent Loop BB157_15 Depth=1
                                        ; =>  This Loop Header: Depth=2
                                        ;       Child Loop BB157_40 Depth 3
                                        ;         Child Loop BB157_52 Depth 4
                                        ;         Child Loop BB157_48 Depth 4
	v_mov_b32_e32 v19, s79
	v_add_co_u32_e32 v30, vcc, s78, v12
	v_addc_co_u32_e32 v31, vcc, 0, v19, vcc
	v_cmp_gt_i64_e64 s[24:25], s[60:61], v[30:31]
	s_barrier
	s_and_saveexec_b64 s[26:27], s[24:25]
	s_cbranch_execz .LBB157_29
; %bb.25:                               ;   in Loop: Header=BB157_24 Depth=2
	s_and_saveexec_b64 s[80:81], s[66:67]
	s_xor_b64 s[80:81], exec, s[80:81]
	s_cbranch_execz .LBB157_27
; %bb.26:                               ;   in Loop: Header=BB157_24 Depth=2
	v_mul_lo_u32 v19, v31, s42
	v_mul_lo_u32 v34, v30, s43
	v_mad_u64_u32 v[32:33], s[82:83], v30, s42, 0
	v_add3_u32 v33, v33, v34, v19
	v_lshlrev_b64 v[32:33], 4, v[32:33]
	v_add_co_u32_e32 v32, vcc, v50, v32
	v_addc_co_u32_e32 v33, vcc, v51, v33, vcc
	global_load_dwordx4 v[32:35], v[32:33], off
	s_waitcnt vmcnt(0)
	ds_write2_b64 v49, v[32:33], v[34:35] offset1:1
.LBB157_27:                             ;   in Loop: Header=BB157_24 Depth=2
	s_andn2_saveexec_b64 s[80:81], s[80:81]
	s_cbranch_execz .LBB157_29
; %bb.28:                               ;   in Loop: Header=BB157_24 Depth=2
	ds_write_b128 v49, v[0:3]
.LBB157_29:                             ;   in Loop: Header=BB157_24 Depth=2
	s_or_b64 exec, exec, s[26:27]
	v_pk_mov_b32 v[32:33], 0, 0
	v_lshlrev_b64 v[30:31], 3, v[30:31]
	s_waitcnt lgkmcnt(0)
	s_barrier
	s_and_saveexec_b64 s[80:81], s[24:25]
	s_cbranch_execz .LBB157_55
; %bb.30:                               ;   in Loop: Header=BB157_24 Depth=2
	v_mov_b32_e32 v19, s45
	v_add_co_u32_e32 v32, vcc, s44, v30
	v_addc_co_u32_e32 v33, vcc, v19, v31, vcc
	global_load_dwordx2 v[34:35], v[32:33], off
	s_and_b64 vcc, exec, s[76:77]
	s_cbranch_vccz .LBB157_32
; %bb.31:                               ;   in Loop: Header=BB157_24 Depth=2
	v_mov_b32_e32 v19, s65
	v_add_co_u32_e32 v32, vcc, s64, v30
	v_addc_co_u32_e32 v33, vcc, v19, v31, vcc
	global_load_dwordx2 v[32:33], v[32:33], off
	s_mov_b64 s[26:27], 0
	s_branch .LBB157_33
.LBB157_32:                             ;   in Loop: Header=BB157_24 Depth=2
	s_mov_b64 s[26:27], -1
                                        ; implicit-def: $vgpr32_vgpr33
.LBB157_33:                             ;   in Loop: Header=BB157_24 Depth=2
	v_mov_b32_e32 v19, s92
	s_waitcnt vmcnt(0)
	v_subrev_co_u32_e32 v34, vcc, s28, v34
	v_subb_co_u32_e32 v35, vcc, v35, v19, vcc
	s_andn2_b64 vcc, exec, s[26:27]
	v_lshlrev_b64 v[34:35], 3, v[34:35]
	s_cbranch_vccnz .LBB157_35
; %bb.34:                               ;   in Loop: Header=BB157_24 Depth=2
	v_mov_b32_e32 v19, s49
	v_add_co_u32_e32 v32, vcc, s48, v34
	v_addc_co_u32_e32 v33, vcc, v19, v35, vcc
	global_load_dwordx2 v[32:33], v[32:33], off
	v_mov_b32_e32 v19, s33
	s_waitcnt vmcnt(0)
	v_subrev_co_u32_e32 v32, vcc, s29, v32
	v_subb_co_u32_e32 v33, vcc, v33, v19, vcc
.LBB157_35:                             ;   in Loop: Header=BB157_24 Depth=2
	v_mov_b32_e32 v19, s95
	v_add_co_u32_e32 v34, vcc, s31, v34
	v_addc_co_u32_e32 v35, vcc, v19, v35, vcc
	global_load_dwordx2 v[34:35], v[34:35], off
	v_mov_b32_e32 v19, s33
	s_waitcnt vmcnt(0)
	v_subrev_co_u32_e32 v34, vcc, s29, v34
	v_subb_co_u32_e32 v35, vcc, v35, v19, vcc
	v_cmp_lt_i64_e32 vcc, v[32:33], v[34:35]
	s_and_saveexec_b64 s[82:83], vcc
	s_cbranch_execz .LBB157_54
; %bb.36:                               ;   in Loop: Header=BB157_24 Depth=2
	v_mad_u64_u32 v[36:37], s[26:27], s68, v32, v[16:17]
	v_mul_lo_u32 v19, s68, v33
	v_mul_lo_u32 v38, s69, v32
	v_add3_u32 v19, v38, v37, v19
	v_pk_mov_b32 v[38:39], s[56:57], s[56:57] op_sel:[0,1]
	v_mul_lo_u32 v40, s55, v36
	v_mul_lo_u32 v19, s54, v19
	v_mad_u64_u32 v[36:37], s[26:27], s54, v36, v[38:39]
	v_add3_u32 v37, v40, v37, v19
	v_mad_u64_u32 v[38:39], s[26:27], s70, v32, v[20:21]
	v_mul_lo_u32 v19, s70, v33
	v_mul_lo_u32 v40, s71, v32
	v_add3_u32 v39, v40, v39, v19
	s_mov_b64 s[84:85], 0
	v_pk_mov_b32 v[40:41], v[32:33], v[32:33] op_sel:[0,1]
	s_branch .LBB157_40
.LBB157_37:                             ;   in Loop: Header=BB157_40 Depth=3
	v_lshlrev_b32_e32 v19, 4, v19
	v_or3_b32 v19, v19, v52, v14
	v_mul_f64 v[46:47], v[44:45], -v[8:9]
	v_lshlrev_b32_e32 v19, 4, v19
	v_fmac_f64_e32 v[46:47], v[4:5], v[42:43]
	v_mul_f64 v[44:45], v[4:5], v[44:45]
	v_fmac_f64_e32 v[44:45], v[8:9], v[42:43]
	ds_add_f64 v19, v[46:47]
	ds_add_f64 v19, v[44:45] offset:8
.LBB157_38:                             ;   in Loop: Header=BB157_40 Depth=3
	s_or_b64 exec, exec, s[88:89]
	s_or_b64 s[26:27], s[26:27], exec
.LBB157_39:                             ;   in Loop: Header=BB157_40 Depth=3
	s_or_b64 exec, exec, s[86:87]
	v_add_co_u32_e32 v40, vcc, 1, v40
	v_addc_co_u32_e32 v41, vcc, 0, v41, vcc
	v_cmp_ge_i64_e32 vcc, v[40:41], v[34:35]
	s_xor_b64 s[26:27], s[26:27], -1
	s_or_b64 s[26:27], s[26:27], vcc
	v_mov_b32_e32 v19, s71
	v_add_co_u32_e32 v36, vcc, s70, v36
	v_addc_co_u32_e32 v37, vcc, v37, v19, vcc
	s_and_b64 s[26:27], exec, s[26:27]
	v_add_co_u32_e32 v38, vcc, s70, v38
	s_or_b64 s[84:85], s[26:27], s[84:85]
	v_addc_co_u32_e32 v39, vcc, v39, v19, vcc
	s_andn2_b64 exec, exec, s[84:85]
	s_cbranch_execz .LBB157_53
.LBB157_40:                             ;   Parent Loop BB157_15 Depth=1
                                        ;     Parent Loop BB157_24 Depth=2
                                        ; =>    This Loop Header: Depth=3
                                        ;         Child Loop BB157_52 Depth 4
                                        ;         Child Loop BB157_48 Depth 4
	v_lshlrev_b64 v[42:43], 3, v[40:41]
	v_mov_b32_e32 v19, s51
	v_add_co_u32_e32 v42, vcc, s50, v42
	v_addc_co_u32_e32 v43, vcc, v19, v43, vcc
	global_load_dwordx2 v[42:43], v[42:43], off
	v_mov_b32_e32 v19, s33
	s_waitcnt vmcnt(0)
	v_subrev_co_u32_e32 v42, vcc, s29, v42
	v_subb_co_u32_e32 v43, vcc, v43, v19, vcc
	v_cmp_gt_i64_e64 s[26:27], s[74:75], v[42:43]
	v_cmp_ge_i64_e32 vcc, v[42:43], v[26:27]
	s_or_b64 s[86:87], s[26:27], vcc
                                        ; implicit-def: $sgpr26_sgpr27
	s_and_saveexec_b64 s[88:89], s[86:87]
	s_xor_b64 s[86:87], exec, s[88:89]
	s_cbranch_execz .LBB157_44
; %bb.41:                               ;   in Loop: Header=BB157_40 Depth=3
	s_mov_b64 s[26:27], -1
	s_and_saveexec_b64 s[88:89], vcc
; %bb.42:                               ;   in Loop: Header=BB157_40 Depth=3
	v_cmp_lt_i64_e32 vcc, v[42:43], v[28:29]
	v_cndmask_b32_e32 v29, v29, v43, vcc
	v_cndmask_b32_e32 v28, v28, v42, vcc
	s_xor_b64 s[26:27], exec, -1
	v_pk_mov_b32 v[32:33], v[40:41], v[40:41] op_sel:[0,1]
; %bb.43:                               ;   in Loop: Header=BB157_40 Depth=3
	s_or_b64 exec, exec, s[88:89]
	s_and_b64 s[26:27], s[26:27], exec
                                        ; implicit-def: $vgpr42_vgpr43
.LBB157_44:                             ;   in Loop: Header=BB157_40 Depth=3
	s_andn2_saveexec_b64 s[86:87], s[86:87]
	s_cbranch_execz .LBB157_39
; %bb.45:                               ;   in Loop: Header=BB157_40 Depth=3
	v_subrev_u32_e32 v19, s74, v42
	v_lshlrev_b32_e32 v42, 2, v19
	ds_write_b32 v42, v69 offset:20480
	s_and_saveexec_b64 s[88:89], s[46:47]
	s_cbranch_execz .LBB157_38
; %bb.46:                               ;   in Loop: Header=BB157_40 Depth=3
	s_andn2_b64 vcc, exec, s[58:59]
	s_cbranch_vccnz .LBB157_50
; %bb.47:                               ;   in Loop: Header=BB157_40 Depth=3
	v_pk_mov_b32 v[42:43], 0, 0
	v_mov_b32_e32 v70, v64
	s_mov_b64 s[90:91], s[54:55]
	v_pk_mov_b32 v[46:47], v[36:37], v[36:37] op_sel:[0,1]
	v_pk_mov_b32 v[44:45], v[42:43], v[42:43] op_sel:[0,1]
.LBB157_48:                             ;   Parent Loop BB157_15 Depth=1
                                        ;     Parent Loop BB157_24 Depth=2
                                        ;       Parent Loop BB157_40 Depth=3
                                        ; =>      This Inner Loop Header: Depth=4
	global_load_dwordx4 v[72:75], v[46:47], off offset:-8
	ds_read_b128 v[76:79], v70
	s_add_u32 s90, s90, -1
	v_add_co_u32_e32 v46, vcc, 16, v46
	s_addc_u32 s91, s91, -1
	v_addc_co_u32_e32 v47, vcc, 0, v47, vcc
	v_add_u32_e32 v70, 64, v70
	s_cmp_lg_u64 s[90:91], 0
	s_waitcnt vmcnt(0) lgkmcnt(0)
	v_fmac_f64_e32 v[42:43], v[76:77], v[72:73]
	v_fmac_f64_e32 v[44:45], v[78:79], v[72:73]
	v_fma_f64 v[42:43], -v[78:79], v[74:75], v[42:43]
	v_fmac_f64_e32 v[44:45], v[76:77], v[74:75]
	s_cbranch_scc1 .LBB157_48
; %bb.49:                               ;   in Loop: Header=BB157_40 Depth=3
	s_branch .LBB157_37
.LBB157_50:                             ;   in Loop: Header=BB157_40 Depth=3
                                        ; implicit-def: $vgpr42_vgpr43
                                        ; implicit-def: $vgpr44_vgpr45
	s_cbranch_execz .LBB157_37
; %bb.51:                               ;   in Loop: Header=BB157_40 Depth=3
	v_pk_mov_b32 v[42:43], 0, 0
	v_mov_b32_e32 v70, v65
	v_pk_mov_b32 v[46:47], v[38:39], v[38:39] op_sel:[0,1]
	s_mov_b64 s[90:91], s[54:55]
	v_pk_mov_b32 v[44:45], v[42:43], v[42:43] op_sel:[0,1]
.LBB157_52:                             ;   Parent Loop BB157_15 Depth=1
                                        ;     Parent Loop BB157_24 Depth=2
                                        ;       Parent Loop BB157_40 Depth=3
                                        ; =>      This Inner Loop Header: Depth=4
	global_load_dwordx4 v[72:75], v[46:47], off offset:-8
	ds_read_b128 v[76:79], v70
	s_add_u32 s90, s90, -1
	v_mov_b32_e32 v71, s69
	v_add_co_u32_e32 v46, vcc, s68, v46
	s_addc_u32 s91, s91, -1
	v_add_u32_e32 v70, 16, v70
	v_addc_co_u32_e32 v47, vcc, v47, v71, vcc
	s_cmp_eq_u64 s[90:91], 0
	s_waitcnt vmcnt(0) lgkmcnt(0)
	v_fmac_f64_e32 v[42:43], v[76:77], v[72:73]
	v_fmac_f64_e32 v[44:45], v[78:79], v[72:73]
	v_fma_f64 v[42:43], -v[78:79], v[74:75], v[42:43]
	v_fmac_f64_e32 v[44:45], v[76:77], v[74:75]
	s_cbranch_scc0 .LBB157_52
	s_branch .LBB157_37
.LBB157_53:                             ;   in Loop: Header=BB157_24 Depth=2
	s_or_b64 exec, exec, s[84:85]
.LBB157_54:                             ;   in Loop: Header=BB157_24 Depth=2
	s_or_b64 exec, exec, s[82:83]
.LBB157_55:                             ;   in Loop: Header=BB157_24 Depth=2
	s_or_b64 exec, exec, s[80:81]
	s_waitcnt lgkmcnt(0)
	s_barrier
	s_and_saveexec_b64 s[26:27], s[24:25]
	s_cbranch_execz .LBB157_23
; %bb.56:                               ;   in Loop: Header=BB157_24 Depth=2
	v_mov_b32_e32 v19, s65
	v_add_co_u32_e32 v30, vcc, s64, v30
	v_addc_co_u32_e32 v31, vcc, v19, v31, vcc
	global_store_dwordx2 v[30:31], v[32:33], off
	s_branch .LBB157_23
.LBB157_57:                             ;   in Loop: Header=BB157_15 Depth=1
	s_andn2_b64 vcc, exec, s[34:35]
	s_cbranch_vccnz .LBB157_69
; %bb.58:                               ;   in Loop: Header=BB157_15 Depth=1
	s_load_dwordx4 s[24:27], s[36:37], 0x0
	s_waitcnt lgkmcnt(0)
	s_sub_u32 s26, s26, s93
	v_mov_b32_e32 v19, s25
	v_add_co_u32_e32 v34, vcc, s24, v53
	s_subb_u32 s27, s27, 0
	v_addc_co_u32_e32 v35, vcc, v19, v54, vcc
	v_cmp_gt_i64_e32 vcc, s[26:27], v[34:35]
	s_and_saveexec_b64 s[76:77], vcc
	s_cbranch_execz .LBB157_68
; %bb.59:                               ;   in Loop: Header=BB157_15 Depth=1
	v_lshlrev_b64 v[30:31], 3, v[34:35]
	v_mov_b32_e32 v19, s39
	v_add_co_u32_e32 v30, vcc, s38, v30
	v_addc_co_u32_e32 v31, vcc, v19, v31, vcc
	v_mad_u64_u32 v[32:33], s[78:79], s70, v34, v[22:23]
	v_mul_lo_u32 v19, s70, v35
	v_mul_lo_u32 v34, s71, v34
	v_add3_u32 v33, v34, v33, v19
	v_mov_b32_e32 v19, s25
	v_add_co_u32_e32 v34, vcc, s24, v66
	v_addc_co_u32_e32 v35, vcc, v67, v19, vcc
	s_mov_b64 s[78:79], 0
	s_branch .LBB157_62
.LBB157_60:                             ;   in Loop: Header=BB157_62 Depth=2
	s_or_b64 exec, exec, s[82:83]
	s_or_b64 s[24:25], s[24:25], exec
.LBB157_61:                             ;   in Loop: Header=BB157_62 Depth=2
	s_or_b64 exec, exec, s[80:81]
	v_cmp_le_i64_e32 vcc, s[26:27], v[34:35]
	s_xor_b64 s[24:25], s[24:25], -1
	s_or_b64 s[24:25], s[24:25], vcc
	v_add_co_u32_e32 v30, vcc, 0x80, v30
	v_addc_co_u32_e32 v31, vcc, 0, v31, vcc
	v_mov_b32_e32 v19, s73
	v_add_co_u32_e32 v32, vcc, s72, v32
	v_addc_co_u32_e32 v33, vcc, v33, v19, vcc
	s_and_b64 s[24:25], exec, s[24:25]
	v_add_co_u32_e32 v34, vcc, 16, v34
	s_or_b64 s[78:79], s[24:25], s[78:79]
	v_addc_co_u32_e32 v35, vcc, 0, v35, vcc
	s_andn2_b64 exec, exec, s[78:79]
	s_cbranch_execz .LBB157_67
.LBB157_62:                             ;   Parent Loop BB157_15 Depth=1
                                        ; =>  This Inner Loop Header: Depth=2
	global_load_dwordx2 v[36:37], v[30:31], off
	v_mov_b32_e32 v19, s94
	s_waitcnt vmcnt(0)
	v_subrev_co_u32_e32 v36, vcc, s93, v36
	v_subb_co_u32_e32 v37, vcc, v37, v19, vcc
	v_cmp_lt_i64_e32 vcc, v[36:37], v[26:27]
	v_cmp_gt_i64_e64 s[24:25], s[74:75], v[36:37]
	s_xor_b64 s[80:81], vcc, -1
	s_or_b64 s[80:81], s[24:25], s[80:81]
                                        ; implicit-def: $sgpr24_sgpr25
	s_and_saveexec_b64 s[82:83], s[80:81]
	s_xor_b64 s[80:81], exec, s[82:83]
; %bb.63:                               ;   in Loop: Header=BB157_62 Depth=2
	v_cmp_lt_i64_e64 s[24:25], v[36:37], v[28:29]
	v_cndmask_b32_e64 v19, v28, v36, s[24:25]
	v_cndmask_b32_e64 v36, v29, v37, s[24:25]
	v_cndmask_b32_e32 v29, v36, v29, vcc
	v_cndmask_b32_e32 v28, v19, v28, vcc
	s_and_b64 s[24:25], vcc, exec
                                        ; implicit-def: $vgpr36
; %bb.64:                               ;   in Loop: Header=BB157_62 Depth=2
	s_andn2_saveexec_b64 s[80:81], s[80:81]
	s_cbranch_execz .LBB157_61
; %bb.65:                               ;   in Loop: Header=BB157_62 Depth=2
	v_subrev_u32_e32 v19, s74, v36
	v_lshlrev_b32_e32 v36, 2, v19
	ds_write_b32 v36, v69 offset:20480
	s_and_saveexec_b64 s[82:83], s[66:67]
	s_cbranch_execz .LBB157_60
; %bb.66:                               ;   in Loop: Header=BB157_62 Depth=2
	global_load_dwordx4 v[36:39], v[32:33], off offset:-8
	v_lshlrev_b32_e32 v19, 4, v19
	v_or3_b32 v19, v19, v52, v14
	v_lshlrev_b32_e32 v19, 4, v19
	s_waitcnt vmcnt(0)
	v_mul_f64 v[40:41], v[38:39], -v[6:7]
	v_mul_f64 v[38:39], v[10:11], v[38:39]
	v_fmac_f64_e32 v[40:41], v[10:11], v[36:37]
	v_fmac_f64_e32 v[38:39], v[6:7], v[36:37]
	ds_add_f64 v19, v[40:41]
	ds_add_f64 v19, v[38:39] offset:8
	s_branch .LBB157_60
.LBB157_67:                             ;   in Loop: Header=BB157_15 Depth=1
	s_or_b64 exec, exec, s[78:79]
.LBB157_68:                             ;   in Loop: Header=BB157_15 Depth=1
	s_or_b64 exec, exec, s[76:77]
.LBB157_69:                             ;   in Loop: Header=BB157_15 Depth=1
	s_and_saveexec_b64 s[24:25], s[8:9]
	s_cbranch_execz .LBB157_74
; %bb.70:                               ;   in Loop: Header=BB157_15 Depth=1
	s_mov_b64 s[76:77], exec
	s_mov_b64 s[26:27], -1
.LBB157_71:                             ;   Parent Loop BB157_15 Depth=1
                                        ; =>  This Inner Loop Header: Depth=2
	s_ff1_i32_b64 s80, s[76:77]
	v_readlane_b32 s81, v29, s80
	v_readlane_b32 s82, v28, s80
	v_mov_b32_e32 v26, s82
	v_mov_b32_e32 v27, s81
	v_cmp_lt_u64_e32 vcc, s[26:27], v[26:27]
	s_and_b64 s[78:79], vcc, exec
	s_cselect_b32 s27, s27, s81
	s_cselect_b32 s26, s26, s82
	s_lshl_b64 s[78:79], 1, s80
	s_andn2_b64 s[76:77], s[76:77], s[78:79]
	s_cmp_lg_u64 s[76:77], 0
	s_cbranch_scc1 .LBB157_71
; %bb.72:                               ;   in Loop: Header=BB157_15 Depth=1
	v_mbcnt_lo_u32_b32 v19, exec_lo, 0
	v_mbcnt_hi_u32_b32 v19, exec_hi, v19
	v_cmp_eq_u32_e32 vcc, 0, v19
	s_and_saveexec_b64 s[76:77], vcc
	s_xor_b64 s[76:77], exec, s[76:77]
	s_cbranch_execz .LBB157_74
; %bb.73:                               ;   in Loop: Header=BB157_15 Depth=1
	v_pk_mov_b32 v[26:27], s[26:27], s[26:27] op_sel:[0,1]
	ds_min_u64 v13, v[26:27] offset:20736
.LBB157_74:                             ;   in Loop: Header=BB157_15 Depth=1
	s_or_b64 exec, exec, s[24:25]
	s_waitcnt lgkmcnt(0)
	s_barrier
	ds_read_b32 v19, v55
	s_waitcnt lgkmcnt(0)
	s_barrier
	s_and_saveexec_b64 s[24:25], s[12:13]
	s_cbranch_execz .LBB157_76
; %bb.75:                               ;   in Loop: Header=BB157_15 Depth=1
	ds_read_b32 v26, v56
	s_waitcnt lgkmcnt(0)
	v_add_u32_e32 v19, v26, v19
.LBB157_76:                             ;   in Loop: Header=BB157_15 Depth=1
	s_or_b64 exec, exec, s[24:25]
	s_barrier
	ds_write_b32 v55, v19
	s_waitcnt lgkmcnt(0)
	s_barrier
	s_and_saveexec_b64 s[24:25], s[14:15]
	s_cbranch_execz .LBB157_78
; %bb.77:                               ;   in Loop: Header=BB157_15 Depth=1
	ds_read_b32 v26, v58
	s_waitcnt lgkmcnt(0)
	v_add_u32_e32 v19, v26, v19
.LBB157_78:                             ;   in Loop: Header=BB157_15 Depth=1
	s_or_b64 exec, exec, s[24:25]
	s_barrier
	ds_write_b32 v55, v19
	;; [unrolled: 12-line block ×6, first 2 shown]
	s_waitcnt lgkmcnt(0)
	s_barrier
	ds_read_b32 v29, v13 offset:20732
	v_mov_b32_e32 v26, 0
	s_and_saveexec_b64 s[24:25], s[10:11]
	s_cbranch_execz .LBB157_88
; %bb.87:                               ;   in Loop: Header=BB157_15 Depth=1
	ds_read_b32 v26, v56
.LBB157_88:                             ;   in Loop: Header=BB157_15 Depth=1
	s_or_b64 exec, exec, s[24:25]
	s_waitcnt lgkmcnt(0)
	v_cmp_eq_u32_e32 vcc, v19, v26
	s_and_b64 s[26:27], s[10:11], vcc
	s_barrier
	s_and_saveexec_b64 s[24:25], s[26:27]
	s_cbranch_execz .LBB157_90
; %bb.89:                               ;   in Loop: Header=BB157_15 Depth=1
	ds_write_b32 v55, v13
.LBB157_90:                             ;   in Loop: Header=BB157_15 Depth=1
	s_or_b64 exec, exec, s[24:25]
	v_add_co_u32_e32 v30, vcc, -1, v24
	s_add_u32 s74, s30, s74
	v_addc_co_u32_e32 v31, vcc, -1, v25, vcc
	s_addc_u32 s75, 0, s75
	s_mov_b64 s[24:25], 0
	v_mov_b32_e32 v32, v68
	v_mov_b32_e32 v33, v48
	v_pk_mov_b32 v[26:27], v[12:13], v[12:13] op_sel:[0,1]
	s_waitcnt lgkmcnt(0)
	s_barrier
	s_branch .LBB157_92
.LBB157_91:                             ;   in Loop: Header=BB157_92 Depth=2
	s_or_b64 exec, exec, s[26:27]
	v_add_co_u32_e32 v26, vcc, 16, v26
	v_addc_co_u32_e32 v27, vcc, 0, v27, vcc
	v_add_u32_e32 v19, -16, v26
	v_cmp_lt_u32_e32 vcc, 47, v19
	v_add_u32_e32 v33, 0x1000, v33
	s_or_b64 s[24:25], vcc, s[24:25]
	v_add_u32_e32 v32, 64, v32
	s_andn2_b64 exec, exec, s[24:25]
	s_cbranch_execz .LBB157_14
.LBB157_92:                             ;   Parent Loop BB157_15 Depth=1
                                        ; =>  This Inner Loop Header: Depth=2
	ds_read_b32 v28, v32
	s_waitcnt lgkmcnt(0)
	v_cmp_ne_u32_e32 vcc, 0, v28
	s_and_saveexec_b64 s[26:27], vcc
	s_cbranch_execz .LBB157_91
; %bb.93:                               ;   in Loop: Header=BB157_92 Depth=2
	v_mov_b32_e32 v35, s75
	v_add_co_u32_e32 v34, vcc, s74, v26
	v_addc_co_u32_e32 v35, vcc, v35, v27, vcc
	v_ashrrev_i32_e32 v19, 31, v28
	v_add_co_u32_e32 v36, vcc, v24, v28
	v_addc_co_u32_e32 v37, vcc, v25, v19, vcc
	v_lshlrev_b64 v[36:37], 3, v[36:37]
	v_mov_b32_e32 v38, s97
	v_add_co_u32_e32 v36, vcc, s96, v36
	v_addc_co_u32_e32 v37, vcc, v38, v37, vcc
	global_store_dwordx2 v[36:37], v[34:35], off
	s_and_b64 exec, exec, s[66:67]
	s_cbranch_execz .LBB157_91
; %bb.94:                               ;   in Loop: Header=BB157_92 Depth=2
	v_add_co_u32_e32 v28, vcc, v30, v28
	v_addc_co_u32_e32 v19, vcc, v31, v19, vcc
	v_mul_lo_u32 v19, v19, s42
	v_mul_lo_u32 v36, v28, s43
	v_mad_u64_u32 v[34:35], s[76:77], v28, s42, 0
	v_add3_u32 v35, v35, v36, v19
	v_lshlrev_b64 v[38:39], 4, v[34:35]
	ds_read2_b64 v[34:37], v33 offset1:1
	v_add_co_u32_e32 v38, vcc, v18, v38
	v_addc_co_u32_e32 v39, vcc, v15, v39, vcc
	s_waitcnt lgkmcnt(0)
	global_store_dwordx4 v[38:39], v[34:37], off
	s_branch .LBB157_91
.LBB157_95:
	s_endpgm
	.section	.rodata,"a",@progbits
	.p2align	6, 0x0
	.amdhsa_kernel _ZN9rocsparseL38bsrgemm_block_per_row_atomic_multipassILj256ELj64ELj4Ell21rocsparse_complex_numIdEEEv20rocsparse_direction_T3_S4_PKS4_S6_NS_24const_host_device_scalarIT4_EEPKT2_S6_PKS8_SC_S6_SE_S9_SC_S6_SE_SC_PS4_PS8_PSA_21rocsparse_index_base_SI_SI_SI_bbb
		.amdhsa_group_segment_fixed_size 20744
		.amdhsa_private_segment_fixed_size 24
		.amdhsa_kernarg_size 196
		.amdhsa_user_sgpr_count 8
		.amdhsa_user_sgpr_private_segment_buffer 1
		.amdhsa_user_sgpr_dispatch_ptr 0
		.amdhsa_user_sgpr_queue_ptr 0
		.amdhsa_user_sgpr_kernarg_segment_ptr 1
		.amdhsa_user_sgpr_dispatch_id 0
		.amdhsa_user_sgpr_flat_scratch_init 1
		.amdhsa_user_sgpr_kernarg_preload_length 0
		.amdhsa_user_sgpr_kernarg_preload_offset 0
		.amdhsa_user_sgpr_private_segment_size 0
		.amdhsa_uses_dynamic_stack 0
		.amdhsa_system_sgpr_private_segment_wavefront_offset 1
		.amdhsa_system_sgpr_workgroup_id_x 1
		.amdhsa_system_sgpr_workgroup_id_y 0
		.amdhsa_system_sgpr_workgroup_id_z 0
		.amdhsa_system_sgpr_workgroup_info 0
		.amdhsa_system_vgpr_workitem_id 0
		.amdhsa_next_free_vgpr 80
		.amdhsa_next_free_sgpr 99
		.amdhsa_accum_offset 80
		.amdhsa_reserve_vcc 1
		.amdhsa_reserve_flat_scratch 1
		.amdhsa_float_round_mode_32 0
		.amdhsa_float_round_mode_16_64 0
		.amdhsa_float_denorm_mode_32 3
		.amdhsa_float_denorm_mode_16_64 3
		.amdhsa_dx10_clamp 1
		.amdhsa_ieee_mode 1
		.amdhsa_fp16_overflow 0
		.amdhsa_tg_split 0
		.amdhsa_exception_fp_ieee_invalid_op 0
		.amdhsa_exception_fp_denorm_src 0
		.amdhsa_exception_fp_ieee_div_zero 0
		.amdhsa_exception_fp_ieee_overflow 0
		.amdhsa_exception_fp_ieee_underflow 0
		.amdhsa_exception_fp_ieee_inexact 0
		.amdhsa_exception_int_div_zero 0
	.end_amdhsa_kernel
	.section	.text._ZN9rocsparseL38bsrgemm_block_per_row_atomic_multipassILj256ELj64ELj4Ell21rocsparse_complex_numIdEEEv20rocsparse_direction_T3_S4_PKS4_S6_NS_24const_host_device_scalarIT4_EEPKT2_S6_PKS8_SC_S6_SE_S9_SC_S6_SE_SC_PS4_PS8_PSA_21rocsparse_index_base_SI_SI_SI_bbb,"axG",@progbits,_ZN9rocsparseL38bsrgemm_block_per_row_atomic_multipassILj256ELj64ELj4Ell21rocsparse_complex_numIdEEEv20rocsparse_direction_T3_S4_PKS4_S6_NS_24const_host_device_scalarIT4_EEPKT2_S6_PKS8_SC_S6_SE_S9_SC_S6_SE_SC_PS4_PS8_PSA_21rocsparse_index_base_SI_SI_SI_bbb,comdat
.Lfunc_end157:
	.size	_ZN9rocsparseL38bsrgemm_block_per_row_atomic_multipassILj256ELj64ELj4Ell21rocsparse_complex_numIdEEEv20rocsparse_direction_T3_S4_PKS4_S6_NS_24const_host_device_scalarIT4_EEPKT2_S6_PKS8_SC_S6_SE_S9_SC_S6_SE_SC_PS4_PS8_PSA_21rocsparse_index_base_SI_SI_SI_bbb, .Lfunc_end157-_ZN9rocsparseL38bsrgemm_block_per_row_atomic_multipassILj256ELj64ELj4Ell21rocsparse_complex_numIdEEEv20rocsparse_direction_T3_S4_PKS4_S6_NS_24const_host_device_scalarIT4_EEPKT2_S6_PKS8_SC_S6_SE_S9_SC_S6_SE_SC_PS4_PS8_PSA_21rocsparse_index_base_SI_SI_SI_bbb
                                        ; -- End function
	.section	.AMDGPU.csdata,"",@progbits
; Kernel info:
; codeLenInByte = 3872
; NumSgprs: 105
; NumVgprs: 80
; NumAgprs: 0
; TotalNumVgprs: 80
; ScratchSize: 24
; MemoryBound: 0
; FloatMode: 240
; IeeeMode: 1
; LDSByteSize: 20744 bytes/workgroup (compile time only)
; SGPRBlocks: 13
; VGPRBlocks: 9
; NumSGPRsForWavesPerEU: 105
; NumVGPRsForWavesPerEU: 80
; AccumOffset: 80
; Occupancy: 3
; WaveLimiterHint : 1
; COMPUTE_PGM_RSRC2:SCRATCH_EN: 1
; COMPUTE_PGM_RSRC2:USER_SGPR: 8
; COMPUTE_PGM_RSRC2:TRAP_HANDLER: 0
; COMPUTE_PGM_RSRC2:TGID_X_EN: 1
; COMPUTE_PGM_RSRC2:TGID_Y_EN: 0
; COMPUTE_PGM_RSRC2:TGID_Z_EN: 0
; COMPUTE_PGM_RSRC2:TIDIG_COMP_CNT: 0
; COMPUTE_PGM_RSRC3_GFX90A:ACCUM_OFFSET: 19
; COMPUTE_PGM_RSRC3_GFX90A:TG_SPLIT: 0
	.section	.text._ZN9rocsparseL38bsrgemm_block_per_row_atomic_multipassILj256ELj128ELj4Ell21rocsparse_complex_numIdEEEv20rocsparse_direction_T3_S4_PKS4_S6_NS_24const_host_device_scalarIT4_EEPKT2_S6_PKS8_SC_S6_SE_S9_SC_S6_SE_SC_PS4_PS8_PSA_21rocsparse_index_base_SI_SI_SI_bbb,"axG",@progbits,_ZN9rocsparseL38bsrgemm_block_per_row_atomic_multipassILj256ELj128ELj4Ell21rocsparse_complex_numIdEEEv20rocsparse_direction_T3_S4_PKS4_S6_NS_24const_host_device_scalarIT4_EEPKT2_S6_PKS8_SC_S6_SE_S9_SC_S6_SE_SC_PS4_PS8_PSA_21rocsparse_index_base_SI_SI_SI_bbb,comdat
	.globl	_ZN9rocsparseL38bsrgemm_block_per_row_atomic_multipassILj256ELj128ELj4Ell21rocsparse_complex_numIdEEEv20rocsparse_direction_T3_S4_PKS4_S6_NS_24const_host_device_scalarIT4_EEPKT2_S6_PKS8_SC_S6_SE_S9_SC_S6_SE_SC_PS4_PS8_PSA_21rocsparse_index_base_SI_SI_SI_bbb ; -- Begin function _ZN9rocsparseL38bsrgemm_block_per_row_atomic_multipassILj256ELj128ELj4Ell21rocsparse_complex_numIdEEEv20rocsparse_direction_T3_S4_PKS4_S6_NS_24const_host_device_scalarIT4_EEPKT2_S6_PKS8_SC_S6_SE_S9_SC_S6_SE_SC_PS4_PS8_PSA_21rocsparse_index_base_SI_SI_SI_bbb
	.p2align	8
	.type	_ZN9rocsparseL38bsrgemm_block_per_row_atomic_multipassILj256ELj128ELj4Ell21rocsparse_complex_numIdEEEv20rocsparse_direction_T3_S4_PKS4_S6_NS_24const_host_device_scalarIT4_EEPKT2_S6_PKS8_SC_S6_SE_S9_SC_S6_SE_SC_PS4_PS8_PSA_21rocsparse_index_base_SI_SI_SI_bbb,@function
_ZN9rocsparseL38bsrgemm_block_per_row_atomic_multipassILj256ELj128ELj4Ell21rocsparse_complex_numIdEEEv20rocsparse_direction_T3_S4_PKS4_S6_NS_24const_host_device_scalarIT4_EEPKT2_S6_PKS8_SC_S6_SE_S9_SC_S6_SE_SC_PS4_PS8_PSA_21rocsparse_index_base_SI_SI_SI_bbb: ; @_ZN9rocsparseL38bsrgemm_block_per_row_atomic_multipassILj256ELj128ELj4Ell21rocsparse_complex_numIdEEEv20rocsparse_direction_T3_S4_PKS4_S6_NS_24const_host_device_scalarIT4_EEPKT2_S6_PKS8_SC_S6_SE_S9_SC_S6_SE_SC_PS4_PS8_PSA_21rocsparse_index_base_SI_SI_SI_bbb
; %bb.0:
	s_load_dword s9, s[6:7], 0xc0
	s_load_dwordx4 s[28:31], s[6:7], 0xb0
	s_load_dwordx4 s[16:19], s[6:7], 0x28
	;; [unrolled: 1-line block ×3, first 2 shown]
	v_and_b32_e32 v1, 0x3ff, v0
	s_load_dwordx2 s[4:5], s[4:5], 0x4
	s_waitcnt lgkmcnt(0)
	s_bitcmp1_b32 s9, 0
	s_cselect_b64 s[20:21], -1, 0
	s_bitcmp1_b32 s9, 16
	s_cselect_b64 s[0:1], -1, 0
	s_lshr_b32 s4, s4, 16
	s_mul_i32 s4, s4, s5
	v_mul_lo_u32 v2, s4, v1
	v_bfe_u32 v3, v0, 10, 10
	v_mad_u32_u24 v2, v3, s5, v2
	v_bfe_u32 v0, v0, 20, 10
	s_xor_b64 s[2:3], s[0:1], -1
	v_add_lshl_u32 v0, v2, v0, 3
	v_pk_mov_b32 v[10:11], 0, 0
	v_pk_mov_b32 v[2:3], s[16:17], s[16:17] op_sel:[0,1]
	v_pk_mov_b32 v[4:5], s[12:13], s[12:13] op_sel:[0,1]
	v_add_u32_e32 v6, 8, v0
	s_bitcmp0_b32 s9, 0
	v_pk_mov_b32 v[8:9], v[10:11], v[10:11] op_sel:[0,1]
	v_pk_mov_b32 v[12:13], v[10:11], v[10:11] op_sel:[0,1]
	ds_write2st64_b64 v6, v[4:5], v[2:3] offset0:73 offset1:77
	s_cbranch_scc1 .LBB158_3
; %bb.1:
	s_mov_b64 s[4:5], src_shared_base
	s_and_b64 s[10:11], s[0:1], exec
	v_add_u32_e32 v2, 0x9a08, v0
	s_cselect_b32 s4, s5, s17
	v_mov_b32_e32 v3, s16
	v_cndmask_b32_e64 v2, v3, v2, s[0:1]
	v_mov_b32_e32 v3, s4
	flat_load_dwordx2 v[8:9], v[2:3]
	s_andn2_b64 vcc, exec, s[2:3]
	v_pk_mov_b32 v[12:13], s[18:19], s[18:19] op_sel:[0,1]
	s_cbranch_vccnz .LBB158_3
; %bb.2:
	v_pk_mov_b32 v[2:3], s[16:17], s[16:17] op_sel:[0,1]
	flat_load_dwordx2 v[12:13], v[2:3] offset:8
.LBB158_3:
	s_load_dwordx2 s[4:5], s[6:7], 0x20
	s_bitcmp1_b32 s9, 8
	s_cselect_b64 s[34:35], -1, 0
	s_bfe_u32 s9, s9, 0x10008
	s_cmp_eq_u32 s9, 0
	v_pk_mov_b32 v[14:15], v[10:11], v[10:11] op_sel:[0,1]
	s_cbranch_scc1 .LBB158_6
; %bb.4:
	s_mov_b64 s[10:11], src_shared_base
	s_and_b64 s[16:17], s[0:1], exec
	v_add_u32_e32 v0, 0x9208, v0
	s_cselect_b32 s9, s11, s13
	v_mov_b32_e32 v2, s12
	v_cndmask_b32_e64 v2, v2, v0, s[0:1]
	v_mov_b32_e32 v3, s9
	flat_load_dwordx2 v[14:15], v[2:3]
	s_andn2_b64 vcc, exec, s[2:3]
	v_pk_mov_b32 v[10:11], s[14:15], s[14:15] op_sel:[0,1]
	s_cbranch_vccnz .LBB158_6
; %bb.5:
	v_pk_mov_b32 v[2:3], s[12:13], s[12:13] op_sel:[0,1]
	flat_load_dwordx2 v[10:11], v[2:3] offset:8
.LBB158_6:
	s_load_dwordx2 s[2:3], s[6:7], 0x38
	s_waitcnt lgkmcnt(0)
	s_cmp_eq_u64 s[4:5], 0
	s_mov_b32 s9, 0
	s_cbranch_scc1 .LBB158_8
; %bb.7:
	s_load_dwordx2 s[0:1], s[6:7], 0x18
	s_waitcnt lgkmcnt(0)
	s_load_dwordx2 s[0:1], s[0:1], 0x0
	s_waitcnt lgkmcnt(0)
	s_lshl_b64 s[0:1], s[0:1], 3
	s_add_u32 s4, s4, s0
	s_addc_u32 s5, s5, s1
	s_lshl_b64 s[0:1], s[8:9], 3
	s_add_u32 s0, s4, s0
	s_addc_u32 s1, s5, s1
	s_load_dwordx2 s[8:9], s[0:1], 0x0
.LBB158_8:
	v_cndmask_b32_e64 v0, 0, 1, s[20:21]
	s_mov_b64 s[4:5], 0
                                        ; implicit-def: $vgpr75 : SGPR spill to VGPR lane
	s_mov_b64 s[56:57], 0
	v_cmp_ne_u32_e64 s[0:1], 1, v0
	s_andn2_b64 vcc, exec, s[20:21]
	v_writelane_b32 v75, s4, 0
	v_writelane_b32 v75, s5, 1
	s_cbranch_vccz .LBB158_11
; %bb.9:
	s_and_b64 vcc, exec, s[0:1]
	s_cbranch_vccz .LBB158_12
.LBB158_10:
	s_load_dwordx4 s[52:55], s[6:7], 0x8
	s_waitcnt lgkmcnt(0)
	v_cmp_lt_i64_e64 s[0:1], s[52:53], 1
	s_and_b64 vcc, exec, s[0:1]
	s_cbranch_vccz .LBB158_13
	s_branch .LBB158_97
.LBB158_11:
	s_waitcnt lgkmcnt(0)
	s_lshl_b64 s[4:5], s[8:9], 3
	s_add_u32 s4, s2, s4
	s_addc_u32 s5, s3, s5
	s_load_dwordx2 s[4:5], s[4:5], 0x0
	s_waitcnt lgkmcnt(0)
	s_sub_u32 s4, s4, s28
	s_subb_u32 s5, s5, 0
	v_writelane_b32 v75, s4, 0
	v_writelane_b32 v75, s5, 1
	s_and_b64 vcc, exec, s[0:1]
	s_cbranch_vccnz .LBB158_10
.LBB158_12:
	s_waitcnt lgkmcnt(0)
	s_lshl_b64 s[0:1], s[8:9], 3
	s_add_u32 s0, s2, s0
	s_addc_u32 s1, s3, s1
	s_load_dwordx2 s[0:1], s[0:1], 0x8
	s_waitcnt lgkmcnt(0)
	s_sub_u32 s56, s0, s28
	s_subb_u32 s57, s1, 0
	s_load_dwordx4 s[52:55], s[6:7], 0x8
	s_waitcnt lgkmcnt(0)
	v_cmp_lt_i64_e64 s[0:1], s[52:53], 1
	s_and_b64 vcc, exec, s[0:1]
	s_cbranch_vccnz .LBB158_97
.LBB158_13:
	s_load_dwordx2 s[60:61], s[6:7], 0xa8
	s_load_dwordx4 s[24:27], s[6:7], 0x98
	s_load_dwordx8 s[36:43], s[6:7], 0x78
	s_load_dwordx2 s[66:67], s[6:7], 0x60
	s_load_dwordx8 s[44:51], s[6:7], 0x40
	s_lshl_b64 s[12:13], s[8:9], 3
	v_readlane_b32 s4, v75, 0
	s_waitcnt lgkmcnt(0)
	s_add_u32 s0, s42, s12
	s_addc_u32 s1, s43, s13
	s_load_dwordx2 s[0:1], s[0:1], 0x0
	v_pk_mov_b32 v[20:21], s[56:57], s[56:57] op_sel:[0,1]
	v_readlane_b32 s5, v75, 1
	v_cmp_lt_i64_e32 vcc, s[4:5], v[20:21]
	s_mul_i32 s4, s54, s55
	s_waitcnt lgkmcnt(0)
	s_sub_u32 s76, s0, s30
	s_mul_hi_u32 s5, s54, s54
	v_bfe_u32 v2, v1, 2, 2
	s_subb_u32 s77, s1, 0
	s_add_i32 s5, s5, s4
	s_add_i32 s43, s5, s4
	v_mad_u64_u32 v[4:5], s[4:5], v2, s54, 0
	v_mov_b32_e32 v6, v5
	v_mad_u64_u32 v[6:7], s[4:5], v2, s55, v[6:7]
	v_mov_b32_e32 v5, v6
	v_lshlrev_b64 v[4:5], 4, v[4:5]
	v_and_b32_e32 v18, 3, v1
	v_mov_b32_e32 v6, s47
	v_add_co_u32_e64 v7, s[4:5], s46, v4
	v_addc_co_u32_e64 v6, s[4:5], v6, v5, s[4:5]
	v_lshlrev_b32_e32 v22, 4, v18
	v_mov_b32_e32 v0, 0
	v_add_co_u32_e64 v53, s[4:5], v7, v22
	v_mov_b32_e32 v19, v0
	v_mov_b32_e32 v3, v0
	v_addc_co_u32_e64 v54, s[4:5], 0, v6, s[4:5]
	v_cmp_gt_i64_e64 s[10:11], s[54:55], v[18:19]
	v_cmp_gt_i64_e64 s[4:5], s[54:55], v[2:3]
	s_and_b64 s[46:47], s[10:11], s[4:5]
	v_mad_u64_u32 v[6:7], s[4:5], v18, s54, 0
	v_lshlrev_b32_e32 v25, 4, v1
	v_mov_b32_e32 v24, v7
	v_mad_u64_u32 v[26:27], s[4:5], v18, s55, v[24:25]
	v_mov_b32_e32 v7, v26
	v_lshlrev_b64 v[6:7], 4, v[6:7]
	v_cmp_gt_u64_e64 s[8:9], s[54:55], v[2:3]
	v_lshlrev_b64 v[26:27], 4, v[2:3]
	v_mov_b32_e32 v3, s27
	v_add_co_u32_e64 v19, s[4:5], s26, v6
	s_load_dword s6, s[6:7], 0x0
	v_addc_co_u32_e64 v24, s[4:5], v3, v7, s[4:5]
	v_add_co_u32_e64 v29, s[4:5], v19, v26
	v_addc_co_u32_e64 v19, s[4:5], v24, v27, s[4:5]
	v_add_co_u32_e64 v24, s[4:5], s26, v4
	v_addc_co_u32_e64 v3, s[4:5], v3, v5, s[4:5]
	s_waitcnt lgkmcnt(0)
	s_cmp_eq_u32 s6, 0
	v_add_co_u32_e64 v24, s[4:5], v24, v22
	v_lshrrev_b32_e32 v16, 4, v1
	v_addc_co_u32_e64 v3, s[4:5], 0, v3, s[4:5]
	s_cselect_b64 s[22:23], -1, 0
	s_cmp_lg_u32 s6, 0
	s_cselect_b64 s[62:63], -1, 0
	s_add_u32 s36, s36, s12
	v_subrev_co_u32_e64 v56, s[4:5], s31, v16
	s_mul_i32 s42, s54, s54
	s_addc_u32 s37, s37, s13
	v_subb_co_u32_e64 v57, s[4:5], 0, 0, s[4:5]
	v_mov_b32_e32 v30, s41
	v_add_co_u32_e64 v6, s[4:5], s40, v6
	v_writelane_b32 v75, s36, 2
	v_writelane_b32 v75, s37, 3
	;; [unrolled: 1-line block ×4, first 2 shown]
	v_addc_co_u32_e64 v7, s[4:5], v30, v7, s[4:5]
	v_writelane_b32 v75, s40, 6
	v_add_co_u32_e64 v6, s[4:5], v6, v26
	v_writelane_b32 v75, s41, 7
	v_addc_co_u32_e64 v7, s[4:5], v7, v27, s[4:5]
	v_writelane_b32 v75, s42, 8
	v_writelane_b32 v75, s43, 9
	v_add_co_u32_e64 v4, s[4:5], s40, v4
	s_and_b64 s[40:41], s[20:21], vcc
	s_and_b64 s[64:65], s[10:11], s[8:9]
	s_mov_b32 s93, s31
	v_addc_co_u32_e64 v5, s[4:5], v30, v5, s[4:5]
	s_add_u32 s31, s48, 8
	v_add_co_u32_e64 v4, s[4:5], v4, v22
	s_addc_u32 s95, s49, 0
	s_movk_i32 s0, 0x80
	v_addc_co_u32_e64 v5, s[4:5], 0, v5, s[4:5]
	v_mov_b32_e32 v30, 0x9000
	s_add_u32 s38, s24, -8
	v_and_b32_e32 v28, 15, v1
	v_cmp_gt_u32_e64 s[0:1], s0, v1
	v_cmp_eq_u32_e64 s[2:3], 0, v1
	v_and_b32_e32 v55, 12, v1
	v_and_b32_e32 v26, 0x7f, v1
	v_lshl_or_b32 v60, v1, 2, v30
	v_cndmask_b32_e64 v19, v19, v3, s[22:23]
	v_cndmask_b32_e64 v24, v29, v24, s[22:23]
	;; [unrolled: 1-line block ×4, first 2 shown]
	v_or_b32_e32 v1, 0x400, v1
	s_movk_i32 s22, 0x700
	s_addc_u32 s39, s25, -1
	v_cmp_gt_u32_e64 s[22:23], s22, v1
	s_add_u32 s66, s66, 8
	v_lshlrev_b32_e32 v1, 4, v2
	s_addc_u32 s67, s67, 0
	v_lshl_or_b32 v1, v16, 8, v1
	v_cmp_eq_u32_e64 s[4:5], 15, v28
	v_lshlrev_b32_e32 v27, 2, v26
	v_add_co_u32_e64 v28, s[6:7], -1, v26
	v_cmp_ne_u32_e64 s[8:9], 0, v26
	v_cmp_lt_u32_e64 s[10:11], 1, v26
	v_cmp_lt_u32_e64 s[12:13], 3, v26
	;; [unrolled: 1-line block ×6, first 2 shown]
	v_add_u32_e32 v67, 0x8000, v1
	v_mov_b32_e32 v1, s67
	v_add_co_u32_e32 v26, vcc, s66, v22
	v_or_b32_e32 v58, 0x9000, v27
	v_add_u32_e32 v61, 0x8ff8, v27
	v_add_u32_e32 v62, 0x8ff0, v27
	;; [unrolled: 1-line block ×6, first 2 shown]
	v_addc_co_u32_e32 v27, vcc, 0, v1, vcc
	s_mov_b32 s33, 0
	v_lshl_add_u32 v59, v28, 2, v30
	v_add_co_u32_e32 v28, vcc, 8, v4
	v_addc_co_u32_e32 v29, vcc, 0, v3, vcc
	s_mov_b32 s24, s33
	s_mov_b32 s25, s33
	s_lshl_b64 s[68:69], s[54:55], 4
	v_and_b32_e32 v1, 0xfc0, v25
	v_add_co_u32_e32 v69, vcc, 16, v56
	v_mov_b32_e32 v32, 0x80
	s_mov_b32 s26, s33
	s_mov_b32 s27, s33
	v_pk_mov_b32 v[4:5], s[24:25], s[24:25] op_sel:[0,1]
	v_mov_b32_e32 v17, v0
	v_or_b32_e32 v52, 0x8000, v25
	v_mov_b32_e32 v23, v0
	s_mov_b32 s92, s33
	s_mov_b32 s94, s33
	s_lshl_b64 s[70:71], s[42:43], 4
	v_or_b32_e32 v68, 0x8000, v1
	s_lshl_b64 s[72:73], s[42:43], 8
	v_addc_co_u32_e32 v70, vcc, 0, v57, vcc
	v_lshl_or_b32 v71, v16, 2, v30
	s_mov_b64 s[74:75], 0
	v_mov_b32_e32 v33, 0
	v_pk_mov_b32 v[30:31], s[76:77], s[76:77] op_sel:[0,1]
	v_pk_mov_b32 v[6:7], s[26:27], s[26:27] op_sel:[0,1]
	v_mov_b32_e32 v72, 1
	v_mov_b32_e32 v73, s69
	s_movk_i32 s58, 0x6f
	s_branch .LBB158_15
.LBB158_14:                             ;   in Loop: Header=BB158_15 Depth=1
	s_or_b64 exec, exec, s[24:25]
	s_barrier
	ds_read_b64 v[2:3], v0 offset:37376
	v_ashrrev_i32_e32 v1, 31, v33
	v_add_co_u32_e32 v30, vcc, v30, v33
	v_addc_co_u32_e32 v31, vcc, v31, v1, vcc
	s_waitcnt lgkmcnt(0)
	v_add_co_u32_e32 v32, vcc, 0x80, v2
	v_addc_co_u32_e32 v33, vcc, 0, v3, vcc
	v_cmp_le_i64_e32 vcc, s[52:53], v[2:3]
	v_readfirstlane_b32 s74, v2
	v_readfirstlane_b32 s75, v3
	s_barrier
	s_cbranch_vccnz .LBB158_97
.LBB158_15:                             ; =>This Loop Header: Depth=1
                                        ;     Child Loop BB158_24 Depth 2
                                        ;       Child Loop BB158_40 Depth 3
                                        ;         Child Loop BB158_52 Depth 4
                                        ;         Child Loop BB158_48 Depth 4
                                        ;     Child Loop BB158_62 Depth 2
                                        ;     Child Loop BB158_71 Depth 2
	;; [unrolled: 1-line block ×3, first 2 shown]
	s_and_saveexec_b64 s[24:25], s[0:1]
	s_cbranch_execz .LBB158_17
; %bb.16:                               ;   in Loop: Header=BB158_15 Depth=1
	ds_write_b32 v60, v0
.LBB158_17:                             ;   in Loop: Header=BB158_15 Depth=1
	s_or_b64 exec, exec, s[24:25]
	ds_write_b128 v25, v[4:7]
	ds_write_b128 v25, v[4:7] offset:4096
	ds_write_b128 v25, v[4:7] offset:8192
	ds_write_b128 v25, v[4:7] offset:12288
	ds_write_b128 v25, v[4:7] offset:16384
	s_and_saveexec_b64 s[24:25], s[22:23]
	s_xor_b64 s[24:25], exec, s[24:25]
	s_cbranch_execz .LBB158_19
; %bb.18:                               ;   in Loop: Header=BB158_15 Depth=1
	ds_write_b128 v25, v[4:7] offset:20480
	ds_write_b128 v25, v[4:7] offset:24576
	;; [unrolled: 1-line block ×3, first 2 shown]
.LBB158_19:                             ;   in Loop: Header=BB158_15 Depth=1
	s_or_b64 exec, exec, s[24:25]
	s_and_saveexec_b64 s[24:25], s[2:3]
	s_cbranch_execz .LBB158_21
; %bb.20:                               ;   in Loop: Header=BB158_15 Depth=1
	v_pk_mov_b32 v[2:3], s[52:53], s[52:53] op_sel:[0,1]
	ds_write_b64 v0, v[2:3] offset:37376
.LBB158_21:                             ;   in Loop: Header=BB158_15 Depth=1
	s_or_b64 exec, exec, s[24:25]
	s_andn2_b64 vcc, exec, s[40:41]
	v_pk_mov_b32 v[34:35], s[52:53], s[52:53] op_sel:[0,1]
	s_waitcnt lgkmcnt(0)
	s_barrier
	s_cbranch_vccnz .LBB158_57
; %bb.22:                               ;   in Loop: Header=BB158_15 Depth=1
	s_cmp_lg_u64 s[74:75], 0
	v_readlane_b32 s78, v75, 0
	s_cselect_b64 s[76:77], -1, 0
	v_pk_mov_b32 v[34:35], s[52:53], s[52:53] op_sel:[0,1]
	v_readlane_b32 s79, v75, 1
	s_branch .LBB158_24
.LBB158_23:                             ;   in Loop: Header=BB158_24 Depth=2
	s_or_b64 exec, exec, s[26:27]
	s_add_u32 s78, s78, 16
	s_addc_u32 s79, s79, 0
	v_cmp_lt_i64_e32 vcc, s[78:79], v[20:21]
	s_cbranch_vccz .LBB158_57
.LBB158_24:                             ;   Parent Loop BB158_15 Depth=1
                                        ; =>  This Loop Header: Depth=2
                                        ;       Child Loop BB158_40 Depth 3
                                        ;         Child Loop BB158_52 Depth 4
                                        ;         Child Loop BB158_48 Depth 4
	v_mov_b32_e32 v1, s79
	v_add_co_u32_e32 v38, vcc, s78, v16
	v_addc_co_u32_e32 v39, vcc, 0, v1, vcc
	v_cmp_gt_i64_e64 s[24:25], s[56:57], v[38:39]
	s_barrier
	s_and_saveexec_b64 s[26:27], s[24:25]
	s_cbranch_execz .LBB158_29
; %bb.25:                               ;   in Loop: Header=BB158_24 Depth=2
	s_and_saveexec_b64 s[80:81], s[64:65]
	s_xor_b64 s[80:81], exec, s[80:81]
	s_cbranch_execz .LBB158_27
; %bb.26:                               ;   in Loop: Header=BB158_24 Depth=2
	v_mul_lo_u32 v1, v39, s42
	v_mul_lo_u32 v36, v38, s43
	v_mad_u64_u32 v[2:3], s[82:83], v38, s42, 0
	v_add3_u32 v3, v3, v36, v1
	v_lshlrev_b64 v[2:3], 4, v[2:3]
	v_add_co_u32_e32 v2, vcc, v53, v2
	v_addc_co_u32_e32 v3, vcc, v54, v3, vcc
	global_load_dwordx4 v[40:43], v[2:3], off
	s_waitcnt vmcnt(0)
	ds_write2_b64 v52, v[40:41], v[42:43] offset1:1
.LBB158_27:                             ;   in Loop: Header=BB158_24 Depth=2
	s_andn2_saveexec_b64 s[80:81], s[80:81]
	s_cbranch_execz .LBB158_29
; %bb.28:                               ;   in Loop: Header=BB158_24 Depth=2
	v_mov_b32_e32 v1, v0
	v_mov_b32_e32 v2, v0
	;; [unrolled: 1-line block ×3, first 2 shown]
	ds_write_b128 v52, v[0:3]
.LBB158_29:                             ;   in Loop: Header=BB158_24 Depth=2
	s_or_b64 exec, exec, s[26:27]
	v_pk_mov_b32 v[36:37], 0, 0
	v_lshlrev_b64 v[2:3], 3, v[38:39]
	s_waitcnt lgkmcnt(0)
	s_barrier
	s_and_saveexec_b64 s[80:81], s[24:25]
	s_cbranch_execz .LBB158_55
; %bb.30:                               ;   in Loop: Header=BB158_24 Depth=2
	v_mov_b32_e32 v1, s45
	v_add_co_u32_e32 v36, vcc, s44, v2
	v_addc_co_u32_e32 v37, vcc, v1, v3, vcc
	global_load_dwordx2 v[38:39], v[36:37], off
	s_and_b64 vcc, exec, s[76:77]
	s_cbranch_vccz .LBB158_32
; %bb.31:                               ;   in Loop: Header=BB158_24 Depth=2
	v_mov_b32_e32 v1, s61
	v_add_co_u32_e32 v36, vcc, s60, v2
	v_addc_co_u32_e32 v37, vcc, v1, v3, vcc
	global_load_dwordx2 v[36:37], v[36:37], off
	s_mov_b64 s[26:27], 0
	s_branch .LBB158_33
.LBB158_32:                             ;   in Loop: Header=BB158_24 Depth=2
	s_mov_b64 s[26:27], -1
                                        ; implicit-def: $vgpr36_vgpr37
.LBB158_33:                             ;   in Loop: Header=BB158_24 Depth=2
	v_mov_b32_e32 v1, s92
	s_waitcnt vmcnt(0)
	v_subrev_co_u32_e32 v38, vcc, s28, v38
	v_subb_co_u32_e32 v39, vcc, v39, v1, vcc
	s_andn2_b64 vcc, exec, s[26:27]
	v_lshlrev_b64 v[38:39], 3, v[38:39]
	s_cbranch_vccnz .LBB158_35
; %bb.34:                               ;   in Loop: Header=BB158_24 Depth=2
	v_mov_b32_e32 v1, s49
	v_add_co_u32_e32 v36, vcc, s48, v38
	v_addc_co_u32_e32 v37, vcc, v1, v39, vcc
	global_load_dwordx2 v[36:37], v[36:37], off
	v_mov_b32_e32 v1, s33
	s_waitcnt vmcnt(0)
	v_subrev_co_u32_e32 v36, vcc, s29, v36
	v_subb_co_u32_e32 v37, vcc, v37, v1, vcc
.LBB158_35:                             ;   in Loop: Header=BB158_24 Depth=2
	v_mov_b32_e32 v1, s95
	v_add_co_u32_e32 v38, vcc, s31, v38
	v_addc_co_u32_e32 v39, vcc, v1, v39, vcc
	global_load_dwordx2 v[38:39], v[38:39], off
	v_mov_b32_e32 v1, s33
	s_waitcnt vmcnt(0)
	v_subrev_co_u32_e32 v38, vcc, s29, v38
	v_subb_co_u32_e32 v39, vcc, v39, v1, vcc
	v_cmp_lt_i64_e32 vcc, v[36:37], v[38:39]
	s_and_saveexec_b64 s[82:83], vcc
	s_cbranch_execz .LBB158_54
; %bb.36:                               ;   in Loop: Header=BB158_24 Depth=2
	v_mad_u64_u32 v[40:41], s[26:27], s68, v36, v[22:23]
	v_mul_lo_u32 v1, s68, v37
	v_mul_lo_u32 v42, s69, v36
	v_add3_u32 v1, v42, v41, v1
	v_pk_mov_b32 v[42:43], s[66:67], s[66:67] op_sel:[0,1]
	v_mul_lo_u32 v44, s55, v40
	v_mul_lo_u32 v1, s54, v1
	v_mad_u64_u32 v[40:41], s[26:27], s54, v40, v[42:43]
	v_add3_u32 v41, v44, v41, v1
	v_mad_u64_u32 v[42:43], s[26:27], s70, v36, v[26:27]
	v_mul_lo_u32 v1, s70, v37
	v_mul_lo_u32 v44, s71, v36
	v_add3_u32 v43, v44, v43, v1
	s_mov_b64 s[84:85], 0
	v_pk_mov_b32 v[44:45], v[36:37], v[36:37] op_sel:[0,1]
	s_branch .LBB158_40
.LBB158_37:                             ;   in Loop: Header=BB158_40 Depth=3
	v_lshlrev_b32_e32 v1, 4, v1
	v_or3_b32 v1, v1, v55, v18
	v_mul_f64 v[50:51], v[48:49], -v[12:13]
	v_lshlrev_b32_e32 v1, 4, v1
	v_fmac_f64_e32 v[50:51], v[8:9], v[46:47]
	v_mul_f64 v[48:49], v[8:9], v[48:49]
	v_fmac_f64_e32 v[48:49], v[12:13], v[46:47]
	ds_add_f64 v1, v[50:51]
	ds_add_f64 v1, v[48:49] offset:8
.LBB158_38:                             ;   in Loop: Header=BB158_40 Depth=3
	s_or_b64 exec, exec, s[88:89]
	s_or_b64 s[26:27], s[26:27], exec
.LBB158_39:                             ;   in Loop: Header=BB158_40 Depth=3
	s_or_b64 exec, exec, s[86:87]
	v_add_co_u32_e32 v44, vcc, 1, v44
	v_addc_co_u32_e32 v45, vcc, 0, v45, vcc
	v_cmp_ge_i64_e32 vcc, v[44:45], v[38:39]
	s_xor_b64 s[26:27], s[26:27], -1
	s_or_b64 s[26:27], s[26:27], vcc
	v_mov_b32_e32 v1, s71
	v_add_co_u32_e32 v40, vcc, s70, v40
	v_addc_co_u32_e32 v41, vcc, v41, v1, vcc
	s_and_b64 s[26:27], exec, s[26:27]
	v_add_co_u32_e32 v42, vcc, s70, v42
	s_or_b64 s[84:85], s[26:27], s[84:85]
	v_addc_co_u32_e32 v43, vcc, v43, v1, vcc
	s_andn2_b64 exec, exec, s[84:85]
	s_cbranch_execz .LBB158_53
.LBB158_40:                             ;   Parent Loop BB158_15 Depth=1
                                        ;     Parent Loop BB158_24 Depth=2
                                        ; =>    This Loop Header: Depth=3
                                        ;         Child Loop BB158_52 Depth 4
                                        ;         Child Loop BB158_48 Depth 4
	v_lshlrev_b64 v[46:47], 3, v[44:45]
	v_mov_b32_e32 v1, s51
	v_add_co_u32_e32 v46, vcc, s50, v46
	v_addc_co_u32_e32 v47, vcc, v1, v47, vcc
	global_load_dwordx2 v[46:47], v[46:47], off
	v_mov_b32_e32 v1, s33
	s_waitcnt vmcnt(0)
	v_subrev_co_u32_e32 v46, vcc, s29, v46
	v_subb_co_u32_e32 v47, vcc, v47, v1, vcc
	v_cmp_gt_i64_e64 s[26:27], s[74:75], v[46:47]
	v_cmp_ge_i64_e32 vcc, v[46:47], v[32:33]
	s_or_b64 s[86:87], s[26:27], vcc
                                        ; implicit-def: $sgpr26_sgpr27
	s_and_saveexec_b64 s[88:89], s[86:87]
	s_xor_b64 s[86:87], exec, s[88:89]
	s_cbranch_execz .LBB158_44
; %bb.41:                               ;   in Loop: Header=BB158_40 Depth=3
	s_mov_b64 s[26:27], -1
	s_and_saveexec_b64 s[88:89], vcc
; %bb.42:                               ;   in Loop: Header=BB158_40 Depth=3
	v_cmp_lt_i64_e32 vcc, v[46:47], v[34:35]
	v_cndmask_b32_e32 v35, v35, v47, vcc
	v_cndmask_b32_e32 v34, v34, v46, vcc
	s_xor_b64 s[26:27], exec, -1
	v_pk_mov_b32 v[36:37], v[44:45], v[44:45] op_sel:[0,1]
; %bb.43:                               ;   in Loop: Header=BB158_40 Depth=3
	s_or_b64 exec, exec, s[88:89]
	s_and_b64 s[26:27], s[26:27], exec
                                        ; implicit-def: $vgpr46_vgpr47
.LBB158_44:                             ;   in Loop: Header=BB158_40 Depth=3
	s_andn2_saveexec_b64 s[86:87], s[86:87]
	s_cbranch_execz .LBB158_39
; %bb.45:                               ;   in Loop: Header=BB158_40 Depth=3
	v_subrev_u32_e32 v1, s74, v46
	v_lshlrev_b32_e32 v46, 2, v1
	ds_write_b32 v46, v72 offset:36864
	s_and_saveexec_b64 s[88:89], s[46:47]
	s_cbranch_execz .LBB158_38
; %bb.46:                               ;   in Loop: Header=BB158_40 Depth=3
	s_andn2_b64 vcc, exec, s[62:63]
	s_cbranch_vccnz .LBB158_50
; %bb.47:                               ;   in Loop: Header=BB158_40 Depth=3
	v_pk_mov_b32 v[46:47], 0, 0
	v_mov_b32_e32 v74, v67
	s_mov_b64 s[90:91], s[54:55]
	v_pk_mov_b32 v[50:51], v[40:41], v[40:41] op_sel:[0,1]
	v_pk_mov_b32 v[48:49], v[46:47], v[46:47] op_sel:[0,1]
.LBB158_48:                             ;   Parent Loop BB158_15 Depth=1
                                        ;     Parent Loop BB158_24 Depth=2
                                        ;       Parent Loop BB158_40 Depth=3
                                        ; =>      This Inner Loop Header: Depth=4
	global_load_dwordx4 v[76:79], v[50:51], off offset:-8
	ds_read_b128 v[80:83], v74
	s_add_u32 s90, s90, -1
	v_add_co_u32_e32 v50, vcc, 16, v50
	s_addc_u32 s91, s91, -1
	v_addc_co_u32_e32 v51, vcc, 0, v51, vcc
	v_add_u32_e32 v74, 64, v74
	s_cmp_lg_u64 s[90:91], 0
	s_waitcnt vmcnt(0) lgkmcnt(0)
	v_fmac_f64_e32 v[46:47], v[80:81], v[76:77]
	v_fmac_f64_e32 v[48:49], v[82:83], v[76:77]
	v_fma_f64 v[46:47], -v[82:83], v[78:79], v[46:47]
	v_fmac_f64_e32 v[48:49], v[80:81], v[78:79]
	s_cbranch_scc1 .LBB158_48
; %bb.49:                               ;   in Loop: Header=BB158_40 Depth=3
	s_branch .LBB158_37
.LBB158_50:                             ;   in Loop: Header=BB158_40 Depth=3
                                        ; implicit-def: $vgpr46_vgpr47
                                        ; implicit-def: $vgpr48_vgpr49
	s_cbranch_execz .LBB158_37
; %bb.51:                               ;   in Loop: Header=BB158_40 Depth=3
	v_pk_mov_b32 v[46:47], 0, 0
	v_mov_b32_e32 v74, v68
	v_pk_mov_b32 v[50:51], v[42:43], v[42:43] op_sel:[0,1]
	s_mov_b64 s[90:91], s[54:55]
	v_pk_mov_b32 v[48:49], v[46:47], v[46:47] op_sel:[0,1]
.LBB158_52:                             ;   Parent Loop BB158_15 Depth=1
                                        ;     Parent Loop BB158_24 Depth=2
                                        ;       Parent Loop BB158_40 Depth=3
                                        ; =>      This Inner Loop Header: Depth=4
	global_load_dwordx4 v[76:79], v[50:51], off offset:-8
	ds_read_b128 v[80:83], v74
	s_add_u32 s90, s90, -1
	v_add_co_u32_e32 v50, vcc, s68, v50
	s_addc_u32 s91, s91, -1
	v_addc_co_u32_e32 v51, vcc, v51, v73, vcc
	v_add_u32_e32 v74, 16, v74
	s_cmp_eq_u64 s[90:91], 0
	s_waitcnt vmcnt(0) lgkmcnt(0)
	v_fmac_f64_e32 v[46:47], v[80:81], v[76:77]
	v_fmac_f64_e32 v[48:49], v[82:83], v[76:77]
	v_fma_f64 v[46:47], -v[82:83], v[78:79], v[46:47]
	v_fmac_f64_e32 v[48:49], v[80:81], v[78:79]
	s_cbranch_scc0 .LBB158_52
	s_branch .LBB158_37
.LBB158_53:                             ;   in Loop: Header=BB158_24 Depth=2
	s_or_b64 exec, exec, s[84:85]
.LBB158_54:                             ;   in Loop: Header=BB158_24 Depth=2
	s_or_b64 exec, exec, s[82:83]
.LBB158_55:                             ;   in Loop: Header=BB158_24 Depth=2
	s_or_b64 exec, exec, s[80:81]
	s_waitcnt lgkmcnt(0)
	s_barrier
	s_and_saveexec_b64 s[26:27], s[24:25]
	s_cbranch_execz .LBB158_23
; %bb.56:                               ;   in Loop: Header=BB158_24 Depth=2
	v_mov_b32_e32 v1, s61
	v_add_co_u32_e32 v2, vcc, s60, v2
	v_addc_co_u32_e32 v3, vcc, v1, v3, vcc
	global_store_dwordx2 v[2:3], v[36:37], off
	s_branch .LBB158_23
.LBB158_57:                             ;   in Loop: Header=BB158_15 Depth=1
	s_andn2_b64 vcc, exec, s[34:35]
	s_cbranch_vccnz .LBB158_69
; %bb.58:                               ;   in Loop: Header=BB158_15 Depth=1
	s_load_dwordx4 s[24:27], s[36:37], 0x0
	s_waitcnt lgkmcnt(0)
	s_sub_u32 s26, s26, s93
	v_mov_b32_e32 v1, s25
	v_add_co_u32_e32 v38, vcc, s24, v56
	s_subb_u32 s27, s27, 0
	v_addc_co_u32_e32 v39, vcc, v1, v57, vcc
	v_cmp_gt_i64_e32 vcc, s[26:27], v[38:39]
	s_and_saveexec_b64 s[76:77], vcc
	s_cbranch_execz .LBB158_68
; %bb.59:                               ;   in Loop: Header=BB158_15 Depth=1
	v_readlane_b32 s80, v75, 2
	v_readlane_b32 s82, v75, 4
	;; [unrolled: 1-line block ×3, first 2 shown]
	v_lshlrev_b64 v[2:3], 3, v[38:39]
	s_mov_b64 s[78:79], s[82:83]
	v_mov_b32_e32 v1, s79
	v_add_co_u32_e32 v2, vcc, s78, v2
	v_addc_co_u32_e32 v3, vcc, v1, v3, vcc
	v_mad_u64_u32 v[36:37], s[78:79], s70, v38, v[28:29]
	v_mul_lo_u32 v1, s70, v39
	v_mul_lo_u32 v38, s71, v38
	v_add3_u32 v37, v38, v37, v1
	v_mov_b32_e32 v1, s25
	v_add_co_u32_e32 v38, vcc, s24, v69
	v_addc_co_u32_e32 v39, vcc, v70, v1, vcc
	s_mov_b64 s[78:79], 0
	v_readlane_b32 s81, v75, 3
	v_readlane_b32 s84, v75, 6
	;; [unrolled: 1-line block ×5, first 2 shown]
	s_branch .LBB158_62
.LBB158_60:                             ;   in Loop: Header=BB158_62 Depth=2
	s_or_b64 exec, exec, s[82:83]
	s_or_b64 s[24:25], s[24:25], exec
.LBB158_61:                             ;   in Loop: Header=BB158_62 Depth=2
	s_or_b64 exec, exec, s[80:81]
	v_cmp_le_i64_e32 vcc, s[26:27], v[38:39]
	s_xor_b64 s[24:25], s[24:25], -1
	s_or_b64 s[24:25], s[24:25], vcc
	v_add_co_u32_e32 v2, vcc, 0x80, v2
	v_addc_co_u32_e32 v3, vcc, 0, v3, vcc
	v_mov_b32_e32 v1, s73
	v_add_co_u32_e32 v36, vcc, s72, v36
	v_addc_co_u32_e32 v37, vcc, v37, v1, vcc
	s_and_b64 s[24:25], exec, s[24:25]
	v_add_co_u32_e32 v38, vcc, 16, v38
	s_or_b64 s[78:79], s[24:25], s[78:79]
	v_addc_co_u32_e32 v39, vcc, 0, v39, vcc
	s_andn2_b64 exec, exec, s[78:79]
	s_cbranch_execz .LBB158_67
.LBB158_62:                             ;   Parent Loop BB158_15 Depth=1
                                        ; =>  This Inner Loop Header: Depth=2
	global_load_dwordx2 v[40:41], v[2:3], off
	v_mov_b32_e32 v1, s94
	s_waitcnt vmcnt(0)
	v_subrev_co_u32_e32 v40, vcc, s93, v40
	v_subb_co_u32_e32 v41, vcc, v41, v1, vcc
	v_cmp_lt_i64_e32 vcc, v[40:41], v[32:33]
	v_cmp_gt_i64_e64 s[24:25], s[74:75], v[40:41]
	s_xor_b64 s[80:81], vcc, -1
	s_or_b64 s[80:81], s[24:25], s[80:81]
                                        ; implicit-def: $sgpr24_sgpr25
	s_and_saveexec_b64 s[82:83], s[80:81]
	s_xor_b64 s[80:81], exec, s[82:83]
; %bb.63:                               ;   in Loop: Header=BB158_62 Depth=2
	v_cmp_lt_i64_e64 s[24:25], v[40:41], v[34:35]
	v_cndmask_b32_e64 v1, v34, v40, s[24:25]
	v_cndmask_b32_e64 v40, v35, v41, s[24:25]
	v_cndmask_b32_e32 v35, v40, v35, vcc
	v_cndmask_b32_e32 v34, v1, v34, vcc
	s_and_b64 s[24:25], vcc, exec
                                        ; implicit-def: $vgpr40
; %bb.64:                               ;   in Loop: Header=BB158_62 Depth=2
	s_andn2_saveexec_b64 s[80:81], s[80:81]
	s_cbranch_execz .LBB158_61
; %bb.65:                               ;   in Loop: Header=BB158_62 Depth=2
	v_subrev_u32_e32 v1, s74, v40
	v_lshlrev_b32_e32 v40, 2, v1
	ds_write_b32 v40, v72 offset:36864
	s_and_saveexec_b64 s[82:83], s[64:65]
	s_cbranch_execz .LBB158_60
; %bb.66:                               ;   in Loop: Header=BB158_62 Depth=2
	global_load_dwordx4 v[40:43], v[36:37], off offset:-8
	v_lshlrev_b32_e32 v1, 4, v1
	v_or3_b32 v1, v1, v55, v18
	v_lshlrev_b32_e32 v1, 4, v1
	s_waitcnt vmcnt(0)
	v_mul_f64 v[44:45], v[42:43], -v[10:11]
	v_mul_f64 v[42:43], v[14:15], v[42:43]
	v_fmac_f64_e32 v[44:45], v[14:15], v[40:41]
	v_fmac_f64_e32 v[42:43], v[10:11], v[40:41]
	ds_add_f64 v1, v[44:45]
	ds_add_f64 v1, v[42:43] offset:8
	s_branch .LBB158_60
.LBB158_67:                             ;   in Loop: Header=BB158_15 Depth=1
	s_or_b64 exec, exec, s[78:79]
.LBB158_68:                             ;   in Loop: Header=BB158_15 Depth=1
	s_or_b64 exec, exec, s[76:77]
.LBB158_69:                             ;   in Loop: Header=BB158_15 Depth=1
	s_and_saveexec_b64 s[24:25], s[4:5]
	s_cbranch_execz .LBB158_74
; %bb.70:                               ;   in Loop: Header=BB158_15 Depth=1
	s_mov_b64 s[76:77], exec
	s_mov_b64 s[26:27], -1
.LBB158_71:                             ;   Parent Loop BB158_15 Depth=1
                                        ; =>  This Inner Loop Header: Depth=2
	s_ff1_i32_b64 s59, s[76:77]
	v_readlane_b32 s80, v35, s59
	v_readlane_b32 s81, v34, s59
	v_mov_b32_e32 v2, s81
	v_mov_b32_e32 v3, s80
	v_cmp_lt_u64_e32 vcc, s[26:27], v[2:3]
	s_and_b64 s[78:79], vcc, exec
	s_cselect_b32 s27, s27, s80
	s_cselect_b32 s26, s26, s81
	s_lshl_b64 s[78:79], 1, s59
	s_andn2_b64 s[76:77], s[76:77], s[78:79]
	s_cmp_lg_u64 s[76:77], 0
	s_cbranch_scc1 .LBB158_71
; %bb.72:                               ;   in Loop: Header=BB158_15 Depth=1
	v_mbcnt_lo_u32_b32 v1, exec_lo, 0
	v_mbcnt_hi_u32_b32 v1, exec_hi, v1
	v_cmp_eq_u32_e32 vcc, 0, v1
	s_and_saveexec_b64 s[76:77], vcc
	s_xor_b64 s[76:77], exec, s[76:77]
	s_cbranch_execz .LBB158_74
; %bb.73:                               ;   in Loop: Header=BB158_15 Depth=1
	v_pk_mov_b32 v[2:3], s[26:27], s[26:27] op_sel:[0,1]
	ds_min_u64 v0, v[2:3] offset:37376
.LBB158_74:                             ;   in Loop: Header=BB158_15 Depth=1
	s_or_b64 exec, exec, s[24:25]
	s_waitcnt lgkmcnt(0)
	s_barrier
	ds_read_b32 v1, v58
	s_waitcnt lgkmcnt(0)
	s_barrier
	s_and_saveexec_b64 s[24:25], s[8:9]
	s_cbranch_execz .LBB158_76
; %bb.75:                               ;   in Loop: Header=BB158_15 Depth=1
	ds_read_b32 v2, v59
	s_waitcnt lgkmcnt(0)
	v_add_u32_e32 v1, v2, v1
.LBB158_76:                             ;   in Loop: Header=BB158_15 Depth=1
	s_or_b64 exec, exec, s[24:25]
	s_barrier
	ds_write_b32 v58, v1
	s_waitcnt lgkmcnt(0)
	s_barrier
	s_and_saveexec_b64 s[24:25], s[10:11]
	s_cbranch_execz .LBB158_78
; %bb.77:                               ;   in Loop: Header=BB158_15 Depth=1
	ds_read_b32 v2, v61
	s_waitcnt lgkmcnt(0)
	v_add_u32_e32 v1, v2, v1
.LBB158_78:                             ;   in Loop: Header=BB158_15 Depth=1
	s_or_b64 exec, exec, s[24:25]
	s_barrier
	ds_write_b32 v58, v1
	;; [unrolled: 12-line block ×7, first 2 shown]
	s_waitcnt lgkmcnt(0)
	s_barrier
	ds_read_b32 v33, v0 offset:37372
	v_mov_b32_e32 v2, 0
	s_and_saveexec_b64 s[24:25], s[6:7]
	s_cbranch_execz .LBB158_90
; %bb.89:                               ;   in Loop: Header=BB158_15 Depth=1
	ds_read_b32 v2, v59
.LBB158_90:                             ;   in Loop: Header=BB158_15 Depth=1
	s_or_b64 exec, exec, s[24:25]
	s_waitcnt lgkmcnt(0)
	v_cmp_eq_u32_e32 vcc, v1, v2
	s_and_b64 s[26:27], s[6:7], vcc
	s_barrier
	s_and_saveexec_b64 s[24:25], s[26:27]
	s_cbranch_execz .LBB158_92
; %bb.91:                               ;   in Loop: Header=BB158_15 Depth=1
	ds_write_b32 v58, v0
.LBB158_92:                             ;   in Loop: Header=BB158_15 Depth=1
	s_or_b64 exec, exec, s[24:25]
	v_add_co_u32_e32 v34, vcc, -1, v30
	s_add_u32 s59, s30, s74
	v_addc_co_u32_e32 v35, vcc, -1, v31, vcc
	s_addc_u32 s74, 0, s75
	s_mov_b64 s[24:25], 0
	v_mov_b32_e32 v36, v71
	v_mov_b32_e32 v37, v25
	v_pk_mov_b32 v[2:3], v[16:17], v[16:17] op_sel:[0,1]
	s_waitcnt lgkmcnt(0)
	s_barrier
	s_branch .LBB158_94
.LBB158_93:                             ;   in Loop: Header=BB158_94 Depth=2
	s_or_b64 exec, exec, s[26:27]
	v_add_co_u32_e32 v2, vcc, 16, v2
	v_addc_co_u32_e32 v3, vcc, 0, v3, vcc
	v_add_u32_e32 v1, -16, v2
	v_cmp_lt_u32_e32 vcc, s58, v1
	v_add_u32_e32 v37, 0x1000, v37
	s_or_b64 s[24:25], vcc, s[24:25]
	v_add_u32_e32 v36, 64, v36
	s_andn2_b64 exec, exec, s[24:25]
	s_cbranch_execz .LBB158_14
.LBB158_94:                             ;   Parent Loop BB158_15 Depth=1
                                        ; =>  This Inner Loop Header: Depth=2
	ds_read_b32 v32, v36
	s_waitcnt lgkmcnt(0)
	v_cmp_ne_u32_e32 vcc, 0, v32
	s_and_saveexec_b64 s[26:27], vcc
	s_cbranch_execz .LBB158_93
; %bb.95:                               ;   in Loop: Header=BB158_94 Depth=2
	v_mov_b32_e32 v39, s74
	v_add_co_u32_e32 v38, vcc, s59, v2
	v_addc_co_u32_e32 v39, vcc, v39, v3, vcc
	v_ashrrev_i32_e32 v1, 31, v32
	v_add_co_u32_e32 v40, vcc, v30, v32
	v_addc_co_u32_e32 v41, vcc, v31, v1, vcc
	v_lshlrev_b64 v[40:41], 3, v[40:41]
	v_mov_b32_e32 v42, s39
	v_add_co_u32_e32 v40, vcc, s38, v40
	v_addc_co_u32_e32 v41, vcc, v42, v41, vcc
	global_store_dwordx2 v[40:41], v[38:39], off
	s_and_b64 exec, exec, s[64:65]
	s_cbranch_execz .LBB158_93
; %bb.96:                               ;   in Loop: Header=BB158_94 Depth=2
	v_add_co_u32_e32 v32, vcc, v34, v32
	v_addc_co_u32_e32 v1, vcc, v35, v1, vcc
	v_mul_lo_u32 v1, v1, s42
	v_mul_lo_u32 v40, v32, s43
	v_mad_u64_u32 v[38:39], s[76:77], v32, s42, 0
	v_add3_u32 v39, v39, v40, v1
	v_lshlrev_b64 v[42:43], 4, v[38:39]
	ds_read2_b64 v[38:41], v37 offset1:1
	v_add_co_u32_e32 v42, vcc, v24, v42
	v_addc_co_u32_e32 v43, vcc, v19, v43, vcc
	s_waitcnt lgkmcnt(0)
	global_store_dwordx4 v[42:43], v[38:41], off
	s_branch .LBB158_93
.LBB158_97:
	s_endpgm
	.section	.rodata,"a",@progbits
	.p2align	6, 0x0
	.amdhsa_kernel _ZN9rocsparseL38bsrgemm_block_per_row_atomic_multipassILj256ELj128ELj4Ell21rocsparse_complex_numIdEEEv20rocsparse_direction_T3_S4_PKS4_S6_NS_24const_host_device_scalarIT4_EEPKT2_S6_PKS8_SC_S6_SE_S9_SC_S6_SE_SC_PS4_PS8_PSA_21rocsparse_index_base_SI_SI_SI_bbb
		.amdhsa_group_segment_fixed_size 41480
		.amdhsa_private_segment_fixed_size 0
		.amdhsa_kernarg_size 196
		.amdhsa_user_sgpr_count 8
		.amdhsa_user_sgpr_private_segment_buffer 1
		.amdhsa_user_sgpr_dispatch_ptr 1
		.amdhsa_user_sgpr_queue_ptr 0
		.amdhsa_user_sgpr_kernarg_segment_ptr 1
		.amdhsa_user_sgpr_dispatch_id 0
		.amdhsa_user_sgpr_flat_scratch_init 0
		.amdhsa_user_sgpr_kernarg_preload_length 0
		.amdhsa_user_sgpr_kernarg_preload_offset 0
		.amdhsa_user_sgpr_private_segment_size 0
		.amdhsa_uses_dynamic_stack 0
		.amdhsa_system_sgpr_private_segment_wavefront_offset 0
		.amdhsa_system_sgpr_workgroup_id_x 1
		.amdhsa_system_sgpr_workgroup_id_y 0
		.amdhsa_system_sgpr_workgroup_id_z 0
		.amdhsa_system_sgpr_workgroup_info 0
		.amdhsa_system_vgpr_workitem_id 2
		.amdhsa_next_free_vgpr 84
		.amdhsa_next_free_sgpr 96
		.amdhsa_accum_offset 84
		.amdhsa_reserve_vcc 1
		.amdhsa_reserve_flat_scratch 0
		.amdhsa_float_round_mode_32 0
		.amdhsa_float_round_mode_16_64 0
		.amdhsa_float_denorm_mode_32 3
		.amdhsa_float_denorm_mode_16_64 3
		.amdhsa_dx10_clamp 1
		.amdhsa_ieee_mode 1
		.amdhsa_fp16_overflow 0
		.amdhsa_tg_split 0
		.amdhsa_exception_fp_ieee_invalid_op 0
		.amdhsa_exception_fp_denorm_src 0
		.amdhsa_exception_fp_ieee_div_zero 0
		.amdhsa_exception_fp_ieee_overflow 0
		.amdhsa_exception_fp_ieee_underflow 0
		.amdhsa_exception_fp_ieee_inexact 0
		.amdhsa_exception_int_div_zero 0
	.end_amdhsa_kernel
	.section	.text._ZN9rocsparseL38bsrgemm_block_per_row_atomic_multipassILj256ELj128ELj4Ell21rocsparse_complex_numIdEEEv20rocsparse_direction_T3_S4_PKS4_S6_NS_24const_host_device_scalarIT4_EEPKT2_S6_PKS8_SC_S6_SE_S9_SC_S6_SE_SC_PS4_PS8_PSA_21rocsparse_index_base_SI_SI_SI_bbb,"axG",@progbits,_ZN9rocsparseL38bsrgemm_block_per_row_atomic_multipassILj256ELj128ELj4Ell21rocsparse_complex_numIdEEEv20rocsparse_direction_T3_S4_PKS4_S6_NS_24const_host_device_scalarIT4_EEPKT2_S6_PKS8_SC_S6_SE_S9_SC_S6_SE_SC_PS4_PS8_PSA_21rocsparse_index_base_SI_SI_SI_bbb,comdat
.Lfunc_end158:
	.size	_ZN9rocsparseL38bsrgemm_block_per_row_atomic_multipassILj256ELj128ELj4Ell21rocsparse_complex_numIdEEEv20rocsparse_direction_T3_S4_PKS4_S6_NS_24const_host_device_scalarIT4_EEPKT2_S6_PKS8_SC_S6_SE_S9_SC_S6_SE_SC_PS4_PS8_PSA_21rocsparse_index_base_SI_SI_SI_bbb, .Lfunc_end158-_ZN9rocsparseL38bsrgemm_block_per_row_atomic_multipassILj256ELj128ELj4Ell21rocsparse_complex_numIdEEEv20rocsparse_direction_T3_S4_PKS4_S6_NS_24const_host_device_scalarIT4_EEPKT2_S6_PKS8_SC_S6_SE_S9_SC_S6_SE_SC_PS4_PS8_PSA_21rocsparse_index_base_SI_SI_SI_bbb
                                        ; -- End function
	.section	.AMDGPU.csdata,"",@progbits
; Kernel info:
; codeLenInByte = 4240
; NumSgprs: 100
; NumVgprs: 84
; NumAgprs: 0
; TotalNumVgprs: 84
; ScratchSize: 0
; MemoryBound: 0
; FloatMode: 240
; IeeeMode: 1
; LDSByteSize: 41480 bytes/workgroup (compile time only)
; SGPRBlocks: 12
; VGPRBlocks: 10
; NumSGPRsForWavesPerEU: 100
; NumVGPRsForWavesPerEU: 84
; AccumOffset: 84
; Occupancy: 1
; WaveLimiterHint : 1
; COMPUTE_PGM_RSRC2:SCRATCH_EN: 0
; COMPUTE_PGM_RSRC2:USER_SGPR: 8
; COMPUTE_PGM_RSRC2:TRAP_HANDLER: 0
; COMPUTE_PGM_RSRC2:TGID_X_EN: 1
; COMPUTE_PGM_RSRC2:TGID_Y_EN: 0
; COMPUTE_PGM_RSRC2:TGID_Z_EN: 0
; COMPUTE_PGM_RSRC2:TIDIG_COMP_CNT: 2
; COMPUTE_PGM_RSRC3_GFX90A:ACCUM_OFFSET: 20
; COMPUTE_PGM_RSRC3_GFX90A:TG_SPLIT: 0
	.section	.text._ZN9rocsparseL23bsrgemm_fill_wf_per_rowILj256ELj64ELj8ELj137ELj8Ell21rocsparse_complex_numIdEEEv20rocsparse_direction_T5_S4_S4_PKS4_S6_NS_24const_host_device_scalarIT6_EEPKT4_S6_PKS8_SC_S6_SE_S9_SC_S6_SE_SC_PS4_PS8_21rocsparse_index_base_SH_SH_SH_bbb,"axG",@progbits,_ZN9rocsparseL23bsrgemm_fill_wf_per_rowILj256ELj64ELj8ELj137ELj8Ell21rocsparse_complex_numIdEEEv20rocsparse_direction_T5_S4_S4_PKS4_S6_NS_24const_host_device_scalarIT6_EEPKT4_S6_PKS8_SC_S6_SE_S9_SC_S6_SE_SC_PS4_PS8_21rocsparse_index_base_SH_SH_SH_bbb,comdat
	.globl	_ZN9rocsparseL23bsrgemm_fill_wf_per_rowILj256ELj64ELj8ELj137ELj8Ell21rocsparse_complex_numIdEEEv20rocsparse_direction_T5_S4_S4_PKS4_S6_NS_24const_host_device_scalarIT6_EEPKT4_S6_PKS8_SC_S6_SE_S9_SC_S6_SE_SC_PS4_PS8_21rocsparse_index_base_SH_SH_SH_bbb ; -- Begin function _ZN9rocsparseL23bsrgemm_fill_wf_per_rowILj256ELj64ELj8ELj137ELj8Ell21rocsparse_complex_numIdEEEv20rocsparse_direction_T5_S4_S4_PKS4_S6_NS_24const_host_device_scalarIT6_EEPKT4_S6_PKS8_SC_S6_SE_S9_SC_S6_SE_SC_PS4_PS8_21rocsparse_index_base_SH_SH_SH_bbb
	.p2align	8
	.type	_ZN9rocsparseL23bsrgemm_fill_wf_per_rowILj256ELj64ELj8ELj137ELj8Ell21rocsparse_complex_numIdEEEv20rocsparse_direction_T5_S4_S4_PKS4_S6_NS_24const_host_device_scalarIT6_EEPKT4_S6_PKS8_SC_S6_SE_S9_SC_S6_SE_SC_PS4_PS8_21rocsparse_index_base_SH_SH_SH_bbb,@function
_ZN9rocsparseL23bsrgemm_fill_wf_per_rowILj256ELj64ELj8ELj137ELj8Ell21rocsparse_complex_numIdEEEv20rocsparse_direction_T5_S4_S4_PKS4_S6_NS_24const_host_device_scalarIT6_EEPKT4_S6_PKS8_SC_S6_SE_S9_SC_S6_SE_SC_PS4_PS8_21rocsparse_index_base_SH_SH_SH_bbb: ; @_ZN9rocsparseL23bsrgemm_fill_wf_per_rowILj256ELj64ELj8ELj137ELj8Ell21rocsparse_complex_numIdEEEv20rocsparse_direction_T5_S4_S4_PKS4_S6_NS_24const_host_device_scalarIT6_EEPKT4_S6_PKS8_SC_S6_SE_S9_SC_S6_SE_SC_PS4_PS8_21rocsparse_index_base_SH_SH_SH_bbb
; %bb.0:
	s_load_dword s9, s[6:7], 0xc0
	s_load_dwordx2 s[2:3], s[4:5], 0x4
	s_load_dwordx4 s[16:19], s[6:7], 0x30
	s_load_dwordx4 s[12:15], s[6:7], 0x70
	v_and_b32_e32 v45, 0x3ff, v0
	v_bfe_u32 v2, v0, 10, 10
	s_waitcnt lgkmcnt(0)
	s_bitcmp1_b32 s9, 0
	s_cselect_b64 s[4:5], -1, 0
	s_bitcmp1_b32 s9, 16
	s_cselect_b64 s[0:1], -1, 0
	s_lshr_b32 s2, s2, 16
	s_mul_i32 s2, s2, s3
	v_mul_lo_u32 v1, s2, v45
	v_mad_u32_u24 v1, v2, s3, v1
	v_bfe_u32 v0, v0, 20, 10
	v_add_lshl_u32 v0, v1, v0, 3
	v_pk_mov_b32 v[2:3], s[16:17], s[16:17] op_sel:[0,1]
	v_pk_mov_b32 v[4:5], s[12:13], s[12:13] op_sel:[0,1]
	v_add_u32_e32 v1, 0x100, v0
	s_xor_b64 s[2:3], s[0:1], -1
	ds_write2st64_b64 v1, v[4:5], v[2:3] offset0:64 offset1:68
	v_pk_mov_b32 v[4:5], 0, 0
	v_cndmask_b32_e64 v1, 0, 1, s[2:3]
	s_bitcmp0_b32 s9, 0
	v_cmp_ne_u32_e64 s[2:3], 1, v1
	v_pk_mov_b32 v[14:15], v[4:5], v[4:5] op_sel:[0,1]
	v_pk_mov_b32 v[16:17], v[4:5], v[4:5] op_sel:[0,1]
	s_cbranch_scc1 .LBB159_3
; %bb.1:
	s_mov_b64 s[10:11], src_shared_base
	s_and_b64 s[20:21], s[0:1], exec
	v_add_u32_e32 v1, 0x8900, v0
	s_cselect_b32 s10, s11, s17
	v_mov_b32_e32 v2, s16
	v_cndmask_b32_e64 v2, v2, v1, s[0:1]
	v_mov_b32_e32 v3, s10
	flat_load_dwordx2 v[14:15], v[2:3]
	s_and_b64 vcc, exec, s[2:3]
	v_pk_mov_b32 v[16:17], s[18:19], s[18:19] op_sel:[0,1]
	s_cbranch_vccnz .LBB159_3
; %bb.2:
	v_pk_mov_b32 v[2:3], s[16:17], s[16:17] op_sel:[0,1]
	flat_load_dwordx2 v[16:17], v[2:3] offset:8
.LBB159_3:
	s_load_dwordx4 s[28:31], s[6:7], 0xb0
	s_bitcmp1_b32 s9, 8
	s_cselect_b64 s[10:11], -1, 0
	s_bfe_u32 s9, s9, 0x10008
	s_cmp_eq_u32 s9, 0
	v_pk_mov_b32 v[6:7], v[4:5], v[4:5] op_sel:[0,1]
	s_cbranch_scc1 .LBB159_6
; %bb.4:
	s_mov_b64 s[16:17], src_shared_base
	s_and_b64 s[18:19], s[0:1], exec
	v_add_u32_e32 v0, 0x8100, v0
	s_cselect_b32 s9, s17, s13
	v_mov_b32_e32 v1, s12
	v_cndmask_b32_e64 v0, v1, v0, s[0:1]
	v_mov_b32_e32 v1, s9
	flat_load_dwordx2 v[6:7], v[0:1]
	s_and_b64 vcc, exec, s[2:3]
	v_pk_mov_b32 v[4:5], s[14:15], s[14:15] op_sel:[0,1]
	s_cbranch_vccnz .LBB159_6
; %bb.5:
	v_pk_mov_b32 v[0:1], s[12:13], s[12:13] op_sel:[0,1]
	flat_load_dwordx2 v[4:5], v[0:1] offset:8
.LBB159_6:
	s_load_dwordx4 s[44:47], s[6:7], 0xa0
	s_load_dwordx8 s[20:27], s[6:7], 0x80
	s_load_dwordx4 s[48:51], s[6:7], 0x60
	s_load_dwordx8 s[12:19], s[6:7], 0x8
	s_load_dwordx2 s[0:1], s[6:7], 0x28
	s_load_dwordx8 s[36:43], s[6:7], 0x40
	v_and_b32_e32 v9, 63, v45
	v_and_b32_e32 v0, 0xc0, v45
	v_lshrrev_b32_e32 v46, 6, v45
	v_or_b32_e32 v44, 0x8000, v0
	v_cmp_gt_u32_e32 vcc, 8, v9
	s_and_saveexec_b64 s[2:3], vcc
	s_cbranch_execz .LBB159_8
; %bb.7:
	v_lshl_add_u32 v2, v9, 3, v44
	s_waitcnt lgkmcnt(0)
	v_pk_mov_b32 v[0:1], s[14:15], s[14:15] op_sel:[0,1]
	ds_write_b64 v2, v[0:1]
.LBB159_8:
	s_or_b64 exec, exec, s[2:3]
	v_lshlrev_b32_e32 v47, 13, v46
	v_mov_b32_e32 v0, 0
	v_or_b32_e32 v8, 0xffffffc0, v9
	v_lshl_or_b32 v10, v9, 4, v47
	s_mov_b64 s[2:3], 0
	v_mov_b32_e32 v1, v0
	v_mov_b32_e32 v2, v0
	;; [unrolled: 1-line block ×3, first 2 shown]
	s_movk_i32 s9, 0x1bf
.LBB159_9:                              ; =>This Inner Loop Header: Depth=1
	v_add_u32_e32 v8, 64, v8
	v_cmp_lt_u32_e32 vcc, s9, v8
	ds_write_b128 v10, v[0:3]
	s_or_b64 s[2:3], vcc, s[2:3]
	v_add_u32_e32 v10, 0x400, v10
	s_andn2_b64 exec, exec, s[2:3]
	s_cbranch_execnz .LBB159_9
; %bb.10:
	s_or_b64 exec, exec, s[2:3]
	v_lshl_or_b32 v0, s8, 2, v46
	v_mov_b32_e32 v1, 0
	s_waitcnt lgkmcnt(0)
	v_cmp_gt_i64_e32 vcc, s[12:13], v[0:1]
	s_barrier
	s_and_saveexec_b64 s[2:3], vcc
	s_cbranch_execz .LBB159_64
; %bb.11:
	s_cmp_eq_u64 s[0:1], 0
	s_cbranch_scc1 .LBB159_13
; %bb.12:
	s_load_dwordx2 s[2:3], s[18:19], 0x0
	v_lshlrev_b64 v[0:1], 3, v[0:1]
	s_waitcnt lgkmcnt(0)
	s_lshl_b64 s[2:3], s[2:3], 3
	s_add_u32 s0, s0, s2
	s_addc_u32 s1, s1, s3
	v_mov_b32_e32 v2, s1
	v_add_co_u32_e32 v0, vcc, s0, v0
	v_addc_co_u32_e32 v1, vcc, v2, v1, vcc
	global_load_dwordx2 v[0:1], v[0:1], off
.LBB159_13:
	s_load_dword s63, s[6:7], 0x0
	v_lshlrev_b32_e32 v2, 7, v45
	v_and_b32_e32 v8, 7, v45
	v_lshrrev_b32_e32 v10, 3, v9
	v_and_b32_e32 v48, 0x6000, v2
	s_andn2_b64 vcc, exec, s[4:5]
	s_waitcnt vmcnt(0)
	v_lshlrev_b64 v[12:13], 3, v[0:1]
	s_mul_i32 s33, s16, s17
	s_mul_hi_u32 s62, s16, s16
	s_mul_i32 s4, s16, s16
	s_cbranch_vccnz .LBB159_41
; %bb.14:
	v_mov_b32_e32 v1, s37
	v_add_co_u32_e32 v0, vcc, s36, v12
	v_addc_co_u32_e32 v1, vcc, v1, v13, vcc
	global_load_dwordx4 v[0:3], v[0:1], off
	s_waitcnt vmcnt(0)
	v_cmp_lt_i64_e32 vcc, v[0:1], v[2:3]
	s_and_saveexec_b64 s[2:3], vcc
	s_cbranch_execz .LBB159_40
; %bb.15:
	v_subrev_co_u32_e32 v18, vcc, s28, v2
	v_subbrev_co_u32_e32 v19, vcc, 0, v3, vcc
	v_subrev_co_u32_e32 v20, vcc, s28, v0
	v_mov_b32_e32 v9, 0
	v_subbrev_co_u32_e32 v21, vcc, 0, v1, vcc
	v_mov_b32_e32 v11, v9
	v_cmp_gt_i64_e32 vcc, s[16:17], v[8:9]
	v_cmp_gt_u64_e64 s[0:1], s[16:17], v[10:11]
	s_waitcnt lgkmcnt(0)
	s_cmp_lg_u32 s63, 0
	s_cselect_b64 s[34:35], -1, 0
	v_and_b32_e32 v0, 56, v45
	s_and_b64 s[6:7], vcc, s[0:1]
	s_add_i32 s0, s62, s33
	v_lshlrev_b32_e32 v22, 4, v8
	v_lshlrev_b32_e32 v0, 4, v0
	s_add_i32 s5, s0, s33
	v_add3_u32 v11, v48, v22, v0
	v_mul_lo_u32 v2, s5, v20
	v_mul_lo_u32 v3, s4, v21
	v_mad_u64_u32 v[0:1], s[0:1], s4, v20, 0
	v_add3_u32 v1, v1, v3, v2
	v_lshlrev_b64 v[0:1], 4, v[0:1]
	v_lshlrev_b32_e32 v2, 4, v10
	v_add_co_u32_e32 v0, vcc, v0, v2
	v_addc_co_u32_e32 v1, vcc, 0, v1, vcc
	v_mov_b32_e32 v3, s41
	v_add_co_u32_e32 v0, vcc, s40, v0
	v_addc_co_u32_e32 v1, vcc, v1, v3, vcc
	s_lshl_b64 s[8:9], s[4:5], 4
	s_lshl_b64 s[12:13], s[16:17], 4
	v_add_co_u32_e32 v24, vcc, 8, v0
	s_add_u32 s18, s50, 8
	v_addc_co_u32_e32 v25, vcc, 0, v1, vcc
	s_addc_u32 s19, s51, 0
	v_mov_b32_e32 v0, s19
	v_add_co_u32_e32 v26, vcc, s18, v22
	v_mov_b32_e32 v23, v9
	v_addc_co_u32_e32 v27, vcc, 0, v0, vcc
	v_mul_lo_u32 v3, s17, v20
	v_mul_lo_u32 v9, s16, v21
	v_mad_u64_u32 v[0:1], s[0:1], s16, v20, 0
	v_add3_u32 v1, v1, v9, v3
	v_lshlrev_b64 v[0:1], 4, v[0:1]
	v_add_co_u32_e32 v2, vcc, v0, v2
	v_addc_co_u32_e32 v0, vcc, 0, v1, vcc
	v_mul_lo_u32 v3, s16, v0
	v_pk_mov_b32 v[0:1], s[40:41], s[40:41] op_sel:[0,1]
	v_mul_lo_u32 v9, s17, v2
	v_mad_u64_u32 v[0:1], s[0:1], s16, v2, v[0:1]
	s_mov_b32 s36, 0
	v_add3_u32 v1, v9, v1, v3
	v_add_co_u32_e32 v28, vcc, 8, v0
	v_cndmask_b32_e64 v0, 0, 1, s[34:35]
	s_mov_b32 s64, s28
	s_mov_b32 s65, s29
	;; [unrolled: 1-line block ×3, first 2 shown]
	v_addc_co_u32_e32 v29, vcc, 0, v1, vcc
	s_mov_b64 s[28:29], 0
	v_mov_b32_e32 v9, s39
	v_mov_b32_e32 v49, s36
	;; [unrolled: 1-line block ×3, first 2 shown]
	v_cmp_ne_u32_e64 s[0:1], 1, v0
	v_mov_b32_e32 v51, s13
	v_mov_b32_e32 v52, s9
	s_branch .LBB159_17
.LBB159_16:                             ;   in Loop: Header=BB159_17 Depth=1
	s_or_b64 exec, exec, s[34:35]
	v_add_co_u32_e32 v20, vcc, 1, v20
	v_addc_co_u32_e32 v21, vcc, 0, v21, vcc
	v_add_co_u32_e32 v24, vcc, s8, v24
	v_addc_co_u32_e32 v25, vcc, v25, v52, vcc
	v_cmp_ge_i64_e32 vcc, v[20:21], v[18:19]
	s_or_b64 s[28:29], vcc, s[28:29]
	v_add_co_u32_e32 v28, vcc, s8, v28
	v_addc_co_u32_e32 v29, vcc, v29, v52, vcc
	s_andn2_b64 exec, exec, s[28:29]
	s_cbranch_execz .LBB159_40
.LBB159_17:                             ; =>This Loop Header: Depth=1
                                        ;     Child Loop BB159_20 Depth 2
                                        ;       Child Loop BB159_27 Depth 3
                                        ;       Child Loop BB159_23 Depth 3
	;; [unrolled: 1-line block ×3, first 2 shown]
	v_lshlrev_b64 v[0:1], 3, v[20:21]
	v_add_co_u32_e32 v0, vcc, s38, v0
	v_addc_co_u32_e32 v1, vcc, v9, v1, vcc
	global_load_dwordx2 v[0:1], v[0:1], off
	s_waitcnt vmcnt(0)
	v_subrev_co_u32_e32 v0, vcc, s64, v0
	v_subb_co_u32_e32 v1, vcc, v1, v49, vcc
	v_lshlrev_b64 v[0:1], 3, v[0:1]
	v_add_co_u32_e32 v0, vcc, s42, v0
	v_addc_co_u32_e32 v1, vcc, v50, v1, vcc
	global_load_dwordx4 v[0:3], v[0:1], off
	s_waitcnt vmcnt(0)
	v_cmp_lt_i64_e32 vcc, v[0:1], v[2:3]
	s_and_saveexec_b64 s[34:35], vcc
	s_cbranch_execz .LBB159_16
; %bb.18:                               ;   in Loop: Header=BB159_17 Depth=1
	v_mov_b32_e32 v30, s66
	v_subrev_co_u32_e32 v2, vcc, s65, v2
	v_subb_co_u32_e32 v3, vcc, v3, v30, vcc
	v_subrev_co_u32_e32 v0, vcc, s65, v0
	v_subb_co_u32_e32 v1, vcc, v1, v30, vcc
	v_mul_lo_u32 v32, s12, v1
	v_mul_lo_u32 v33, s13, v0
	v_mad_u64_u32 v[30:31], s[36:37], s12, v0, v[22:23]
	v_add3_u32 v31, v33, v31, v32
	v_pk_mov_b32 v[32:33], s[18:19], s[18:19] op_sel:[0,1]
	v_mul_lo_u32 v34, s16, v31
	v_mul_lo_u32 v35, s17, v30
	v_mad_u64_u32 v[30:31], s[36:37], s16, v30, v[32:33]
	v_add3_u32 v31, v35, v31, v34
	v_mul_lo_u32 v34, s8, v1
	v_mul_lo_u32 v35, s9, v0
	v_mad_u64_u32 v[32:33], s[36:37], s8, v0, v[26:27]
	v_add3_u32 v33, v35, v33, v34
	s_mov_b64 s[36:37], 0
	s_branch .LBB159_20
.LBB159_19:                             ;   in Loop: Header=BB159_20 Depth=2
	s_or_b64 exec, exec, s[40:41]
	v_add_co_u32_e32 v0, vcc, 1, v0
	v_addc_co_u32_e32 v1, vcc, 0, v1, vcc
	v_mov_b32_e32 v34, s9
	v_add_co_u32_e32 v30, vcc, s8, v30
	v_addc_co_u32_e32 v31, vcc, v31, v34, vcc
	v_cmp_ge_i64_e32 vcc, v[0:1], v[2:3]
	s_or_b64 s[36:37], vcc, s[36:37]
	v_add_co_u32_e32 v32, vcc, s8, v32
	v_addc_co_u32_e32 v33, vcc, v33, v34, vcc
	s_andn2_b64 exec, exec, s[36:37]
	s_cbranch_execz .LBB159_16
.LBB159_20:                             ;   Parent Loop BB159_17 Depth=1
                                        ; =>  This Loop Header: Depth=2
                                        ;       Child Loop BB159_27 Depth 3
                                        ;       Child Loop BB159_23 Depth 3
	;; [unrolled: 1-line block ×3, first 2 shown]
	s_and_saveexec_b64 s[40:41], s[6:7]
	s_cbranch_execz .LBB159_19
; %bb.21:                               ;   in Loop: Header=BB159_20 Depth=2
	v_lshlrev_b64 v[34:35], 3, v[0:1]
	v_mov_b32_e32 v36, s49
	v_add_co_u32_e32 v34, vcc, s48, v34
	v_addc_co_u32_e32 v35, vcc, v36, v35, vcc
	global_load_dwordx2 v[36:37], v[34:35], off
	s_and_b64 vcc, exec, s[0:1]
	s_cbranch_vccnz .LBB159_25
; %bb.22:                               ;   in Loop: Header=BB159_20 Depth=2
	v_pk_mov_b32 v[34:35], 0, 0
	s_mov_b64 s[50:51], s[16:17]
	v_pk_mov_b32 v[40:41], v[30:31], v[30:31] op_sel:[0,1]
	v_pk_mov_b32 v[42:43], v[24:25], v[24:25] op_sel:[0,1]
	v_pk_mov_b32 v[38:39], v[34:35], v[34:35] op_sel:[0,1]
.LBB159_23:                             ;   Parent Loop BB159_17 Depth=1
                                        ;     Parent Loop BB159_20 Depth=2
                                        ; =>    This Inner Loop Header: Depth=3
	global_load_dwordx4 v[54:57], v[42:43], off offset:-8
	global_load_dwordx4 v[58:61], v[40:41], off offset:-8
	v_add_co_u32_e32 v42, vcc, s12, v42
	v_addc_co_u32_e32 v43, vcc, v43, v51, vcc
	s_add_u32 s50, s50, -1
	v_add_co_u32_e32 v40, vcc, 16, v40
	s_addc_u32 s51, s51, -1
	v_addc_co_u32_e32 v41, vcc, 0, v41, vcc
	s_cmp_lg_u64 s[50:51], 0
	s_waitcnt vmcnt(0)
	v_fmac_f64_e32 v[34:35], v[54:55], v[58:59]
	v_fmac_f64_e32 v[38:39], v[56:57], v[58:59]
	v_fma_f64 v[34:35], -v[56:57], v[60:61], v[34:35]
	v_fmac_f64_e32 v[38:39], v[54:55], v[60:61]
	s_cbranch_scc1 .LBB159_23
; %bb.24:                               ;   in Loop: Header=BB159_20 Depth=2
	s_branch .LBB159_28
.LBB159_25:                             ;   in Loop: Header=BB159_20 Depth=2
                                        ; implicit-def: $vgpr34_vgpr35
                                        ; implicit-def: $vgpr38_vgpr39
	s_cbranch_execz .LBB159_28
; %bb.26:                               ;   in Loop: Header=BB159_20 Depth=2
	v_pk_mov_b32 v[34:35], 0, 0
	s_mov_b64 s[50:51], s[16:17]
	v_pk_mov_b32 v[40:41], v[28:29], v[28:29] op_sel:[0,1]
	v_pk_mov_b32 v[42:43], v[32:33], v[32:33] op_sel:[0,1]
	;; [unrolled: 1-line block ×3, first 2 shown]
.LBB159_27:                             ;   Parent Loop BB159_17 Depth=1
                                        ;     Parent Loop BB159_20 Depth=2
                                        ; =>    This Inner Loop Header: Depth=3
	global_load_dwordx4 v[54:57], v[40:41], off offset:-8
	global_load_dwordx4 v[58:61], v[42:43], off offset:-8
	v_add_co_u32_e32 v42, vcc, s12, v42
	v_addc_co_u32_e32 v43, vcc, v43, v51, vcc
	s_add_u32 s50, s50, -1
	v_add_co_u32_e32 v40, vcc, 16, v40
	s_addc_u32 s51, s51, -1
	v_addc_co_u32_e32 v41, vcc, 0, v41, vcc
	s_cmp_eq_u64 s[50:51], 0
	s_waitcnt vmcnt(0)
	v_fmac_f64_e32 v[34:35], v[54:55], v[58:59]
	v_fmac_f64_e32 v[38:39], v[56:57], v[58:59]
	v_fma_f64 v[34:35], -v[56:57], v[60:61], v[34:35]
	v_fmac_f64_e32 v[38:39], v[54:55], v[60:61]
	s_cbranch_scc0 .LBB159_27
.LBB159_28:                             ;   in Loop: Header=BB159_20 Depth=2
	v_mov_b32_e32 v40, s66
	s_waitcnt vmcnt(0)
	v_subrev_co_u32_e32 v36, vcc, s65, v36
	v_subb_co_u32_e32 v37, vcc, v37, v40, vcc
	v_mul_f64 v[40:41], v[38:39], -v[16:17]
	v_mul_f64 v[38:39], v[14:15], v[38:39]
	v_fmac_f64_e32 v[40:41], v[14:15], v[34:35]
	v_fmac_f64_e32 v[38:39], v[16:17], v[34:35]
	v_and_b32_e32 v34, 7, v36
	s_mov_b64 s[50:51], 0
	s_branch .LBB159_30
.LBB159_29:                             ;   in Loop: Header=BB159_30 Depth=3
	s_or_b64 exec, exec, s[52:53]
	s_xor_b64 s[52:53], s[54:55], -1
	s_and_b64 s[52:53], exec, s[52:53]
	s_or_b64 s[50:51], s[52:53], s[50:51]
	s_andn2_b64 exec, exec, s[50:51]
	s_cbranch_execz .LBB159_19
.LBB159_30:                             ;   Parent Loop BB159_17 Depth=1
                                        ;     Parent Loop BB159_20 Depth=2
                                        ; =>    This Inner Loop Header: Depth=3
	v_lshl_add_u32 v35, v34, 3, v44
	ds_read_b64 v[42:43], v35
                                        ; implicit-def: $sgpr54_sgpr55
	s_waitcnt lgkmcnt(0)
	v_cmp_ne_u64_e32 vcc, v[42:43], v[36:37]
	s_and_saveexec_b64 s[52:53], vcc
	s_xor_b64 s[52:53], exec, s[52:53]
	s_cbranch_execz .LBB159_38
; %bb.31:                               ;   in Loop: Header=BB159_30 Depth=3
	v_cmp_ne_u64_e32 vcc, s[14:15], v[42:43]
                                        ; implicit-def: $sgpr54_sgpr55
	s_and_saveexec_b64 s[56:57], vcc
	s_xor_b64 s[56:57], exec, s[56:57]
; %bb.32:                               ;   in Loop: Header=BB159_30 Depth=3
	v_add_u32_e32 v34, 1, v34
	v_and_b32_e32 v34, 7, v34
	s_mov_b64 s[54:55], -1
                                        ; implicit-def: $vgpr35
; %bb.33:                               ;   in Loop: Header=BB159_30 Depth=3
	s_andn2_saveexec_b64 s[56:57], s[56:57]
	s_cbranch_execz .LBB159_37
; %bb.34:                               ;   in Loop: Header=BB159_30 Depth=3
	v_pk_mov_b32 v[42:43], s[14:15], s[14:15] op_sel:[0,1]
	ds_cmpst_rtn_b64 v[42:43], v35, v[42:43], v[36:37]
	s_mov_b64 s[58:59], -1
	s_waitcnt lgkmcnt(0)
	v_cmp_eq_u64_e32 vcc, s[14:15], v[42:43]
	s_and_saveexec_b64 s[60:61], vcc
	s_cbranch_execz .LBB159_36
; %bb.35:                               ;   in Loop: Header=BB159_30 Depth=3
	v_lshl_add_u32 v35, v34, 10, v11
	ds_add_f64 v35, v[40:41]
	ds_add_f64 v35, v[38:39] offset:8
	s_xor_b64 s[58:59], exec, -1
.LBB159_36:                             ;   in Loop: Header=BB159_30 Depth=3
	s_or_b64 exec, exec, s[60:61]
	s_andn2_b64 s[54:55], s[54:55], exec
	s_and_b64 s[58:59], s[58:59], exec
	s_or_b64 s[54:55], s[54:55], s[58:59]
.LBB159_37:                             ;   in Loop: Header=BB159_30 Depth=3
	s_or_b64 exec, exec, s[56:57]
	s_and_b64 s[54:55], s[54:55], exec
.LBB159_38:                             ;   in Loop: Header=BB159_30 Depth=3
	s_andn2_saveexec_b64 s[52:53], s[52:53]
	s_cbranch_execz .LBB159_29
; %bb.39:                               ;   in Loop: Header=BB159_30 Depth=3
	v_lshl_add_u32 v35, v34, 10, v11
	ds_add_f64 v35, v[40:41]
	ds_add_f64 v35, v[38:39] offset:8
	s_andn2_b64 s[54:55], s[54:55], exec
	s_branch .LBB159_29
.LBB159_40:
	s_or_b64 exec, exec, s[2:3]
.LBB159_41:
	s_andn2_b64 vcc, exec, s[10:11]
	s_waitcnt lgkmcnt(0)
	s_barrier
	s_cbranch_vccnz .LBB159_59
; %bb.42:
	v_mov_b32_e32 v1, s21
	v_add_co_u32_e32 v0, vcc, s20, v12
	v_addc_co_u32_e32 v1, vcc, v1, v13, vcc
	global_load_dwordx4 v[0:3], v[0:1], off
	s_waitcnt vmcnt(0)
	v_cmp_lt_i64_e32 vcc, v[0:1], v[2:3]
	s_and_saveexec_b64 s[6:7], vcc
	s_cbranch_execz .LBB159_58
; %bb.43:
	v_mad_u64_u32 v[14:15], s[2:3], v8, s16, 0
	v_subrev_co_u32_e32 v2, vcc, s31, v2
	v_mov_b32_e32 v16, v15
	v_subbrev_co_u32_e32 v3, vcc, 0, v3, vcc
	v_mad_u64_u32 v[16:17], s[2:3], v8, s17, v[16:17]
	v_subrev_co_u32_e32 v0, vcc, s31, v0
	v_mov_b32_e32 v15, v16
	v_subbrev_co_u32_e32 v1, vcc, 0, v1, vcc
	v_mov_b32_e32 v9, 0
	v_lshlrev_b64 v[14:15], 4, v[14:15]
	v_cmp_gt_i64_e32 vcc, s[16:17], v[8:9]
	v_mov_b32_e32 v11, v9
	v_mov_b32_e32 v9, s25
	v_add_co_u32_e64 v16, s[2:3], s24, v14
	v_addc_co_u32_e64 v17, s[2:3], v9, v15, s[2:3]
	v_lshlrev_b64 v[14:15], 4, v[10:11]
	v_add_co_u32_e64 v19, s[2:3], v16, v14
	v_addc_co_u32_e64 v20, s[2:3], v17, v15, s[2:3]
	v_mad_u64_u32 v[14:15], s[2:3], v10, s16, 0
	v_mov_b32_e32 v16, v15
	v_mad_u64_u32 v[16:17], s[2:3], v10, s17, v[16:17]
	v_mov_b32_e32 v15, v16
	v_lshlrev_b64 v[14:15], 4, v[14:15]
	v_cmp_gt_u64_e64 s[0:1], s[16:17], v[10:11]
	v_add_co_u32_e64 v11, s[2:3], s24, v14
	v_lshlrev_b32_e32 v18, 4, v8
	v_addc_co_u32_e64 v9, s[2:3], v9, v15, s[2:3]
	v_add_co_u32_e64 v14, s[2:3], v11, v18
	s_cmp_eq_u32 s63, 0
	v_addc_co_u32_e64 v9, s[2:3], 0, v9, s[2:3]
	v_and_b32_e32 v11, 56, v45
	s_cselect_b64 s[2:3], -1, 0
	s_add_i32 s8, s62, s33
	v_lshlrev_b32_e32 v11, 4, v11
	s_mov_b32 s5, 0
	s_mov_b32 s34, s31
	s_add_i32 s31, s8, s33
	v_add3_u32 v11, v48, v18, v11
	s_and_b64 s[0:1], vcc, s[0:1]
	v_cndmask_b32_e64 v9, v20, v9, s[2:3]
	v_cndmask_b32_e64 v14, v19, v14, s[2:3]
	s_mov_b64 s[2:3], 0
	s_branch .LBB159_45
.LBB159_44:                             ;   in Loop: Header=BB159_45 Depth=1
	s_or_b64 exec, exec, s[8:9]
	v_add_co_u32_e32 v0, vcc, 1, v0
	v_addc_co_u32_e32 v1, vcc, 0, v1, vcc
	v_cmp_ge_i64_e32 vcc, v[0:1], v[2:3]
	s_or_b64 s[2:3], vcc, s[2:3]
	s_andn2_b64 exec, exec, s[2:3]
	s_cbranch_execz .LBB159_58
.LBB159_45:                             ; =>This Loop Header: Depth=1
                                        ;     Child Loop BB159_48 Depth 2
	s_and_saveexec_b64 s[8:9], s[0:1]
	s_cbranch_execz .LBB159_44
; %bb.46:                               ;   in Loop: Header=BB159_45 Depth=1
	v_lshlrev_b64 v[16:17], 3, v[0:1]
	v_mov_b32_e32 v15, s23
	v_add_co_u32_e32 v16, vcc, s22, v16
	v_addc_co_u32_e32 v17, vcc, v15, v17, vcc
	v_mul_lo_u32 v15, s31, v0
	v_mul_lo_u32 v20, s4, v1
	v_mad_u64_u32 v[18:19], s[10:11], s4, v0, 0
	v_add3_u32 v19, v19, v20, v15
	v_lshlrev_b64 v[18:19], 4, v[18:19]
	v_add_co_u32_e32 v18, vcc, v14, v18
	v_addc_co_u32_e32 v19, vcc, v9, v19, vcc
	global_load_dwordx2 v[16:17], v[16:17], off
	v_mov_b32_e32 v15, s5
	global_load_dwordx4 v[24:27], v[18:19], off
	s_mov_b64 s[10:11], 0
	s_waitcnt vmcnt(1)
	v_subrev_co_u32_e32 v16, vcc, s34, v16
	s_waitcnt vmcnt(0)
	v_mul_f64 v[18:19], v[26:27], -v[4:5]
	v_mul_f64 v[22:23], v[6:7], v[26:27]
	v_subb_co_u32_e32 v17, vcc, v17, v15, vcc
	v_and_b32_e32 v20, 7, v16
	v_fmac_f64_e32 v[18:19], v[6:7], v[24:25]
	v_fmac_f64_e32 v[22:23], v[4:5], v[24:25]
	s_branch .LBB159_48
.LBB159_47:                             ;   in Loop: Header=BB159_48 Depth=2
	s_or_b64 exec, exec, s[12:13]
	s_xor_b64 s[12:13], s[18:19], -1
	s_and_b64 s[12:13], exec, s[12:13]
	s_or_b64 s[10:11], s[12:13], s[10:11]
	s_andn2_b64 exec, exec, s[10:11]
	s_cbranch_execz .LBB159_44
.LBB159_48:                             ;   Parent Loop BB159_45 Depth=1
                                        ; =>  This Inner Loop Header: Depth=2
	v_lshl_add_u32 v15, v20, 3, v44
	ds_read_b64 v[24:25], v15
                                        ; implicit-def: $sgpr18_sgpr19
	s_waitcnt lgkmcnt(0)
	v_cmp_ne_u64_e32 vcc, v[24:25], v[16:17]
	s_and_saveexec_b64 s[12:13], vcc
	s_xor_b64 s[12:13], exec, s[12:13]
	s_cbranch_execz .LBB159_56
; %bb.49:                               ;   in Loop: Header=BB159_48 Depth=2
	v_cmp_ne_u64_e32 vcc, s[14:15], v[24:25]
                                        ; implicit-def: $sgpr18_sgpr19
	s_and_saveexec_b64 s[20:21], vcc
	s_xor_b64 s[20:21], exec, s[20:21]
; %bb.50:                               ;   in Loop: Header=BB159_48 Depth=2
	v_add_u32_e32 v15, 1, v20
	v_and_b32_e32 v20, 7, v15
	s_mov_b64 s[18:19], -1
                                        ; implicit-def: $vgpr15
; %bb.51:                               ;   in Loop: Header=BB159_48 Depth=2
	s_andn2_saveexec_b64 s[20:21], s[20:21]
	s_cbranch_execz .LBB159_55
; %bb.52:                               ;   in Loop: Header=BB159_48 Depth=2
	v_pk_mov_b32 v[24:25], s[14:15], s[14:15] op_sel:[0,1]
	ds_cmpst_rtn_b64 v[24:25], v15, v[24:25], v[16:17]
	s_mov_b64 s[24:25], -1
	s_waitcnt lgkmcnt(0)
	v_cmp_eq_u64_e32 vcc, s[14:15], v[24:25]
	s_and_saveexec_b64 s[28:29], vcc
	s_cbranch_execz .LBB159_54
; %bb.53:                               ;   in Loop: Header=BB159_48 Depth=2
	v_lshl_add_u32 v15, v20, 10, v11
	ds_add_f64 v15, v[18:19]
	ds_add_f64 v15, v[22:23] offset:8
	s_xor_b64 s[24:25], exec, -1
.LBB159_54:                             ;   in Loop: Header=BB159_48 Depth=2
	s_or_b64 exec, exec, s[28:29]
	s_andn2_b64 s[18:19], s[18:19], exec
	s_and_b64 s[24:25], s[24:25], exec
	s_or_b64 s[18:19], s[18:19], s[24:25]
.LBB159_55:                             ;   in Loop: Header=BB159_48 Depth=2
	s_or_b64 exec, exec, s[20:21]
	s_and_b64 s[18:19], s[18:19], exec
.LBB159_56:                             ;   in Loop: Header=BB159_48 Depth=2
	s_andn2_saveexec_b64 s[12:13], s[12:13]
	s_cbranch_execz .LBB159_47
; %bb.57:                               ;   in Loop: Header=BB159_48 Depth=2
	v_lshl_add_u32 v15, v20, 10, v11
	ds_add_f64 v15, v[18:19]
	ds_add_f64 v15, v[22:23] offset:8
	s_andn2_b64 s[18:19], s[18:19], exec
	s_branch .LBB159_47
.LBB159_58:
	s_or_b64 exec, exec, s[6:7]
.LBB159_59:
	v_mov_b32_e32 v1, s27
	v_add_co_u32_e32 v0, vcc, s26, v12
	v_addc_co_u32_e32 v1, vcc, v1, v13, vcc
	s_waitcnt lgkmcnt(0)
	s_barrier
	global_load_dwordx2 v[0:1], v[0:1], off
	s_cmp_eq_u32 s63, 0
	v_mad_u64_u32 v[2:3], s[0:1], v10, s16, 0
	v_lshlrev_b32_e32 v4, 3, v8
	v_and_b32_e32 v5, 56, v45
	v_mov_b32_e32 v7, 0x8000
	s_cselect_b64 s[0:1], -1, 0
	v_mov_b32_e32 v6, v3
	v_mov_b32_e32 v9, 0
	v_cndmask_b32_e64 v5, v4, v5, s[0:1]
	v_lshl_or_b32 v4, v46, 6, v7
	v_mad_u64_u32 v[6:7], s[8:9], v10, s17, v[6:7]
	v_mov_b32_e32 v11, v9
	v_mov_b32_e32 v3, v6
	v_cmp_gt_i64_e32 vcc, s[16:17], v[8:9]
	v_cmp_gt_u64_e64 s[2:3], s[16:17], v[10:11]
	v_lshlrev_b64 v[2:3], 4, v[2:3]
	v_mov_b32_e32 v12, s47
	v_cndmask_b32_e64 v7, v10, v8, s[0:1]
	s_and_b64 s[0:1], vcc, s[2:3]
	v_add_co_u32_e32 v2, vcc, s46, v2
	v_lshlrev_b32_e32 v13, 4, v8
	v_addc_co_u32_e32 v3, vcc, v12, v3, vcc
	v_add_co_u32_e32 v6, vcc, v2, v13
	v_or_b32_e32 v5, v7, v5
	v_addc_co_u32_e32 v7, vcc, 0, v3, vcc
	s_mov_b32 s5, 0
	s_add_i32 s6, s62, s33
	s_add_i32 s6, s6, s33
	v_lshl_add_u32 v5, v5, 4, v47
	s_mov_b32 s7, s5
	s_waitcnt vmcnt(0)
	v_subrev_co_u32_e32 v8, vcc, s30, v0
	v_subbrev_co_u32_e32 v9, vcc, 0, v1, vcc
	s_branch .LBB159_61
.LBB159_60:                             ;   in Loop: Header=BB159_61 Depth=1
	s_or_b64 exec, exec, s[2:3]
	s_add_i32 s7, s7, 8
	s_cmp_lg_u32 s7, 64
	v_add_u32_e32 v5, 0x400, v5
	s_cbranch_scc0 .LBB159_64
.LBB159_61:                             ; =>This Inner Loop Header: Depth=1
	v_add_u32_e32 v0, s7, v4
	ds_read_b64 v[0:1], v0
	s_waitcnt lgkmcnt(0)
	v_cmp_gt_i64_e32 vcc, s[14:15], v[0:1]
	s_and_saveexec_b64 s[2:3], vcc
	s_cbranch_execz .LBB159_60
; %bb.62:                               ;   in Loop: Header=BB159_61 Depth=1
	ds_read_b128 v[10:13], v44
	ds_read_b128 v[14:17], v44 offset:16
	ds_read_b128 v[18:21], v44 offset:32
	;; [unrolled: 1-line block ×3, first 2 shown]
	s_waitcnt lgkmcnt(3)
	v_cmp_gt_i64_e32 vcc, v[0:1], v[10:11]
	v_cndmask_b32_e64 v2, 0, 1, vcc
	v_add_co_u32_e32 v2, vcc, v8, v2
	v_addc_co_u32_e32 v3, vcc, 0, v9, vcc
	v_cmp_gt_i64_e32 vcc, v[0:1], v[12:13]
	v_cndmask_b32_e64 v10, 0, 1, vcc
	v_add_co_u32_e32 v2, vcc, v2, v10
	v_addc_co_u32_e32 v3, vcc, 0, v3, vcc
	s_waitcnt lgkmcnt(2)
	v_cmp_gt_i64_e32 vcc, v[0:1], v[14:15]
	v_cndmask_b32_e64 v10, 0, 1, vcc
	v_add_co_u32_e32 v2, vcc, v2, v10
	v_addc_co_u32_e32 v3, vcc, 0, v3, vcc
	v_cmp_gt_i64_e32 vcc, v[0:1], v[16:17]
	v_cndmask_b32_e64 v10, 0, 1, vcc
	v_add_co_u32_e32 v2, vcc, v2, v10
	v_addc_co_u32_e32 v3, vcc, 0, v3, vcc
	;; [unrolled: 9-line block ×4, first 2 shown]
	v_mov_b32_e32 v10, s5
	v_add_co_u32_e32 v0, vcc, s30, v0
	v_addc_co_u32_e32 v1, vcc, v1, v10, vcc
	v_lshlrev_b64 v[10:11], 3, v[2:3]
	v_mov_b32_e32 v12, s45
	v_add_co_u32_e32 v10, vcc, s44, v10
	v_addc_co_u32_e32 v11, vcc, v12, v11, vcc
	global_store_dwordx2 v[10:11], v[0:1], off
	s_and_b64 exec, exec, s[0:1]
	s_cbranch_execz .LBB159_60
; %bb.63:                               ;   in Loop: Header=BB159_61 Depth=1
	v_mul_lo_u32 v10, s6, v2
	v_mul_lo_u32 v3, s4, v3
	v_mad_u64_u32 v[0:1], s[8:9], s4, v2, 0
	v_add3_u32 v1, v1, v3, v10
	v_lshlrev_b64 v[10:11], 4, v[0:1]
	ds_read2_b64 v[0:3], v5 offset1:1
	v_add_co_u32_e32 v10, vcc, v6, v10
	v_addc_co_u32_e32 v11, vcc, v7, v11, vcc
	s_waitcnt lgkmcnt(0)
	global_store_dwordx4 v[10:11], v[0:3], off
	s_branch .LBB159_60
.LBB159_64:
	s_endpgm
	.section	.rodata,"a",@progbits
	.p2align	6, 0x0
	.amdhsa_kernel _ZN9rocsparseL23bsrgemm_fill_wf_per_rowILj256ELj64ELj8ELj137ELj8Ell21rocsparse_complex_numIdEEEv20rocsparse_direction_T5_S4_S4_PKS4_S6_NS_24const_host_device_scalarIT6_EEPKT4_S6_PKS8_SC_S6_SE_S9_SC_S6_SE_SC_PS4_PS8_21rocsparse_index_base_SH_SH_SH_bbb
		.amdhsa_group_segment_fixed_size 37120
		.amdhsa_private_segment_fixed_size 0
		.amdhsa_kernarg_size 196
		.amdhsa_user_sgpr_count 8
		.amdhsa_user_sgpr_private_segment_buffer 1
		.amdhsa_user_sgpr_dispatch_ptr 1
		.amdhsa_user_sgpr_queue_ptr 0
		.amdhsa_user_sgpr_kernarg_segment_ptr 1
		.amdhsa_user_sgpr_dispatch_id 0
		.amdhsa_user_sgpr_flat_scratch_init 0
		.amdhsa_user_sgpr_kernarg_preload_length 0
		.amdhsa_user_sgpr_kernarg_preload_offset 0
		.amdhsa_user_sgpr_private_segment_size 0
		.amdhsa_uses_dynamic_stack 0
		.amdhsa_system_sgpr_private_segment_wavefront_offset 0
		.amdhsa_system_sgpr_workgroup_id_x 1
		.amdhsa_system_sgpr_workgroup_id_y 0
		.amdhsa_system_sgpr_workgroup_id_z 0
		.amdhsa_system_sgpr_workgroup_info 0
		.amdhsa_system_vgpr_workitem_id 2
		.amdhsa_next_free_vgpr 62
		.amdhsa_next_free_sgpr 67
		.amdhsa_accum_offset 64
		.amdhsa_reserve_vcc 1
		.amdhsa_reserve_flat_scratch 0
		.amdhsa_float_round_mode_32 0
		.amdhsa_float_round_mode_16_64 0
		.amdhsa_float_denorm_mode_32 3
		.amdhsa_float_denorm_mode_16_64 3
		.amdhsa_dx10_clamp 1
		.amdhsa_ieee_mode 1
		.amdhsa_fp16_overflow 0
		.amdhsa_tg_split 0
		.amdhsa_exception_fp_ieee_invalid_op 0
		.amdhsa_exception_fp_denorm_src 0
		.amdhsa_exception_fp_ieee_div_zero 0
		.amdhsa_exception_fp_ieee_overflow 0
		.amdhsa_exception_fp_ieee_underflow 0
		.amdhsa_exception_fp_ieee_inexact 0
		.amdhsa_exception_int_div_zero 0
	.end_amdhsa_kernel
	.section	.text._ZN9rocsparseL23bsrgemm_fill_wf_per_rowILj256ELj64ELj8ELj137ELj8Ell21rocsparse_complex_numIdEEEv20rocsparse_direction_T5_S4_S4_PKS4_S6_NS_24const_host_device_scalarIT6_EEPKT4_S6_PKS8_SC_S6_SE_S9_SC_S6_SE_SC_PS4_PS8_21rocsparse_index_base_SH_SH_SH_bbb,"axG",@progbits,_ZN9rocsparseL23bsrgemm_fill_wf_per_rowILj256ELj64ELj8ELj137ELj8Ell21rocsparse_complex_numIdEEEv20rocsparse_direction_T5_S4_S4_PKS4_S6_NS_24const_host_device_scalarIT6_EEPKT4_S6_PKS8_SC_S6_SE_S9_SC_S6_SE_SC_PS4_PS8_21rocsparse_index_base_SH_SH_SH_bbb,comdat
.Lfunc_end159:
	.size	_ZN9rocsparseL23bsrgemm_fill_wf_per_rowILj256ELj64ELj8ELj137ELj8Ell21rocsparse_complex_numIdEEEv20rocsparse_direction_T5_S4_S4_PKS4_S6_NS_24const_host_device_scalarIT6_EEPKT4_S6_PKS8_SC_S6_SE_S9_SC_S6_SE_SC_PS4_PS8_21rocsparse_index_base_SH_SH_SH_bbb, .Lfunc_end159-_ZN9rocsparseL23bsrgemm_fill_wf_per_rowILj256ELj64ELj8ELj137ELj8Ell21rocsparse_complex_numIdEEEv20rocsparse_direction_T5_S4_S4_PKS4_S6_NS_24const_host_device_scalarIT6_EEPKT4_S6_PKS8_SC_S6_SE_S9_SC_S6_SE_SC_PS4_PS8_21rocsparse_index_base_SH_SH_SH_bbb
                                        ; -- End function
	.section	.AMDGPU.csdata,"",@progbits
; Kernel info:
; codeLenInByte = 3240
; NumSgprs: 71
; NumVgprs: 62
; NumAgprs: 0
; TotalNumVgprs: 62
; ScratchSize: 0
; MemoryBound: 0
; FloatMode: 240
; IeeeMode: 1
; LDSByteSize: 37120 bytes/workgroup (compile time only)
; SGPRBlocks: 8
; VGPRBlocks: 7
; NumSGPRsForWavesPerEU: 71
; NumVGPRsForWavesPerEU: 62
; AccumOffset: 64
; Occupancy: 1
; WaveLimiterHint : 1
; COMPUTE_PGM_RSRC2:SCRATCH_EN: 0
; COMPUTE_PGM_RSRC2:USER_SGPR: 8
; COMPUTE_PGM_RSRC2:TRAP_HANDLER: 0
; COMPUTE_PGM_RSRC2:TGID_X_EN: 1
; COMPUTE_PGM_RSRC2:TGID_Y_EN: 0
; COMPUTE_PGM_RSRC2:TGID_Z_EN: 0
; COMPUTE_PGM_RSRC2:TIDIG_COMP_CNT: 2
; COMPUTE_PGM_RSRC3_GFX90A:ACCUM_OFFSET: 15
; COMPUTE_PGM_RSRC3_GFX90A:TG_SPLIT: 0
	.section	.text._ZN9rocsparseL38bsrgemm_block_per_row_atomic_multipassILj256ELj16ELj8Ell21rocsparse_complex_numIdEEEv20rocsparse_direction_T3_S4_PKS4_S6_NS_24const_host_device_scalarIT4_EEPKT2_S6_PKS8_SC_S6_SE_S9_SC_S6_SE_SC_PS4_PS8_PSA_21rocsparse_index_base_SI_SI_SI_bbb,"axG",@progbits,_ZN9rocsparseL38bsrgemm_block_per_row_atomic_multipassILj256ELj16ELj8Ell21rocsparse_complex_numIdEEEv20rocsparse_direction_T3_S4_PKS4_S6_NS_24const_host_device_scalarIT4_EEPKT2_S6_PKS8_SC_S6_SE_S9_SC_S6_SE_SC_PS4_PS8_PSA_21rocsparse_index_base_SI_SI_SI_bbb,comdat
	.globl	_ZN9rocsparseL38bsrgemm_block_per_row_atomic_multipassILj256ELj16ELj8Ell21rocsparse_complex_numIdEEEv20rocsparse_direction_T3_S4_PKS4_S6_NS_24const_host_device_scalarIT4_EEPKT2_S6_PKS8_SC_S6_SE_S9_SC_S6_SE_SC_PS4_PS8_PSA_21rocsparse_index_base_SI_SI_SI_bbb ; -- Begin function _ZN9rocsparseL38bsrgemm_block_per_row_atomic_multipassILj256ELj16ELj8Ell21rocsparse_complex_numIdEEEv20rocsparse_direction_T3_S4_PKS4_S6_NS_24const_host_device_scalarIT4_EEPKT2_S6_PKS8_SC_S6_SE_S9_SC_S6_SE_SC_PS4_PS8_PSA_21rocsparse_index_base_SI_SI_SI_bbb
	.p2align	8
	.type	_ZN9rocsparseL38bsrgemm_block_per_row_atomic_multipassILj256ELj16ELj8Ell21rocsparse_complex_numIdEEEv20rocsparse_direction_T3_S4_PKS4_S6_NS_24const_host_device_scalarIT4_EEPKT2_S6_PKS8_SC_S6_SE_S9_SC_S6_SE_SC_PS4_PS8_PSA_21rocsparse_index_base_SI_SI_SI_bbb,@function
_ZN9rocsparseL38bsrgemm_block_per_row_atomic_multipassILj256ELj16ELj8Ell21rocsparse_complex_numIdEEEv20rocsparse_direction_T3_S4_PKS4_S6_NS_24const_host_device_scalarIT4_EEPKT2_S6_PKS8_SC_S6_SE_S9_SC_S6_SE_SC_PS4_PS8_PSA_21rocsparse_index_base_SI_SI_SI_bbb: ; @_ZN9rocsparseL38bsrgemm_block_per_row_atomic_multipassILj256ELj16ELj8Ell21rocsparse_complex_numIdEEEv20rocsparse_direction_T3_S4_PKS4_S6_NS_24const_host_device_scalarIT4_EEPKT2_S6_PKS8_SC_S6_SE_S9_SC_S6_SE_SC_PS4_PS8_PSA_21rocsparse_index_base_SI_SI_SI_bbb
; %bb.0:
	s_add_u32 flat_scratch_lo, s6, s9
	s_addc_u32 flat_scratch_hi, s7, 0
	s_add_u32 s0, s0, s9
	s_load_dword s9, s[4:5], 0xc0
	s_load_dwordx4 s[44:47], s[4:5], 0xb0
	s_load_dwordx4 s[16:19], s[4:5], 0x28
	;; [unrolled: 1-line block ×3, first 2 shown]
	s_addc_u32 s1, s1, 0
	s_waitcnt lgkmcnt(0)
	s_bitcmp1_b32 s9, 0
	s_cselect_b64 s[22:23], -1, 0
	s_bitcmp1_b32 s9, 16
	v_mov_b32_e32 v1, s17
	s_cselect_b64 s[6:7], -1, 0
	buffer_store_dword v1, off, s[0:3], 0 offset:4
	v_mov_b32_e32 v1, s16
	s_xor_b64 s[10:11], s[6:7], -1
	buffer_store_dword v1, off, s[0:3], 0
	v_mov_b32_e32 v1, s13
	v_pk_mov_b32 v[6:7], 0, 0
	buffer_store_dword v1, off, s[0:3], 0 offset:12
	v_mov_b32_e32 v1, s12
	s_bitcmp0_b32 s9, 0
	v_pk_mov_b32 v[4:5], v[6:7], v[6:7] op_sel:[0,1]
	v_pk_mov_b32 v[8:9], v[6:7], v[6:7] op_sel:[0,1]
	buffer_store_dword v1, off, s[0:3], 0 offset:8
	s_cbranch_scc1 .LBB160_3
; %bb.1:
	s_mov_b64 s[20:21], src_private_base
	s_and_b64 s[24:25], s[6:7], exec
	s_cselect_b32 s20, s21, s17
	v_mov_b32_e32 v1, 0
	v_mov_b32_e32 v2, s16
	v_cndmask_b32_e64 v2, v2, v1, s[6:7]
	v_mov_b32_e32 v3, s20
	flat_load_dwordx2 v[4:5], v[2:3]
	s_andn2_b64 vcc, exec, s[10:11]
	v_pk_mov_b32 v[8:9], s[18:19], s[18:19] op_sel:[0,1]
	s_cbranch_vccnz .LBB160_3
; %bb.2:
	v_pk_mov_b32 v[2:3], s[16:17], s[16:17] op_sel:[0,1]
	flat_load_dwordx2 v[8:9], v[2:3] offset:8
.LBB160_3:
	s_load_dwordx2 s[16:17], s[4:5], 0x20
	s_bitcmp1_b32 s9, 8
	s_cselect_b64 s[34:35], -1, 0
	s_bfe_u32 s9, s9, 0x10008
	s_cmp_eq_u32 s9, 0
	v_pk_mov_b32 v[10:11], v[6:7], v[6:7] op_sel:[0,1]
	s_cbranch_scc1 .LBB160_6
; %bb.4:
	s_mov_b64 s[18:19], src_private_base
	s_and_b64 s[20:21], s[6:7], exec
	s_cselect_b32 s9, s19, s13
	v_mov_b32_e32 v1, 8
	v_mov_b32_e32 v2, s12
	v_cndmask_b32_e64 v2, v2, v1, s[6:7]
	v_mov_b32_e32 v3, s9
	flat_load_dwordx2 v[10:11], v[2:3]
	s_andn2_b64 vcc, exec, s[10:11]
	v_pk_mov_b32 v[6:7], s[14:15], s[14:15] op_sel:[0,1]
	s_cbranch_vccnz .LBB160_6
; %bb.5:
	v_pk_mov_b32 v[2:3], s[12:13], s[12:13] op_sel:[0,1]
	flat_load_dwordx2 v[6:7], v[2:3] offset:8
.LBB160_6:
	s_load_dwordx2 s[10:11], s[4:5], 0x38
	s_waitcnt lgkmcnt(0)
	s_cmp_eq_u64 s[16:17], 0
	s_mov_b32 s9, 0
	s_cbranch_scc1 .LBB160_8
; %bb.7:
	s_load_dwordx2 s[6:7], s[4:5], 0x18
	s_waitcnt lgkmcnt(0)
	s_load_dwordx2 s[6:7], s[6:7], 0x0
	s_waitcnt lgkmcnt(0)
	s_lshl_b64 s[6:7], s[6:7], 3
	s_add_u32 s12, s16, s6
	s_addc_u32 s13, s17, s7
	s_lshl_b64 s[6:7], s[8:9], 3
	s_add_u32 s6, s12, s6
	s_addc_u32 s7, s13, s7
	s_load_dwordx2 s[8:9], s[6:7], 0x0
.LBB160_8:
	v_cndmask_b32_e64 v1, 0, 1, s[22:23]
	s_mov_b64 s[56:57], 0
	v_cmp_ne_u32_e64 s[6:7], 1, v1
	s_andn2_b64 vcc, exec, s[22:23]
	s_mov_b64 s[58:59], 0
	s_cbranch_vccz .LBB160_11
; %bb.9:
	s_and_b64 vcc, exec, s[6:7]
	s_cbranch_vccz .LBB160_12
.LBB160_10:
	s_load_dwordx4 s[48:51], s[4:5], 0x8
	s_waitcnt lgkmcnt(0)
	v_cmp_lt_i64_e64 s[6:7], s[48:49], 1
	s_and_b64 vcc, exec, s[6:7]
	s_cbranch_vccz .LBB160_13
	s_branch .LBB160_91
.LBB160_11:
	s_waitcnt lgkmcnt(0)
	s_lshl_b64 s[12:13], s[8:9], 3
	s_add_u32 s12, s10, s12
	s_addc_u32 s13, s11, s13
	s_load_dwordx2 s[12:13], s[12:13], 0x0
	s_waitcnt lgkmcnt(0)
	s_sub_u32 s58, s12, s44
	s_subb_u32 s59, s13, 0
	s_and_b64 vcc, exec, s[6:7]
	s_cbranch_vccnz .LBB160_10
.LBB160_12:
	s_waitcnt lgkmcnt(0)
	s_lshl_b64 s[6:7], s[8:9], 3
	s_add_u32 s6, s10, s6
	s_addc_u32 s7, s11, s7
	s_load_dwordx2 s[6:7], s[6:7], 0x8
	s_waitcnt lgkmcnt(0)
	s_sub_u32 s56, s6, s44
	s_subb_u32 s57, s7, 0
	s_load_dwordx4 s[48:51], s[4:5], 0x8
	s_waitcnt lgkmcnt(0)
	v_cmp_lt_i64_e64 s[6:7], s[48:49], 1
	s_and_b64 vcc, exec, s[6:7]
	s_cbranch_vccnz .LBB160_91
.LBB160_13:
	s_load_dwordx2 s[60:61], s[4:5], 0xa8
	s_load_dwordx4 s[52:55], s[4:5], 0x98
	s_load_dwordx8 s[24:31], s[4:5], 0x78
	s_load_dwordx2 s[64:65], s[4:5], 0x60
	s_load_dwordx8 s[36:43], s[4:5], 0x40
	s_lshl_b64 s[10:11], s[8:9], 3
	s_mul_i32 s8, s50, s51
	s_waitcnt lgkmcnt(0)
	s_add_u32 s6, s30, s10
	s_addc_u32 s7, s31, s11
	s_load_dwordx2 s[6:7], s[6:7], 0x0
	s_mul_hi_u32 s9, s50, s50
	v_bfe_u32 v2, v0, 3, 3
	v_pk_mov_b32 v[16:17], s[56:57], s[56:57] op_sel:[0,1]
	v_cmp_lt_i64_e32 vcc, s[58:59], v[16:17]
	s_waitcnt lgkmcnt(0)
	s_sub_u32 s72, s6, s46
	s_subb_u32 s73, s7, 0
	s_add_i32 s9, s9, s8
	s_add_i32 s31, s9, s8
	v_mad_u64_u32 v[16:17], s[8:9], v2, s50, 0
	v_mov_b32_e32 v18, v17
	v_mad_u64_u32 v[18:19], s[8:9], v2, s51, v[18:19]
	v_mov_b32_e32 v17, v18
	v_lshlrev_b64 v[18:19], 4, v[16:17]
	v_and_b32_e32 v14, 7, v0
	v_mov_b32_e32 v16, s39
	v_add_co_u32_e64 v20, s[8:9], s38, v18
	v_addc_co_u32_e64 v21, s[8:9], v16, v19, s[8:9]
	v_lshlrev_b32_e32 v16, 4, v14
	v_mov_b32_e32 v13, 0
	v_add_co_u32_e64 v50, s[8:9], v20, v16
	v_mov_b32_e32 v15, v13
	v_mov_b32_e32 v3, v13
	v_addc_co_u32_e64 v51, s[8:9], 0, v21, s[8:9]
	v_cmp_gt_i64_e64 s[14:15], s[50:51], v[14:15]
	v_cmp_gt_i64_e64 s[8:9], s[50:51], v[2:3]
	s_and_b64 s[38:39], s[14:15], s[8:9]
	v_mad_u64_u32 v[20:21], s[8:9], v14, s50, 0
	v_mov_b32_e32 v22, v21
	v_mad_u64_u32 v[22:23], s[8:9], v14, s51, v[22:23]
	v_mov_b32_e32 v21, v22
	v_lshlrev_b64 v[20:21], 4, v[20:21]
	v_cmp_gt_u64_e64 s[12:13], s[50:51], v[2:3]
	v_lshlrev_b64 v[22:23], 4, v[2:3]
	v_mov_b32_e32 v3, s55
	v_add_co_u32_e64 v15, s[8:9], s54, v20
	v_addc_co_u32_e64 v24, s[8:9], v3, v21, s[8:9]
	v_add_co_u32_e64 v25, s[8:9], v15, v22
	v_addc_co_u32_e64 v15, s[8:9], v24, v23, s[8:9]
	;; [unrolled: 2-line block ×3, first 2 shown]
	s_load_dword s16, s[4:5], 0x0
	v_add_co_u32_e64 v24, s[8:9], v24, v16
	v_lshrrev_b32_e32 v12, 6, v0
	v_addc_co_u32_e64 v3, s[8:9], 0, v3, s[8:9]
	v_subrev_co_u32_e64 v53, s[8:9], s47, v12
	v_subb_co_u32_e64 v54, s[8:9], 0, 0, s[8:9]
	v_mov_b32_e32 v26, s29
	v_add_co_u32_e64 v20, s[8:9], s28, v20
	s_waitcnt lgkmcnt(0)
	s_cmp_eq_u32 s16, 0
	v_addc_co_u32_e64 v21, s[8:9], v26, v21, s[8:9]
	s_cselect_b64 s[20:21], -1, 0
	s_cmp_lg_u32 s16, 0
	v_add_co_u32_e64 v20, s[8:9], v20, v22
	s_cselect_b64 s[54:55], -1, 0
	s_add_u32 s24, s24, s10
	v_addc_co_u32_e64 v21, s[8:9], v21, v23, s[8:9]
	s_addc_u32 s25, s25, s11
	v_add_co_u32_e64 v18, s[8:9], s28, v18
	s_and_b64 s[28:29], s[22:23], vcc
	s_and_b64 s[62:63], s[14:15], s[12:13]
	s_mov_b32 s89, s47
	s_add_u32 s47, s40, 8
	v_addc_co_u32_e64 v19, s[8:9], v26, v19, s[8:9]
	s_addc_u32 s91, s41, 0
	v_add_co_u32_e64 v22, s[8:9], v18, v16
	s_add_u32 s92, s52, -8
	v_and_b32_e32 v1, 63, v0
	v_addc_co_u32_e64 v19, s[8:9], 0, v19, s[8:9]
	v_mov_b32_e32 v26, 0x5000
	s_addc_u32 s93, s53, -1
	v_cmp_gt_u32_e64 s[4:5], 16, v0
	v_cmp_eq_u32_e64 s[6:7], 0, v0
	v_lshlrev_b32_e32 v48, 4, v0
	v_and_b32_e32 v52, 56, v0
	v_cmp_eq_u32_e64 s[8:9], 63, v1
	v_and_b32_e32 v1, 15, v0
	v_lshl_or_b32 v57, v0, 2, v26
	v_or_b32_e32 v61, 0xffffff00, v0
	s_add_u32 s52, s64, 8
	v_lshlrev_b32_e32 v0, 4, v2
	s_addc_u32 s53, s65, 0
	v_lshl_or_b32 v0, v12, 10, v0
	v_cndmask_b32_e64 v15, v15, v3, s[20:21]
	v_cndmask_b32_e64 v3, v20, v22, s[20:21]
	v_add_u32_e32 v62, 0x4000, v0
	v_mov_b32_e32 v0, s53
	v_add_co_u32_e32 v20, vcc, s52, v16
	v_lshlrev_b32_e32 v18, 2, v1
	v_add_co_u32_e64 v23, s[10:11], -1, v1
	v_cmp_ne_u32_e64 s[12:13], 0, v1
	v_cmp_lt_u32_e64 s[14:15], 1, v1
	v_cmp_lt_u32_e64 s[16:17], 3, v1
	;; [unrolled: 1-line block ×3, first 2 shown]
	v_cndmask_b32_e64 v1, v21, v19, s[20:21]
	v_addc_co_u32_e32 v21, vcc, 0, v0, vcc
	v_add_co_u32_e32 v22, vcc, 8, v3
	v_lshl_add_u32 v56, v23, 2, v26
	v_addc_co_u32_e32 v23, vcc, 0, v1, vcc
	s_mov_b32 s33, 0
	s_mul_i32 s30, s50, s50
	v_and_b32_e32 v0, 0xf80, v48
	v_add_co_u32_e32 v64, vcc, 4, v53
	v_lshl_or_b32 v66, v12, 2, v26
	v_mov_b32_e32 v26, 16
	v_or_b32_e32 v49, 0x4000, v48
	v_mov_b32_e32 v17, v13
	s_mov_b32 s88, s33
	s_mov_b32 s90, s33
	v_or_b32_e32 v55, 0x5000, v18
	v_add_u32_e32 v58, 0x4ff8, v18
	v_add_u32_e32 v59, 0x4ff0, v18
	;; [unrolled: 1-line block ×3, first 2 shown]
	v_cndmask_b32_e64 v18, v25, v24, s[20:21]
	s_lshl_b64 s[64:65], s[50:51], 4
	s_lshl_b64 s[66:67], s[30:31], 4
	v_or_b32_e32 v63, 0x4000, v0
	s_lshl_b64 s[68:69], s[30:31], 6
	v_addc_co_u32_e32 v65, vcc, 0, v54, vcc
	s_mov_b64 s[70:71], 0
	v_mov_b32_e32 v27, 0
	v_pk_mov_b32 v[24:25], s[72:73], s[72:73] op_sel:[0,1]
	v_mov_b32_e32 v0, v13
	v_mov_b32_e32 v1, v13
	;; [unrolled: 1-line block ×4, first 2 shown]
	s_movk_i32 s94, 0x2ff
	v_mov_b32_e32 v67, 1
	s_branch .LBB160_15
.LBB160_14:                             ;   in Loop: Header=BB160_15 Depth=1
	s_or_b64 exec, exec, s[20:21]
	s_barrier
	ds_read_b64 v[30:31], v13 offset:20544
	v_ashrrev_i32_e32 v19, 31, v29
	v_add_co_u32_e32 v24, vcc, v24, v29
	v_addc_co_u32_e32 v25, vcc, v25, v19, vcc
	s_waitcnt lgkmcnt(0)
	v_add_co_u32_e32 v26, vcc, 16, v30
	v_addc_co_u32_e32 v27, vcc, 0, v31, vcc
	v_cmp_le_i64_e32 vcc, s[48:49], v[30:31]
	v_readfirstlane_b32 s70, v30
	v_readfirstlane_b32 s71, v31
	s_barrier
	s_cbranch_vccnz .LBB160_91
.LBB160_15:                             ; =>This Loop Header: Depth=1
                                        ;     Child Loop BB160_18 Depth 2
                                        ;     Child Loop BB160_24 Depth 2
                                        ;       Child Loop BB160_40 Depth 3
                                        ;         Child Loop BB160_52 Depth 4
                                        ;         Child Loop BB160_48 Depth 4
                                        ;     Child Loop BB160_62 Depth 2
                                        ;     Child Loop BB160_71 Depth 2
	;; [unrolled: 1-line block ×3, first 2 shown]
	s_and_saveexec_b64 s[20:21], s[4:5]
	s_cbranch_execz .LBB160_17
; %bb.16:                               ;   in Loop: Header=BB160_15 Depth=1
	ds_write_b32 v57, v13
.LBB160_17:                             ;   in Loop: Header=BB160_15 Depth=1
	s_or_b64 exec, exec, s[20:21]
	s_mov_b64 s[20:21], 0
	v_mov_b32_e32 v19, v48
	v_mov_b32_e32 v28, v61
.LBB160_18:                             ;   Parent Loop BB160_15 Depth=1
                                        ; =>  This Inner Loop Header: Depth=2
	v_add_u32_e32 v28, 0x100, v28
	v_cmp_lt_u32_e32 vcc, s94, v28
	ds_write_b128 v19, v[0:3]
	s_or_b64 s[20:21], vcc, s[20:21]
	v_add_u32_e32 v19, 0x1000, v19
	s_andn2_b64 exec, exec, s[20:21]
	s_cbranch_execnz .LBB160_18
; %bb.19:                               ;   in Loop: Header=BB160_15 Depth=1
	s_or_b64 exec, exec, s[20:21]
	s_and_saveexec_b64 s[20:21], s[6:7]
	s_cbranch_execz .LBB160_21
; %bb.20:                               ;   in Loop: Header=BB160_15 Depth=1
	v_pk_mov_b32 v[28:29], s[48:49], s[48:49] op_sel:[0,1]
	ds_write_b64 v13, v[28:29] offset:20544
.LBB160_21:                             ;   in Loop: Header=BB160_15 Depth=1
	s_or_b64 exec, exec, s[20:21]
	s_andn2_b64 vcc, exec, s[28:29]
	v_pk_mov_b32 v[28:29], s[48:49], s[48:49] op_sel:[0,1]
	s_waitcnt lgkmcnt(0)
	s_barrier
	s_cbranch_vccnz .LBB160_57
; %bb.22:                               ;   in Loop: Header=BB160_15 Depth=1
	s_cmp_lg_u64 s[70:71], 0
	s_cselect_b64 s[72:73], -1, 0
	v_pk_mov_b32 v[28:29], s[48:49], s[48:49] op_sel:[0,1]
	s_mov_b64 s[74:75], s[58:59]
	s_branch .LBB160_24
.LBB160_23:                             ;   in Loop: Header=BB160_24 Depth=2
	s_or_b64 exec, exec, s[22:23]
	s_add_u32 s74, s74, 4
	s_addc_u32 s75, s75, 0
	v_pk_mov_b32 v[30:31], s[56:57], s[56:57] op_sel:[0,1]
	v_cmp_lt_i64_e32 vcc, s[74:75], v[30:31]
	s_cbranch_vccz .LBB160_57
.LBB160_24:                             ;   Parent Loop BB160_15 Depth=1
                                        ; =>  This Loop Header: Depth=2
                                        ;       Child Loop BB160_40 Depth 3
                                        ;         Child Loop BB160_52 Depth 4
                                        ;         Child Loop BB160_48 Depth 4
	v_mov_b32_e32 v19, s75
	v_add_co_u32_e32 v30, vcc, s74, v12
	v_addc_co_u32_e32 v31, vcc, 0, v19, vcc
	v_cmp_gt_i64_e64 s[20:21], s[56:57], v[30:31]
	s_barrier
	s_and_saveexec_b64 s[22:23], s[20:21]
	s_cbranch_execz .LBB160_29
; %bb.25:                               ;   in Loop: Header=BB160_24 Depth=2
	s_and_saveexec_b64 s[76:77], s[62:63]
	s_xor_b64 s[76:77], exec, s[76:77]
	s_cbranch_execz .LBB160_27
; %bb.26:                               ;   in Loop: Header=BB160_24 Depth=2
	v_mul_lo_u32 v19, v31, s30
	v_mul_lo_u32 v34, v30, s31
	v_mad_u64_u32 v[32:33], s[78:79], v30, s30, 0
	v_add3_u32 v33, v33, v34, v19
	v_lshlrev_b64 v[32:33], 4, v[32:33]
	v_add_co_u32_e32 v32, vcc, v50, v32
	v_addc_co_u32_e32 v33, vcc, v51, v33, vcc
	global_load_dwordx4 v[32:35], v[32:33], off
	s_waitcnt vmcnt(0)
	ds_write2_b64 v49, v[32:33], v[34:35] offset1:1
.LBB160_27:                             ;   in Loop: Header=BB160_24 Depth=2
	s_andn2_saveexec_b64 s[76:77], s[76:77]
	s_cbranch_execz .LBB160_29
; %bb.28:                               ;   in Loop: Header=BB160_24 Depth=2
	ds_write_b128 v49, v[0:3]
.LBB160_29:                             ;   in Loop: Header=BB160_24 Depth=2
	s_or_b64 exec, exec, s[22:23]
	v_pk_mov_b32 v[32:33], 0, 0
	v_lshlrev_b64 v[30:31], 3, v[30:31]
	s_waitcnt lgkmcnt(0)
	s_barrier
	s_and_saveexec_b64 s[76:77], s[20:21]
	s_cbranch_execz .LBB160_55
; %bb.30:                               ;   in Loop: Header=BB160_24 Depth=2
	v_mov_b32_e32 v19, s37
	v_add_co_u32_e32 v32, vcc, s36, v30
	v_addc_co_u32_e32 v33, vcc, v19, v31, vcc
	global_load_dwordx2 v[34:35], v[32:33], off
	s_and_b64 vcc, exec, s[72:73]
	s_cbranch_vccz .LBB160_32
; %bb.31:                               ;   in Loop: Header=BB160_24 Depth=2
	v_mov_b32_e32 v19, s61
	v_add_co_u32_e32 v32, vcc, s60, v30
	v_addc_co_u32_e32 v33, vcc, v19, v31, vcc
	global_load_dwordx2 v[32:33], v[32:33], off
	s_mov_b64 s[22:23], 0
	s_branch .LBB160_33
.LBB160_32:                             ;   in Loop: Header=BB160_24 Depth=2
	s_mov_b64 s[22:23], -1
                                        ; implicit-def: $vgpr32_vgpr33
.LBB160_33:                             ;   in Loop: Header=BB160_24 Depth=2
	v_mov_b32_e32 v19, s88
	s_waitcnt vmcnt(0)
	v_subrev_co_u32_e32 v34, vcc, s44, v34
	v_subb_co_u32_e32 v35, vcc, v35, v19, vcc
	s_andn2_b64 vcc, exec, s[22:23]
	v_lshlrev_b64 v[34:35], 3, v[34:35]
	s_cbranch_vccnz .LBB160_35
; %bb.34:                               ;   in Loop: Header=BB160_24 Depth=2
	v_mov_b32_e32 v19, s41
	v_add_co_u32_e32 v32, vcc, s40, v34
	v_addc_co_u32_e32 v33, vcc, v19, v35, vcc
	global_load_dwordx2 v[32:33], v[32:33], off
	v_mov_b32_e32 v19, s33
	s_waitcnt vmcnt(0)
	v_subrev_co_u32_e32 v32, vcc, s45, v32
	v_subb_co_u32_e32 v33, vcc, v33, v19, vcc
.LBB160_35:                             ;   in Loop: Header=BB160_24 Depth=2
	v_mov_b32_e32 v19, s91
	v_add_co_u32_e32 v34, vcc, s47, v34
	v_addc_co_u32_e32 v35, vcc, v19, v35, vcc
	global_load_dwordx2 v[34:35], v[34:35], off
	v_mov_b32_e32 v19, s33
	s_waitcnt vmcnt(0)
	v_subrev_co_u32_e32 v34, vcc, s45, v34
	v_subb_co_u32_e32 v35, vcc, v35, v19, vcc
	v_cmp_lt_i64_e32 vcc, v[32:33], v[34:35]
	s_and_saveexec_b64 s[78:79], vcc
	s_cbranch_execz .LBB160_54
; %bb.36:                               ;   in Loop: Header=BB160_24 Depth=2
	v_mad_u64_u32 v[36:37], s[22:23], s64, v32, v[16:17]
	v_mul_lo_u32 v19, s64, v33
	v_mul_lo_u32 v38, s65, v32
	v_add3_u32 v19, v38, v37, v19
	v_pk_mov_b32 v[38:39], s[52:53], s[52:53] op_sel:[0,1]
	v_mul_lo_u32 v40, s51, v36
	v_mul_lo_u32 v19, s50, v19
	v_mad_u64_u32 v[36:37], s[22:23], s50, v36, v[38:39]
	v_add3_u32 v37, v40, v37, v19
	v_mad_u64_u32 v[38:39], s[22:23], s66, v32, v[20:21]
	v_mul_lo_u32 v19, s66, v33
	v_mul_lo_u32 v40, s67, v32
	v_add3_u32 v39, v40, v39, v19
	s_mov_b64 s[80:81], 0
	v_pk_mov_b32 v[40:41], v[32:33], v[32:33] op_sel:[0,1]
	s_branch .LBB160_40
.LBB160_37:                             ;   in Loop: Header=BB160_40 Depth=3
	v_lshlrev_b32_e32 v19, 6, v19
	v_or3_b32 v19, v19, v52, v14
	v_mul_f64 v[46:47], v[44:45], -v[8:9]
	v_lshlrev_b32_e32 v19, 4, v19
	v_fmac_f64_e32 v[46:47], v[4:5], v[42:43]
	v_mul_f64 v[44:45], v[4:5], v[44:45]
	v_fmac_f64_e32 v[44:45], v[8:9], v[42:43]
	ds_add_f64 v19, v[46:47]
	ds_add_f64 v19, v[44:45] offset:8
.LBB160_38:                             ;   in Loop: Header=BB160_40 Depth=3
	s_or_b64 exec, exec, s[84:85]
	s_or_b64 s[22:23], s[22:23], exec
.LBB160_39:                             ;   in Loop: Header=BB160_40 Depth=3
	s_or_b64 exec, exec, s[82:83]
	v_add_co_u32_e32 v40, vcc, 1, v40
	v_addc_co_u32_e32 v41, vcc, 0, v41, vcc
	v_cmp_ge_i64_e32 vcc, v[40:41], v[34:35]
	s_xor_b64 s[22:23], s[22:23], -1
	s_or_b64 s[22:23], s[22:23], vcc
	v_mov_b32_e32 v19, s67
	v_add_co_u32_e32 v36, vcc, s66, v36
	v_addc_co_u32_e32 v37, vcc, v37, v19, vcc
	s_and_b64 s[22:23], exec, s[22:23]
	v_add_co_u32_e32 v38, vcc, s66, v38
	s_or_b64 s[80:81], s[22:23], s[80:81]
	v_addc_co_u32_e32 v39, vcc, v39, v19, vcc
	s_andn2_b64 exec, exec, s[80:81]
	s_cbranch_execz .LBB160_53
.LBB160_40:                             ;   Parent Loop BB160_15 Depth=1
                                        ;     Parent Loop BB160_24 Depth=2
                                        ; =>    This Loop Header: Depth=3
                                        ;         Child Loop BB160_52 Depth 4
                                        ;         Child Loop BB160_48 Depth 4
	v_lshlrev_b64 v[42:43], 3, v[40:41]
	v_mov_b32_e32 v19, s43
	v_add_co_u32_e32 v42, vcc, s42, v42
	v_addc_co_u32_e32 v43, vcc, v19, v43, vcc
	global_load_dwordx2 v[42:43], v[42:43], off
	v_mov_b32_e32 v19, s33
	s_waitcnt vmcnt(0)
	v_subrev_co_u32_e32 v42, vcc, s45, v42
	v_subb_co_u32_e32 v43, vcc, v43, v19, vcc
	v_cmp_gt_i64_e64 s[22:23], s[70:71], v[42:43]
	v_cmp_ge_i64_e32 vcc, v[42:43], v[26:27]
	s_or_b64 s[82:83], s[22:23], vcc
                                        ; implicit-def: $sgpr22_sgpr23
	s_and_saveexec_b64 s[84:85], s[82:83]
	s_xor_b64 s[82:83], exec, s[84:85]
	s_cbranch_execz .LBB160_44
; %bb.41:                               ;   in Loop: Header=BB160_40 Depth=3
	s_mov_b64 s[22:23], -1
	s_and_saveexec_b64 s[84:85], vcc
; %bb.42:                               ;   in Loop: Header=BB160_40 Depth=3
	v_cmp_lt_i64_e32 vcc, v[42:43], v[28:29]
	v_cndmask_b32_e32 v29, v29, v43, vcc
	v_cndmask_b32_e32 v28, v28, v42, vcc
	s_xor_b64 s[22:23], exec, -1
	v_pk_mov_b32 v[32:33], v[40:41], v[40:41] op_sel:[0,1]
; %bb.43:                               ;   in Loop: Header=BB160_40 Depth=3
	s_or_b64 exec, exec, s[84:85]
	s_and_b64 s[22:23], s[22:23], exec
                                        ; implicit-def: $vgpr42_vgpr43
.LBB160_44:                             ;   in Loop: Header=BB160_40 Depth=3
	s_andn2_saveexec_b64 s[82:83], s[82:83]
	s_cbranch_execz .LBB160_39
; %bb.45:                               ;   in Loop: Header=BB160_40 Depth=3
	v_subrev_u32_e32 v19, s70, v42
	v_lshlrev_b32_e32 v42, 2, v19
	ds_write_b32 v42, v67 offset:20480
	s_and_saveexec_b64 s[84:85], s[38:39]
	s_cbranch_execz .LBB160_38
; %bb.46:                               ;   in Loop: Header=BB160_40 Depth=3
	s_andn2_b64 vcc, exec, s[54:55]
	s_cbranch_vccnz .LBB160_50
; %bb.47:                               ;   in Loop: Header=BB160_40 Depth=3
	v_pk_mov_b32 v[42:43], 0, 0
	v_mov_b32_e32 v68, v62
	s_mov_b64 s[86:87], s[50:51]
	v_pk_mov_b32 v[46:47], v[36:37], v[36:37] op_sel:[0,1]
	v_pk_mov_b32 v[44:45], v[42:43], v[42:43] op_sel:[0,1]
.LBB160_48:                             ;   Parent Loop BB160_15 Depth=1
                                        ;     Parent Loop BB160_24 Depth=2
                                        ;       Parent Loop BB160_40 Depth=3
                                        ; =>      This Inner Loop Header: Depth=4
	global_load_dwordx4 v[70:73], v[46:47], off offset:-8
	ds_read_b128 v[74:77], v68
	s_add_u32 s86, s86, -1
	v_add_co_u32_e32 v46, vcc, 16, v46
	s_addc_u32 s87, s87, -1
	v_addc_co_u32_e32 v47, vcc, 0, v47, vcc
	v_add_u32_e32 v68, 0x80, v68
	s_cmp_lg_u64 s[86:87], 0
	s_waitcnt vmcnt(0) lgkmcnt(0)
	v_fmac_f64_e32 v[42:43], v[74:75], v[70:71]
	v_fmac_f64_e32 v[44:45], v[76:77], v[70:71]
	v_fma_f64 v[42:43], -v[76:77], v[72:73], v[42:43]
	v_fmac_f64_e32 v[44:45], v[74:75], v[72:73]
	s_cbranch_scc1 .LBB160_48
; %bb.49:                               ;   in Loop: Header=BB160_40 Depth=3
	s_branch .LBB160_37
.LBB160_50:                             ;   in Loop: Header=BB160_40 Depth=3
                                        ; implicit-def: $vgpr42_vgpr43
                                        ; implicit-def: $vgpr44_vgpr45
	s_cbranch_execz .LBB160_37
; %bb.51:                               ;   in Loop: Header=BB160_40 Depth=3
	v_pk_mov_b32 v[42:43], 0, 0
	v_mov_b32_e32 v68, v63
	v_pk_mov_b32 v[46:47], v[38:39], v[38:39] op_sel:[0,1]
	s_mov_b64 s[86:87], s[50:51]
	v_pk_mov_b32 v[44:45], v[42:43], v[42:43] op_sel:[0,1]
.LBB160_52:                             ;   Parent Loop BB160_15 Depth=1
                                        ;     Parent Loop BB160_24 Depth=2
                                        ;       Parent Loop BB160_40 Depth=3
                                        ; =>      This Inner Loop Header: Depth=4
	global_load_dwordx4 v[70:73], v[46:47], off offset:-8
	ds_read_b128 v[74:77], v68
	s_add_u32 s86, s86, -1
	v_mov_b32_e32 v69, s65
	v_add_co_u32_e32 v46, vcc, s64, v46
	s_addc_u32 s87, s87, -1
	v_add_u32_e32 v68, 16, v68
	v_addc_co_u32_e32 v47, vcc, v47, v69, vcc
	s_cmp_eq_u64 s[86:87], 0
	s_waitcnt vmcnt(0) lgkmcnt(0)
	v_fmac_f64_e32 v[42:43], v[74:75], v[70:71]
	v_fmac_f64_e32 v[44:45], v[76:77], v[70:71]
	v_fma_f64 v[42:43], -v[76:77], v[72:73], v[42:43]
	v_fmac_f64_e32 v[44:45], v[74:75], v[72:73]
	s_cbranch_scc0 .LBB160_52
	s_branch .LBB160_37
.LBB160_53:                             ;   in Loop: Header=BB160_24 Depth=2
	s_or_b64 exec, exec, s[80:81]
.LBB160_54:                             ;   in Loop: Header=BB160_24 Depth=2
	s_or_b64 exec, exec, s[78:79]
.LBB160_55:                             ;   in Loop: Header=BB160_24 Depth=2
	s_or_b64 exec, exec, s[76:77]
	s_waitcnt lgkmcnt(0)
	s_barrier
	s_and_saveexec_b64 s[22:23], s[20:21]
	s_cbranch_execz .LBB160_23
; %bb.56:                               ;   in Loop: Header=BB160_24 Depth=2
	v_mov_b32_e32 v19, s61
	v_add_co_u32_e32 v30, vcc, s60, v30
	v_addc_co_u32_e32 v31, vcc, v19, v31, vcc
	global_store_dwordx2 v[30:31], v[32:33], off
	s_branch .LBB160_23
.LBB160_57:                             ;   in Loop: Header=BB160_15 Depth=1
	s_andn2_b64 vcc, exec, s[34:35]
	s_cbranch_vccnz .LBB160_69
; %bb.58:                               ;   in Loop: Header=BB160_15 Depth=1
	s_load_dwordx4 s[20:23], s[24:25], 0x0
	s_waitcnt lgkmcnt(0)
	s_sub_u32 s22, s22, s89
	v_mov_b32_e32 v19, s21
	v_add_co_u32_e32 v34, vcc, s20, v53
	s_subb_u32 s23, s23, 0
	v_addc_co_u32_e32 v35, vcc, v19, v54, vcc
	v_cmp_gt_i64_e32 vcc, s[22:23], v[34:35]
	s_and_saveexec_b64 s[72:73], vcc
	s_cbranch_execz .LBB160_68
; %bb.59:                               ;   in Loop: Header=BB160_15 Depth=1
	v_lshlrev_b64 v[30:31], 3, v[34:35]
	v_mov_b32_e32 v19, s27
	v_add_co_u32_e32 v30, vcc, s26, v30
	v_addc_co_u32_e32 v31, vcc, v19, v31, vcc
	v_mad_u64_u32 v[32:33], s[74:75], s66, v34, v[22:23]
	v_mul_lo_u32 v19, s66, v35
	v_mul_lo_u32 v34, s67, v34
	v_add3_u32 v33, v34, v33, v19
	v_mov_b32_e32 v19, s21
	v_add_co_u32_e32 v34, vcc, s20, v64
	v_addc_co_u32_e32 v35, vcc, v65, v19, vcc
	s_mov_b64 s[74:75], 0
	s_branch .LBB160_62
.LBB160_60:                             ;   in Loop: Header=BB160_62 Depth=2
	s_or_b64 exec, exec, s[78:79]
	s_or_b64 s[20:21], s[20:21], exec
.LBB160_61:                             ;   in Loop: Header=BB160_62 Depth=2
	s_or_b64 exec, exec, s[76:77]
	v_cmp_le_i64_e32 vcc, s[22:23], v[34:35]
	s_xor_b64 s[20:21], s[20:21], -1
	s_or_b64 s[20:21], s[20:21], vcc
	v_add_co_u32_e32 v30, vcc, 32, v30
	v_addc_co_u32_e32 v31, vcc, 0, v31, vcc
	v_mov_b32_e32 v19, s69
	v_add_co_u32_e32 v32, vcc, s68, v32
	v_addc_co_u32_e32 v33, vcc, v33, v19, vcc
	s_and_b64 s[20:21], exec, s[20:21]
	v_add_co_u32_e32 v34, vcc, 4, v34
	s_or_b64 s[74:75], s[20:21], s[74:75]
	v_addc_co_u32_e32 v35, vcc, 0, v35, vcc
	s_andn2_b64 exec, exec, s[74:75]
	s_cbranch_execz .LBB160_67
.LBB160_62:                             ;   Parent Loop BB160_15 Depth=1
                                        ; =>  This Inner Loop Header: Depth=2
	global_load_dwordx2 v[36:37], v[30:31], off
	v_mov_b32_e32 v19, s90
	s_waitcnt vmcnt(0)
	v_subrev_co_u32_e32 v36, vcc, s89, v36
	v_subb_co_u32_e32 v37, vcc, v37, v19, vcc
	v_cmp_lt_i64_e32 vcc, v[36:37], v[26:27]
	v_cmp_gt_i64_e64 s[20:21], s[70:71], v[36:37]
	s_xor_b64 s[76:77], vcc, -1
	s_or_b64 s[76:77], s[20:21], s[76:77]
                                        ; implicit-def: $sgpr20_sgpr21
	s_and_saveexec_b64 s[78:79], s[76:77]
	s_xor_b64 s[76:77], exec, s[78:79]
; %bb.63:                               ;   in Loop: Header=BB160_62 Depth=2
	v_cmp_lt_i64_e64 s[20:21], v[36:37], v[28:29]
	v_cndmask_b32_e64 v19, v28, v36, s[20:21]
	v_cndmask_b32_e64 v36, v29, v37, s[20:21]
	v_cndmask_b32_e32 v29, v36, v29, vcc
	v_cndmask_b32_e32 v28, v19, v28, vcc
	s_and_b64 s[20:21], vcc, exec
                                        ; implicit-def: $vgpr36
; %bb.64:                               ;   in Loop: Header=BB160_62 Depth=2
	s_andn2_saveexec_b64 s[76:77], s[76:77]
	s_cbranch_execz .LBB160_61
; %bb.65:                               ;   in Loop: Header=BB160_62 Depth=2
	v_subrev_u32_e32 v19, s70, v36
	v_lshlrev_b32_e32 v36, 2, v19
	ds_write_b32 v36, v67 offset:20480
	s_and_saveexec_b64 s[78:79], s[62:63]
	s_cbranch_execz .LBB160_60
; %bb.66:                               ;   in Loop: Header=BB160_62 Depth=2
	global_load_dwordx4 v[36:39], v[32:33], off offset:-8
	v_lshlrev_b32_e32 v19, 6, v19
	v_or3_b32 v19, v19, v52, v14
	v_lshlrev_b32_e32 v19, 4, v19
	s_waitcnt vmcnt(0)
	v_mul_f64 v[40:41], v[38:39], -v[6:7]
	v_mul_f64 v[38:39], v[10:11], v[38:39]
	v_fmac_f64_e32 v[40:41], v[10:11], v[36:37]
	v_fmac_f64_e32 v[38:39], v[6:7], v[36:37]
	ds_add_f64 v19, v[40:41]
	ds_add_f64 v19, v[38:39] offset:8
	s_branch .LBB160_60
.LBB160_67:                             ;   in Loop: Header=BB160_15 Depth=1
	s_or_b64 exec, exec, s[74:75]
.LBB160_68:                             ;   in Loop: Header=BB160_15 Depth=1
	s_or_b64 exec, exec, s[72:73]
.LBB160_69:                             ;   in Loop: Header=BB160_15 Depth=1
	s_and_saveexec_b64 s[20:21], s[8:9]
	s_cbranch_execz .LBB160_74
; %bb.70:                               ;   in Loop: Header=BB160_15 Depth=1
	s_mov_b64 s[72:73], exec
	s_mov_b64 s[22:23], -1
.LBB160_71:                             ;   Parent Loop BB160_15 Depth=1
                                        ; =>  This Inner Loop Header: Depth=2
	s_ff1_i32_b64 s76, s[72:73]
	v_readlane_b32 s77, v29, s76
	v_readlane_b32 s78, v28, s76
	v_mov_b32_e32 v26, s78
	v_mov_b32_e32 v27, s77
	v_cmp_lt_u64_e32 vcc, s[22:23], v[26:27]
	s_and_b64 s[74:75], vcc, exec
	s_cselect_b32 s23, s23, s77
	s_cselect_b32 s22, s22, s78
	s_lshl_b64 s[74:75], 1, s76
	s_andn2_b64 s[72:73], s[72:73], s[74:75]
	s_cmp_lg_u64 s[72:73], 0
	s_cbranch_scc1 .LBB160_71
; %bb.72:                               ;   in Loop: Header=BB160_15 Depth=1
	v_mbcnt_lo_u32_b32 v19, exec_lo, 0
	v_mbcnt_hi_u32_b32 v19, exec_hi, v19
	v_cmp_eq_u32_e32 vcc, 0, v19
	s_and_saveexec_b64 s[72:73], vcc
	s_xor_b64 s[72:73], exec, s[72:73]
	s_cbranch_execz .LBB160_74
; %bb.73:                               ;   in Loop: Header=BB160_15 Depth=1
	v_pk_mov_b32 v[26:27], s[22:23], s[22:23] op_sel:[0,1]
	ds_min_u64 v13, v[26:27] offset:20544
.LBB160_74:                             ;   in Loop: Header=BB160_15 Depth=1
	s_or_b64 exec, exec, s[20:21]
	s_waitcnt lgkmcnt(0)
	s_barrier
	ds_read_b32 v19, v55
	s_waitcnt lgkmcnt(0)
	s_barrier
	s_and_saveexec_b64 s[20:21], s[12:13]
	s_cbranch_execz .LBB160_76
; %bb.75:                               ;   in Loop: Header=BB160_15 Depth=1
	ds_read_b32 v26, v56
	s_waitcnt lgkmcnt(0)
	v_add_u32_e32 v19, v26, v19
.LBB160_76:                             ;   in Loop: Header=BB160_15 Depth=1
	s_or_b64 exec, exec, s[20:21]
	s_barrier
	ds_write_b32 v55, v19
	s_waitcnt lgkmcnt(0)
	s_barrier
	s_and_saveexec_b64 s[20:21], s[14:15]
	s_cbranch_execz .LBB160_78
; %bb.77:                               ;   in Loop: Header=BB160_15 Depth=1
	ds_read_b32 v26, v58
	s_waitcnt lgkmcnt(0)
	v_add_u32_e32 v19, v26, v19
.LBB160_78:                             ;   in Loop: Header=BB160_15 Depth=1
	s_or_b64 exec, exec, s[20:21]
	s_barrier
	ds_write_b32 v55, v19
	;; [unrolled: 12-line block ×4, first 2 shown]
	s_waitcnt lgkmcnt(0)
	s_barrier
	ds_read_b32 v29, v13 offset:20540
	v_mov_b32_e32 v26, 0
	s_and_saveexec_b64 s[20:21], s[10:11]
	s_cbranch_execz .LBB160_84
; %bb.83:                               ;   in Loop: Header=BB160_15 Depth=1
	ds_read_b32 v26, v56
.LBB160_84:                             ;   in Loop: Header=BB160_15 Depth=1
	s_or_b64 exec, exec, s[20:21]
	s_waitcnt lgkmcnt(0)
	v_cmp_eq_u32_e32 vcc, v19, v26
	s_and_b64 s[22:23], s[10:11], vcc
	s_barrier
	s_and_saveexec_b64 s[20:21], s[22:23]
	s_cbranch_execz .LBB160_86
; %bb.85:                               ;   in Loop: Header=BB160_15 Depth=1
	ds_write_b32 v55, v13
.LBB160_86:                             ;   in Loop: Header=BB160_15 Depth=1
	s_or_b64 exec, exec, s[20:21]
	v_add_co_u32_e32 v30, vcc, -1, v24
	s_add_u32 s70, s46, s70
	v_addc_co_u32_e32 v31, vcc, -1, v25, vcc
	s_addc_u32 s71, 0, s71
	s_mov_b64 s[20:21], 0
	v_mov_b32_e32 v32, v66
	v_mov_b32_e32 v33, v48
	v_pk_mov_b32 v[26:27], v[12:13], v[12:13] op_sel:[0,1]
	s_waitcnt lgkmcnt(0)
	s_barrier
	s_branch .LBB160_88
.LBB160_87:                             ;   in Loop: Header=BB160_88 Depth=2
	s_or_b64 exec, exec, s[22:23]
	v_add_co_u32_e32 v26, vcc, 4, v26
	v_addc_co_u32_e32 v27, vcc, 0, v27, vcc
	v_add_u32_e32 v19, -4, v26
	v_cmp_lt_u32_e32 vcc, 11, v19
	v_add_u32_e32 v33, 0x1000, v33
	s_or_b64 s[20:21], vcc, s[20:21]
	v_add_u32_e32 v32, 16, v32
	s_andn2_b64 exec, exec, s[20:21]
	s_cbranch_execz .LBB160_14
.LBB160_88:                             ;   Parent Loop BB160_15 Depth=1
                                        ; =>  This Inner Loop Header: Depth=2
	ds_read_b32 v28, v32
	s_waitcnt lgkmcnt(0)
	v_cmp_ne_u32_e32 vcc, 0, v28
	s_and_saveexec_b64 s[22:23], vcc
	s_cbranch_execz .LBB160_87
; %bb.89:                               ;   in Loop: Header=BB160_88 Depth=2
	v_mov_b32_e32 v35, s71
	v_add_co_u32_e32 v34, vcc, s70, v26
	v_addc_co_u32_e32 v35, vcc, v35, v27, vcc
	v_ashrrev_i32_e32 v19, 31, v28
	v_add_co_u32_e32 v36, vcc, v24, v28
	v_addc_co_u32_e32 v37, vcc, v25, v19, vcc
	v_lshlrev_b64 v[36:37], 3, v[36:37]
	v_mov_b32_e32 v38, s93
	v_add_co_u32_e32 v36, vcc, s92, v36
	v_addc_co_u32_e32 v37, vcc, v38, v37, vcc
	global_store_dwordx2 v[36:37], v[34:35], off
	s_and_b64 exec, exec, s[62:63]
	s_cbranch_execz .LBB160_87
; %bb.90:                               ;   in Loop: Header=BB160_88 Depth=2
	v_add_co_u32_e32 v28, vcc, v30, v28
	v_addc_co_u32_e32 v19, vcc, v31, v19, vcc
	v_mul_lo_u32 v19, v19, s30
	v_mul_lo_u32 v36, v28, s31
	v_mad_u64_u32 v[34:35], s[72:73], v28, s30, 0
	v_add3_u32 v35, v35, v36, v19
	v_lshlrev_b64 v[38:39], 4, v[34:35]
	ds_read2_b64 v[34:37], v33 offset1:1
	v_add_co_u32_e32 v38, vcc, v18, v38
	v_addc_co_u32_e32 v39, vcc, v15, v39, vcc
	s_waitcnt lgkmcnt(0)
	global_store_dwordx4 v[38:39], v[34:37], off
	s_branch .LBB160_87
.LBB160_91:
	s_endpgm
	.section	.rodata,"a",@progbits
	.p2align	6, 0x0
	.amdhsa_kernel _ZN9rocsparseL38bsrgemm_block_per_row_atomic_multipassILj256ELj16ELj8Ell21rocsparse_complex_numIdEEEv20rocsparse_direction_T3_S4_PKS4_S6_NS_24const_host_device_scalarIT4_EEPKT2_S6_PKS8_SC_S6_SE_S9_SC_S6_SE_SC_PS4_PS8_PSA_21rocsparse_index_base_SI_SI_SI_bbb
		.amdhsa_group_segment_fixed_size 20552
		.amdhsa_private_segment_fixed_size 24
		.amdhsa_kernarg_size 196
		.amdhsa_user_sgpr_count 8
		.amdhsa_user_sgpr_private_segment_buffer 1
		.amdhsa_user_sgpr_dispatch_ptr 0
		.amdhsa_user_sgpr_queue_ptr 0
		.amdhsa_user_sgpr_kernarg_segment_ptr 1
		.amdhsa_user_sgpr_dispatch_id 0
		.amdhsa_user_sgpr_flat_scratch_init 1
		.amdhsa_user_sgpr_kernarg_preload_length 0
		.amdhsa_user_sgpr_kernarg_preload_offset 0
		.amdhsa_user_sgpr_private_segment_size 0
		.amdhsa_uses_dynamic_stack 0
		.amdhsa_system_sgpr_private_segment_wavefront_offset 1
		.amdhsa_system_sgpr_workgroup_id_x 1
		.amdhsa_system_sgpr_workgroup_id_y 0
		.amdhsa_system_sgpr_workgroup_id_z 0
		.amdhsa_system_sgpr_workgroup_info 0
		.amdhsa_system_vgpr_workitem_id 0
		.amdhsa_next_free_vgpr 78
		.amdhsa_next_free_sgpr 95
		.amdhsa_accum_offset 80
		.amdhsa_reserve_vcc 1
		.amdhsa_reserve_flat_scratch 1
		.amdhsa_float_round_mode_32 0
		.amdhsa_float_round_mode_16_64 0
		.amdhsa_float_denorm_mode_32 3
		.amdhsa_float_denorm_mode_16_64 3
		.amdhsa_dx10_clamp 1
		.amdhsa_ieee_mode 1
		.amdhsa_fp16_overflow 0
		.amdhsa_tg_split 0
		.amdhsa_exception_fp_ieee_invalid_op 0
		.amdhsa_exception_fp_denorm_src 0
		.amdhsa_exception_fp_ieee_div_zero 0
		.amdhsa_exception_fp_ieee_overflow 0
		.amdhsa_exception_fp_ieee_underflow 0
		.amdhsa_exception_fp_ieee_inexact 0
		.amdhsa_exception_int_div_zero 0
	.end_amdhsa_kernel
	.section	.text._ZN9rocsparseL38bsrgemm_block_per_row_atomic_multipassILj256ELj16ELj8Ell21rocsparse_complex_numIdEEEv20rocsparse_direction_T3_S4_PKS4_S6_NS_24const_host_device_scalarIT4_EEPKT2_S6_PKS8_SC_S6_SE_S9_SC_S6_SE_SC_PS4_PS8_PSA_21rocsparse_index_base_SI_SI_SI_bbb,"axG",@progbits,_ZN9rocsparseL38bsrgemm_block_per_row_atomic_multipassILj256ELj16ELj8Ell21rocsparse_complex_numIdEEEv20rocsparse_direction_T3_S4_PKS4_S6_NS_24const_host_device_scalarIT4_EEPKT2_S6_PKS8_SC_S6_SE_S9_SC_S6_SE_SC_PS4_PS8_PSA_21rocsparse_index_base_SI_SI_SI_bbb,comdat
.Lfunc_end160:
	.size	_ZN9rocsparseL38bsrgemm_block_per_row_atomic_multipassILj256ELj16ELj8Ell21rocsparse_complex_numIdEEEv20rocsparse_direction_T3_S4_PKS4_S6_NS_24const_host_device_scalarIT4_EEPKT2_S6_PKS8_SC_S6_SE_S9_SC_S6_SE_SC_PS4_PS8_PSA_21rocsparse_index_base_SI_SI_SI_bbb, .Lfunc_end160-_ZN9rocsparseL38bsrgemm_block_per_row_atomic_multipassILj256ELj16ELj8Ell21rocsparse_complex_numIdEEEv20rocsparse_direction_T3_S4_PKS4_S6_NS_24const_host_device_scalarIT4_EEPKT2_S6_PKS8_SC_S6_SE_S9_SC_S6_SE_SC_PS4_PS8_PSA_21rocsparse_index_base_SI_SI_SI_bbb
                                        ; -- End function
	.section	.AMDGPU.csdata,"",@progbits
; Kernel info:
; codeLenInByte = 3744
; NumSgprs: 101
; NumVgprs: 78
; NumAgprs: 0
; TotalNumVgprs: 78
; ScratchSize: 24
; MemoryBound: 0
; FloatMode: 240
; IeeeMode: 1
; LDSByteSize: 20552 bytes/workgroup (compile time only)
; SGPRBlocks: 12
; VGPRBlocks: 9
; NumSGPRsForWavesPerEU: 101
; NumVGPRsForWavesPerEU: 78
; AccumOffset: 80
; Occupancy: 3
; WaveLimiterHint : 1
; COMPUTE_PGM_RSRC2:SCRATCH_EN: 1
; COMPUTE_PGM_RSRC2:USER_SGPR: 8
; COMPUTE_PGM_RSRC2:TRAP_HANDLER: 0
; COMPUTE_PGM_RSRC2:TGID_X_EN: 1
; COMPUTE_PGM_RSRC2:TGID_Y_EN: 0
; COMPUTE_PGM_RSRC2:TGID_Z_EN: 0
; COMPUTE_PGM_RSRC2:TIDIG_COMP_CNT: 0
; COMPUTE_PGM_RSRC3_GFX90A:ACCUM_OFFSET: 19
; COMPUTE_PGM_RSRC3_GFX90A:TG_SPLIT: 0
	.section	.text._ZN9rocsparseL38bsrgemm_block_per_row_atomic_multipassILj256ELj32ELj8Ell21rocsparse_complex_numIdEEEv20rocsparse_direction_T3_S4_PKS4_S6_NS_24const_host_device_scalarIT4_EEPKT2_S6_PKS8_SC_S6_SE_S9_SC_S6_SE_SC_PS4_PS8_PSA_21rocsparse_index_base_SI_SI_SI_bbb,"axG",@progbits,_ZN9rocsparseL38bsrgemm_block_per_row_atomic_multipassILj256ELj32ELj8Ell21rocsparse_complex_numIdEEEv20rocsparse_direction_T3_S4_PKS4_S6_NS_24const_host_device_scalarIT4_EEPKT2_S6_PKS8_SC_S6_SE_S9_SC_S6_SE_SC_PS4_PS8_PSA_21rocsparse_index_base_SI_SI_SI_bbb,comdat
	.globl	_ZN9rocsparseL38bsrgemm_block_per_row_atomic_multipassILj256ELj32ELj8Ell21rocsparse_complex_numIdEEEv20rocsparse_direction_T3_S4_PKS4_S6_NS_24const_host_device_scalarIT4_EEPKT2_S6_PKS8_SC_S6_SE_S9_SC_S6_SE_SC_PS4_PS8_PSA_21rocsparse_index_base_SI_SI_SI_bbb ; -- Begin function _ZN9rocsparseL38bsrgemm_block_per_row_atomic_multipassILj256ELj32ELj8Ell21rocsparse_complex_numIdEEEv20rocsparse_direction_T3_S4_PKS4_S6_NS_24const_host_device_scalarIT4_EEPKT2_S6_PKS8_SC_S6_SE_S9_SC_S6_SE_SC_PS4_PS8_PSA_21rocsparse_index_base_SI_SI_SI_bbb
	.p2align	8
	.type	_ZN9rocsparseL38bsrgemm_block_per_row_atomic_multipassILj256ELj32ELj8Ell21rocsparse_complex_numIdEEEv20rocsparse_direction_T3_S4_PKS4_S6_NS_24const_host_device_scalarIT4_EEPKT2_S6_PKS8_SC_S6_SE_S9_SC_S6_SE_SC_PS4_PS8_PSA_21rocsparse_index_base_SI_SI_SI_bbb,@function
_ZN9rocsparseL38bsrgemm_block_per_row_atomic_multipassILj256ELj32ELj8Ell21rocsparse_complex_numIdEEEv20rocsparse_direction_T3_S4_PKS4_S6_NS_24const_host_device_scalarIT4_EEPKT2_S6_PKS8_SC_S6_SE_S9_SC_S6_SE_SC_PS4_PS8_PSA_21rocsparse_index_base_SI_SI_SI_bbb: ; @_ZN9rocsparseL38bsrgemm_block_per_row_atomic_multipassILj256ELj32ELj8Ell21rocsparse_complex_numIdEEEv20rocsparse_direction_T3_S4_PKS4_S6_NS_24const_host_device_scalarIT4_EEPKT2_S6_PKS8_SC_S6_SE_S9_SC_S6_SE_SC_PS4_PS8_PSA_21rocsparse_index_base_SI_SI_SI_bbb
; %bb.0:
	s_load_dword s9, s[6:7], 0xc0
	s_load_dwordx4 s[44:47], s[6:7], 0xb0
	s_load_dwordx4 s[16:19], s[6:7], 0x28
	;; [unrolled: 1-line block ×3, first 2 shown]
	v_and_b32_e32 v1, 0x3ff, v0
	s_load_dwordx2 s[4:5], s[4:5], 0x4
	s_waitcnt lgkmcnt(0)
	s_bitcmp1_b32 s9, 0
	s_cselect_b64 s[60:61], -1, 0
	s_bitcmp1_b32 s9, 16
	s_cselect_b64 s[0:1], -1, 0
	s_lshr_b32 s4, s4, 16
	s_mul_i32 s4, s4, s5
	v_mul_lo_u32 v2, s4, v1
	v_bfe_u32 v3, v0, 10, 10
	v_mad_u32_u24 v2, v3, s5, v2
	v_bfe_u32 v0, v0, 20, 10
	s_xor_b64 s[2:3], s[0:1], -1
	v_add_lshl_u32 v0, v2, v0, 3
	v_pk_mov_b32 v[10:11], 0, 0
	v_pk_mov_b32 v[2:3], s[16:17], s[16:17] op_sel:[0,1]
	v_pk_mov_b32 v[4:5], s[12:13], s[12:13] op_sel:[0,1]
	v_add_u32_e32 v6, 0x88, v0
	s_bitcmp0_b32 s9, 0
	v_pk_mov_b32 v[8:9], v[10:11], v[10:11] op_sel:[0,1]
	v_pk_mov_b32 v[12:13], v[10:11], v[10:11] op_sel:[0,1]
	ds_write2st64_b64 v6, v[4:5], v[2:3] offset0:72 offset1:76
	s_cbranch_scc1 .LBB161_3
; %bb.1:
	s_mov_b64 s[4:5], src_shared_base
	s_and_b64 s[10:11], s[0:1], exec
	v_add_u32_e32 v2, 0x9888, v0
	s_cselect_b32 s4, s5, s17
	v_mov_b32_e32 v3, s16
	v_cndmask_b32_e64 v2, v3, v2, s[0:1]
	v_mov_b32_e32 v3, s4
	flat_load_dwordx2 v[8:9], v[2:3]
	s_andn2_b64 vcc, exec, s[2:3]
	v_pk_mov_b32 v[12:13], s[18:19], s[18:19] op_sel:[0,1]
	s_cbranch_vccnz .LBB161_3
; %bb.2:
	v_pk_mov_b32 v[2:3], s[16:17], s[16:17] op_sel:[0,1]
	flat_load_dwordx2 v[12:13], v[2:3] offset:8
.LBB161_3:
	s_load_dwordx2 s[4:5], s[6:7], 0x20
	s_bitcmp1_b32 s9, 8
	s_cselect_b64 s[34:35], -1, 0
	s_bfe_u32 s9, s9, 0x10008
	s_cmp_eq_u32 s9, 0
	v_pk_mov_b32 v[14:15], v[10:11], v[10:11] op_sel:[0,1]
	s_cbranch_scc1 .LBB161_6
; %bb.4:
	s_mov_b64 s[10:11], src_shared_base
	s_and_b64 s[16:17], s[0:1], exec
	v_add_u32_e32 v0, 0x9088, v0
	s_cselect_b32 s9, s11, s13
	v_mov_b32_e32 v2, s12
	v_cndmask_b32_e64 v2, v2, v0, s[0:1]
	v_mov_b32_e32 v3, s9
	flat_load_dwordx2 v[14:15], v[2:3]
	s_andn2_b64 vcc, exec, s[2:3]
	v_pk_mov_b32 v[10:11], s[14:15], s[14:15] op_sel:[0,1]
	s_cbranch_vccnz .LBB161_6
; %bb.5:
	v_pk_mov_b32 v[2:3], s[12:13], s[12:13] op_sel:[0,1]
	flat_load_dwordx2 v[10:11], v[2:3] offset:8
.LBB161_6:
	s_load_dwordx2 s[2:3], s[6:7], 0x38
	s_waitcnt lgkmcnt(0)
	s_cmp_eq_u64 s[4:5], 0
	s_mov_b32 s9, 0
	s_cbranch_scc1 .LBB161_8
; %bb.7:
	s_load_dwordx2 s[0:1], s[6:7], 0x18
	s_waitcnt lgkmcnt(0)
	s_load_dwordx2 s[0:1], s[0:1], 0x0
	s_waitcnt lgkmcnt(0)
	s_lshl_b64 s[0:1], s[0:1], 3
	s_add_u32 s4, s4, s0
	s_addc_u32 s5, s5, s1
	s_lshl_b64 s[0:1], s[8:9], 3
	s_add_u32 s0, s4, s0
	s_addc_u32 s1, s5, s1
	s_load_dwordx2 s[8:9], s[0:1], 0x0
.LBB161_8:
	v_cndmask_b32_e64 v0, 0, 1, s[60:61]
	s_mov_b64 s[52:53], 0
	v_cmp_ne_u32_e64 s[0:1], 1, v0
	s_andn2_b64 vcc, exec, s[60:61]
	s_mov_b64 s[54:55], 0
	s_cbranch_vccz .LBB161_11
; %bb.9:
	s_and_b64 vcc, exec, s[0:1]
	s_cbranch_vccz .LBB161_12
.LBB161_10:
	s_load_dwordx4 s[48:51], s[6:7], 0x8
	s_waitcnt lgkmcnt(0)
	v_cmp_lt_i64_e64 s[0:1], s[48:49], 1
	s_and_b64 vcc, exec, s[0:1]
	s_cbranch_vccz .LBB161_13
	s_branch .LBB161_93
.LBB161_11:
	s_waitcnt lgkmcnt(0)
	s_lshl_b64 s[4:5], s[8:9], 3
	s_add_u32 s4, s2, s4
	s_addc_u32 s5, s3, s5
	s_load_dwordx2 s[4:5], s[4:5], 0x0
	s_waitcnt lgkmcnt(0)
	s_sub_u32 s54, s4, s44
	s_subb_u32 s55, s5, 0
	s_and_b64 vcc, exec, s[0:1]
	s_cbranch_vccnz .LBB161_10
.LBB161_12:
	s_waitcnt lgkmcnt(0)
	s_lshl_b64 s[0:1], s[8:9], 3
	s_add_u32 s0, s2, s0
	s_addc_u32 s1, s3, s1
	s_load_dwordx2 s[0:1], s[0:1], 0x8
	s_waitcnt lgkmcnt(0)
	s_sub_u32 s52, s0, s44
	s_subb_u32 s53, s1, 0
	s_load_dwordx4 s[48:51], s[6:7], 0x8
	s_waitcnt lgkmcnt(0)
	v_cmp_lt_i64_e64 s[0:1], s[48:49], 1
	s_and_b64 vcc, exec, s[0:1]
	s_cbranch_vccnz .LBB161_93
.LBB161_13:
	s_load_dwordx2 s[56:57], s[6:7], 0xa8
	s_load_dwordx4 s[20:23], s[6:7], 0x98
	s_load_dwordx8 s[24:31], s[6:7], 0x78
	s_load_dwordx2 s[62:63], s[6:7], 0x60
	s_load_dwordx8 s[36:43], s[6:7], 0x40
	s_lshl_b64 s[12:13], s[8:9], 3
	s_mul_i32 s4, s50, s51
	s_waitcnt lgkmcnt(0)
	s_add_u32 s0, s30, s12
	s_addc_u32 s1, s31, s13
	s_load_dwordx2 s[0:1], s[0:1], 0x0
	s_mul_hi_u32 s5, s50, s50
	v_bfe_u32 v2, v1, 3, 3
	v_and_b32_e32 v18, 7, v1
	v_lshlrev_b32_e32 v22, 4, v18
	s_waitcnt lgkmcnt(0)
	s_sub_u32 s72, s0, s46
	s_subb_u32 s73, s1, 0
	s_add_i32 s5, s5, s4
	s_add_i32 s31, s5, s4
	v_mad_u64_u32 v[4:5], s[4:5], v2, s50, 0
	v_mov_b32_e32 v6, v5
	v_mad_u64_u32 v[6:7], s[4:5], v2, s51, v[6:7]
	v_mov_b32_e32 v5, v6
	v_lshlrev_b64 v[4:5], 4, v[4:5]
	v_mov_b32_e32 v6, s39
	v_add_co_u32_e64 v7, s[4:5], s38, v4
	v_addc_co_u32_e64 v6, s[4:5], v6, v5, s[4:5]
	v_mov_b32_e32 v0, 0
	v_add_co_u32_e64 v53, s[4:5], v7, v22
	v_mov_b32_e32 v19, v0
	v_mov_b32_e32 v3, v0
	v_addc_co_u32_e64 v54, s[4:5], 0, v6, s[4:5]
	v_cmp_gt_i64_e64 s[10:11], s[50:51], v[18:19]
	v_cmp_gt_i64_e64 s[4:5], s[50:51], v[2:3]
	s_and_b64 s[38:39], s[10:11], s[4:5]
	v_mad_u64_u32 v[6:7], s[4:5], v18, s50, 0
	v_lshlrev_b32_e32 v25, 4, v1
	v_mov_b32_e32 v24, v7
	v_mad_u64_u32 v[26:27], s[4:5], v18, s51, v[24:25]
	v_mov_b32_e32 v7, v26
	v_lshlrev_b64 v[6:7], 4, v[6:7]
	v_cmp_gt_u64_e64 s[8:9], s[50:51], v[2:3]
	v_lshlrev_b64 v[26:27], 4, v[2:3]
	v_mov_b32_e32 v3, s23
	v_add_co_u32_e64 v19, s[4:5], s22, v6
	v_addc_co_u32_e64 v24, s[4:5], v3, v7, s[4:5]
	v_add_co_u32_e64 v29, s[4:5], v19, v26
	v_addc_co_u32_e64 v19, s[4:5], v24, v27, s[4:5]
	v_add_co_u32_e64 v24, s[4:5], s22, v4
	v_addc_co_u32_e64 v3, s[4:5], v3, v5, s[4:5]
	s_load_dword s6, s[6:7], 0x0
	v_add_co_u32_e64 v24, s[4:5], v24, v22
	v_lshrrev_b32_e32 v16, 6, v1
	v_addc_co_u32_e64 v3, s[4:5], 0, v3, s[4:5]
	v_subrev_co_u32_e64 v56, s[4:5], s47, v16
	v_subb_co_u32_e64 v57, s[4:5], 0, 0, s[4:5]
	v_mov_b32_e32 v30, s29
	v_add_co_u32_e64 v6, s[4:5], s28, v6
	s_waitcnt lgkmcnt(0)
	s_cmp_eq_u32 s6, 0
	v_addc_co_u32_e64 v7, s[4:5], v30, v7, s[4:5]
	v_pk_mov_b32 v[20:21], s[52:53], s[52:53] op_sel:[0,1]
	s_cselect_b64 s[18:19], -1, 0
	s_cmp_lg_u32 s6, 0
	v_add_co_u32_e64 v6, s[4:5], v6, v26
	v_cmp_lt_i64_e32 vcc, s[54:55], v[20:21]
	s_cselect_b64 s[58:59], -1, 0
	s_add_u32 s24, s24, s12
	v_addc_co_u32_e64 v7, s[4:5], v7, v27, s[4:5]
	s_addc_u32 s25, s25, s13
	v_add_co_u32_e64 v4, s[4:5], s28, v4
	s_and_b64 s[28:29], s[60:61], vcc
	s_and_b64 s[60:61], s[10:11], s[8:9]
	s_mov_b32 s89, s47
	v_addc_co_u32_e64 v5, s[4:5], v30, v5, s[4:5]
	s_add_u32 s47, s40, 8
	v_add_co_u32_e64 v4, s[4:5], v4, v22
	s_addc_u32 s91, s41, 0
	v_addc_co_u32_e64 v5, s[4:5], 0, v5, s[4:5]
	v_mov_b32_e32 v30, 0x9000
	s_add_u32 s92, s20, -8
	v_and_b32_e32 v28, 63, v1
	v_cmp_gt_u32_e64 s[0:1], 32, v1
	v_cmp_eq_u32_e64 s[2:3], 0, v1
	v_and_b32_e32 v55, 56, v1
	v_and_b32_e32 v26, 31, v1
	v_lshl_or_b32 v60, v1, 2, v30
	v_cndmask_b32_e64 v19, v19, v3, s[18:19]
	v_cndmask_b32_e64 v24, v29, v24, s[18:19]
	;; [unrolled: 1-line block ×4, first 2 shown]
	v_or_b32_e32 v1, 0x400, v1
	s_movk_i32 s18, 0x700
	s_addc_u32 s93, s21, -1
	v_cmp_gt_u32_e64 s[18:19], s18, v1
	s_add_u32 s62, s62, 8
	v_lshlrev_b32_e32 v1, 4, v2
	s_addc_u32 s63, s63, 0
	v_lshl_or_b32 v1, v16, 10, v1
	v_cmp_eq_u32_e64 s[4:5], 63, v28
	v_lshlrev_b32_e32 v27, 2, v26
	v_add_co_u32_e64 v28, s[6:7], -1, v26
	v_cmp_ne_u32_e64 s[8:9], 0, v26
	v_cmp_lt_u32_e64 s[10:11], 1, v26
	v_cmp_lt_u32_e64 s[12:13], 3, v26
	;; [unrolled: 1-line block ×4, first 2 shown]
	v_add_u32_e32 v65, 0x8000, v1
	v_mov_b32_e32 v1, s63
	v_add_co_u32_e32 v26, vcc, s62, v22
	v_or_b32_e32 v58, 0x9000, v27
	v_add_u32_e32 v61, 0x8ff8, v27
	v_add_u32_e32 v62, 0x8ff0, v27
	;; [unrolled: 1-line block ×4, first 2 shown]
	v_addc_co_u32_e32 v27, vcc, 0, v1, vcc
	s_mov_b32 s33, 0
	v_lshl_add_u32 v59, v28, 2, v30
	v_add_co_u32_e32 v28, vcc, 8, v4
	v_addc_co_u32_e32 v29, vcc, 0, v3, vcc
	s_mov_b32 s20, s33
	s_mov_b32 s21, s33
	s_mul_i32 s30, s50, s50
	s_lshl_b64 s[64:65], s[50:51], 4
	v_and_b32_e32 v1, 0xf80, v25
	v_add_co_u32_e32 v67, vcc, 4, v56
	v_mov_b32_e32 v32, 32
	s_mov_b32 s22, s33
	s_mov_b32 s23, s33
	v_pk_mov_b32 v[4:5], s[20:21], s[20:21] op_sel:[0,1]
	v_mov_b32_e32 v17, v0
	v_or_b32_e32 v52, 0x8000, v25
	v_mov_b32_e32 v23, v0
	s_mov_b32 s88, s33
	s_mov_b32 s90, s33
	s_lshl_b64 s[66:67], s[30:31], 4
	v_or_b32_e32 v66, 0x8000, v1
	s_lshl_b64 s[68:69], s[30:31], 6
	v_addc_co_u32_e32 v68, vcc, 0, v57, vcc
	v_lshl_or_b32 v69, v16, 2, v30
	s_mov_b64 s[70:71], 0
	v_mov_b32_e32 v33, 0
	v_pk_mov_b32 v[30:31], s[72:73], s[72:73] op_sel:[0,1]
	v_pk_mov_b32 v[6:7], s[22:23], s[22:23] op_sel:[0,1]
	v_mov_b32_e32 v70, 1
	v_mov_b32_e32 v71, s65
	s_branch .LBB161_15
.LBB161_14:                             ;   in Loop: Header=BB161_15 Depth=1
	s_or_b64 exec, exec, s[20:21]
	s_barrier
	ds_read_b64 v[2:3], v0 offset:36992
	v_ashrrev_i32_e32 v1, 31, v33
	v_add_co_u32_e32 v30, vcc, v30, v33
	v_addc_co_u32_e32 v31, vcc, v31, v1, vcc
	s_waitcnt lgkmcnt(0)
	v_add_co_u32_e32 v32, vcc, 32, v2
	v_addc_co_u32_e32 v33, vcc, 0, v3, vcc
	v_cmp_le_i64_e32 vcc, s[48:49], v[2:3]
	v_readfirstlane_b32 s70, v2
	v_readfirstlane_b32 s71, v3
	s_barrier
	s_cbranch_vccnz .LBB161_93
.LBB161_15:                             ; =>This Loop Header: Depth=1
                                        ;     Child Loop BB161_24 Depth 2
                                        ;       Child Loop BB161_40 Depth 3
                                        ;         Child Loop BB161_52 Depth 4
                                        ;         Child Loop BB161_48 Depth 4
                                        ;     Child Loop BB161_62 Depth 2
                                        ;     Child Loop BB161_71 Depth 2
	;; [unrolled: 1-line block ×3, first 2 shown]
	s_and_saveexec_b64 s[20:21], s[0:1]
	s_cbranch_execz .LBB161_17
; %bb.16:                               ;   in Loop: Header=BB161_15 Depth=1
	ds_write_b32 v60, v0
.LBB161_17:                             ;   in Loop: Header=BB161_15 Depth=1
	s_or_b64 exec, exec, s[20:21]
	ds_write_b128 v25, v[4:7]
	ds_write_b128 v25, v[4:7] offset:4096
	ds_write_b128 v25, v[4:7] offset:8192
	;; [unrolled: 1-line block ×4, first 2 shown]
	s_and_saveexec_b64 s[20:21], s[18:19]
	s_xor_b64 s[20:21], exec, s[20:21]
	s_cbranch_execz .LBB161_19
; %bb.18:                               ;   in Loop: Header=BB161_15 Depth=1
	ds_write_b128 v25, v[4:7] offset:20480
	ds_write_b128 v25, v[4:7] offset:24576
	;; [unrolled: 1-line block ×3, first 2 shown]
.LBB161_19:                             ;   in Loop: Header=BB161_15 Depth=1
	s_or_b64 exec, exec, s[20:21]
	s_and_saveexec_b64 s[20:21], s[2:3]
	s_cbranch_execz .LBB161_21
; %bb.20:                               ;   in Loop: Header=BB161_15 Depth=1
	v_pk_mov_b32 v[2:3], s[48:49], s[48:49] op_sel:[0,1]
	ds_write_b64 v0, v[2:3] offset:36992
.LBB161_21:                             ;   in Loop: Header=BB161_15 Depth=1
	s_or_b64 exec, exec, s[20:21]
	s_andn2_b64 vcc, exec, s[28:29]
	v_pk_mov_b32 v[34:35], s[48:49], s[48:49] op_sel:[0,1]
	s_waitcnt lgkmcnt(0)
	s_barrier
	s_cbranch_vccnz .LBB161_57
; %bb.22:                               ;   in Loop: Header=BB161_15 Depth=1
	s_cmp_lg_u64 s[70:71], 0
	s_cselect_b64 s[72:73], -1, 0
	v_pk_mov_b32 v[34:35], s[48:49], s[48:49] op_sel:[0,1]
	s_mov_b64 s[74:75], s[54:55]
	s_branch .LBB161_24
.LBB161_23:                             ;   in Loop: Header=BB161_24 Depth=2
	s_or_b64 exec, exec, s[22:23]
	s_add_u32 s74, s74, 4
	s_addc_u32 s75, s75, 0
	v_cmp_lt_i64_e32 vcc, s[74:75], v[20:21]
	s_cbranch_vccz .LBB161_57
.LBB161_24:                             ;   Parent Loop BB161_15 Depth=1
                                        ; =>  This Loop Header: Depth=2
                                        ;       Child Loop BB161_40 Depth 3
                                        ;         Child Loop BB161_52 Depth 4
                                        ;         Child Loop BB161_48 Depth 4
	v_mov_b32_e32 v1, s75
	v_add_co_u32_e32 v38, vcc, s74, v16
	v_addc_co_u32_e32 v39, vcc, 0, v1, vcc
	v_cmp_gt_i64_e64 s[20:21], s[52:53], v[38:39]
	s_barrier
	s_and_saveexec_b64 s[22:23], s[20:21]
	s_cbranch_execz .LBB161_29
; %bb.25:                               ;   in Loop: Header=BB161_24 Depth=2
	s_and_saveexec_b64 s[76:77], s[60:61]
	s_xor_b64 s[76:77], exec, s[76:77]
	s_cbranch_execz .LBB161_27
; %bb.26:                               ;   in Loop: Header=BB161_24 Depth=2
	v_mul_lo_u32 v1, v39, s30
	v_mul_lo_u32 v36, v38, s31
	v_mad_u64_u32 v[2:3], s[78:79], v38, s30, 0
	v_add3_u32 v3, v3, v36, v1
	v_lshlrev_b64 v[2:3], 4, v[2:3]
	v_add_co_u32_e32 v2, vcc, v53, v2
	v_addc_co_u32_e32 v3, vcc, v54, v3, vcc
	global_load_dwordx4 v[40:43], v[2:3], off
	s_waitcnt vmcnt(0)
	ds_write2_b64 v52, v[40:41], v[42:43] offset1:1
.LBB161_27:                             ;   in Loop: Header=BB161_24 Depth=2
	s_andn2_saveexec_b64 s[76:77], s[76:77]
	s_cbranch_execz .LBB161_29
; %bb.28:                               ;   in Loop: Header=BB161_24 Depth=2
	v_mov_b32_e32 v1, v0
	v_mov_b32_e32 v2, v0
	;; [unrolled: 1-line block ×3, first 2 shown]
	ds_write_b128 v52, v[0:3]
.LBB161_29:                             ;   in Loop: Header=BB161_24 Depth=2
	s_or_b64 exec, exec, s[22:23]
	v_pk_mov_b32 v[36:37], 0, 0
	v_lshlrev_b64 v[2:3], 3, v[38:39]
	s_waitcnt lgkmcnt(0)
	s_barrier
	s_and_saveexec_b64 s[76:77], s[20:21]
	s_cbranch_execz .LBB161_55
; %bb.30:                               ;   in Loop: Header=BB161_24 Depth=2
	v_mov_b32_e32 v1, s37
	v_add_co_u32_e32 v36, vcc, s36, v2
	v_addc_co_u32_e32 v37, vcc, v1, v3, vcc
	global_load_dwordx2 v[38:39], v[36:37], off
	s_and_b64 vcc, exec, s[72:73]
	s_cbranch_vccz .LBB161_32
; %bb.31:                               ;   in Loop: Header=BB161_24 Depth=2
	v_mov_b32_e32 v1, s57
	v_add_co_u32_e32 v36, vcc, s56, v2
	v_addc_co_u32_e32 v37, vcc, v1, v3, vcc
	global_load_dwordx2 v[36:37], v[36:37], off
	s_mov_b64 s[22:23], 0
	s_branch .LBB161_33
.LBB161_32:                             ;   in Loop: Header=BB161_24 Depth=2
	s_mov_b64 s[22:23], -1
                                        ; implicit-def: $vgpr36_vgpr37
.LBB161_33:                             ;   in Loop: Header=BB161_24 Depth=2
	v_mov_b32_e32 v1, s88
	s_waitcnt vmcnt(0)
	v_subrev_co_u32_e32 v38, vcc, s44, v38
	v_subb_co_u32_e32 v39, vcc, v39, v1, vcc
	s_andn2_b64 vcc, exec, s[22:23]
	v_lshlrev_b64 v[38:39], 3, v[38:39]
	s_cbranch_vccnz .LBB161_35
; %bb.34:                               ;   in Loop: Header=BB161_24 Depth=2
	v_mov_b32_e32 v1, s41
	v_add_co_u32_e32 v36, vcc, s40, v38
	v_addc_co_u32_e32 v37, vcc, v1, v39, vcc
	global_load_dwordx2 v[36:37], v[36:37], off
	v_mov_b32_e32 v1, s33
	s_waitcnt vmcnt(0)
	v_subrev_co_u32_e32 v36, vcc, s45, v36
	v_subb_co_u32_e32 v37, vcc, v37, v1, vcc
.LBB161_35:                             ;   in Loop: Header=BB161_24 Depth=2
	v_mov_b32_e32 v1, s91
	v_add_co_u32_e32 v38, vcc, s47, v38
	v_addc_co_u32_e32 v39, vcc, v1, v39, vcc
	global_load_dwordx2 v[38:39], v[38:39], off
	v_mov_b32_e32 v1, s33
	s_waitcnt vmcnt(0)
	v_subrev_co_u32_e32 v38, vcc, s45, v38
	v_subb_co_u32_e32 v39, vcc, v39, v1, vcc
	v_cmp_lt_i64_e32 vcc, v[36:37], v[38:39]
	s_and_saveexec_b64 s[78:79], vcc
	s_cbranch_execz .LBB161_54
; %bb.36:                               ;   in Loop: Header=BB161_24 Depth=2
	v_mad_u64_u32 v[40:41], s[22:23], s64, v36, v[22:23]
	v_mul_lo_u32 v1, s64, v37
	v_mul_lo_u32 v42, s65, v36
	v_add3_u32 v1, v42, v41, v1
	v_pk_mov_b32 v[42:43], s[62:63], s[62:63] op_sel:[0,1]
	v_mul_lo_u32 v44, s51, v40
	v_mul_lo_u32 v1, s50, v1
	v_mad_u64_u32 v[40:41], s[22:23], s50, v40, v[42:43]
	v_add3_u32 v41, v44, v41, v1
	v_mad_u64_u32 v[42:43], s[22:23], s66, v36, v[26:27]
	v_mul_lo_u32 v1, s66, v37
	v_mul_lo_u32 v44, s67, v36
	v_add3_u32 v43, v44, v43, v1
	s_mov_b64 s[80:81], 0
	v_pk_mov_b32 v[44:45], v[36:37], v[36:37] op_sel:[0,1]
	s_branch .LBB161_40
.LBB161_37:                             ;   in Loop: Header=BB161_40 Depth=3
	v_lshlrev_b32_e32 v1, 6, v1
	v_or3_b32 v1, v1, v55, v18
	v_mul_f64 v[50:51], v[48:49], -v[12:13]
	v_lshlrev_b32_e32 v1, 4, v1
	v_fmac_f64_e32 v[50:51], v[8:9], v[46:47]
	v_mul_f64 v[48:49], v[8:9], v[48:49]
	v_fmac_f64_e32 v[48:49], v[12:13], v[46:47]
	ds_add_f64 v1, v[50:51]
	ds_add_f64 v1, v[48:49] offset:8
.LBB161_38:                             ;   in Loop: Header=BB161_40 Depth=3
	s_or_b64 exec, exec, s[84:85]
	s_or_b64 s[22:23], s[22:23], exec
.LBB161_39:                             ;   in Loop: Header=BB161_40 Depth=3
	s_or_b64 exec, exec, s[82:83]
	v_add_co_u32_e32 v44, vcc, 1, v44
	v_addc_co_u32_e32 v45, vcc, 0, v45, vcc
	v_cmp_ge_i64_e32 vcc, v[44:45], v[38:39]
	s_xor_b64 s[22:23], s[22:23], -1
	s_or_b64 s[22:23], s[22:23], vcc
	v_mov_b32_e32 v1, s67
	v_add_co_u32_e32 v40, vcc, s66, v40
	v_addc_co_u32_e32 v41, vcc, v41, v1, vcc
	s_and_b64 s[22:23], exec, s[22:23]
	v_add_co_u32_e32 v42, vcc, s66, v42
	s_or_b64 s[80:81], s[22:23], s[80:81]
	v_addc_co_u32_e32 v43, vcc, v43, v1, vcc
	s_andn2_b64 exec, exec, s[80:81]
	s_cbranch_execz .LBB161_53
.LBB161_40:                             ;   Parent Loop BB161_15 Depth=1
                                        ;     Parent Loop BB161_24 Depth=2
                                        ; =>    This Loop Header: Depth=3
                                        ;         Child Loop BB161_52 Depth 4
                                        ;         Child Loop BB161_48 Depth 4
	v_lshlrev_b64 v[46:47], 3, v[44:45]
	v_mov_b32_e32 v1, s43
	v_add_co_u32_e32 v46, vcc, s42, v46
	v_addc_co_u32_e32 v47, vcc, v1, v47, vcc
	global_load_dwordx2 v[46:47], v[46:47], off
	v_mov_b32_e32 v1, s33
	s_waitcnt vmcnt(0)
	v_subrev_co_u32_e32 v46, vcc, s45, v46
	v_subb_co_u32_e32 v47, vcc, v47, v1, vcc
	v_cmp_gt_i64_e64 s[22:23], s[70:71], v[46:47]
	v_cmp_ge_i64_e32 vcc, v[46:47], v[32:33]
	s_or_b64 s[82:83], s[22:23], vcc
                                        ; implicit-def: $sgpr22_sgpr23
	s_and_saveexec_b64 s[84:85], s[82:83]
	s_xor_b64 s[82:83], exec, s[84:85]
	s_cbranch_execz .LBB161_44
; %bb.41:                               ;   in Loop: Header=BB161_40 Depth=3
	s_mov_b64 s[22:23], -1
	s_and_saveexec_b64 s[84:85], vcc
; %bb.42:                               ;   in Loop: Header=BB161_40 Depth=3
	v_cmp_lt_i64_e32 vcc, v[46:47], v[34:35]
	v_cndmask_b32_e32 v35, v35, v47, vcc
	v_cndmask_b32_e32 v34, v34, v46, vcc
	s_xor_b64 s[22:23], exec, -1
	v_pk_mov_b32 v[36:37], v[44:45], v[44:45] op_sel:[0,1]
; %bb.43:                               ;   in Loop: Header=BB161_40 Depth=3
	s_or_b64 exec, exec, s[84:85]
	s_and_b64 s[22:23], s[22:23], exec
                                        ; implicit-def: $vgpr46_vgpr47
.LBB161_44:                             ;   in Loop: Header=BB161_40 Depth=3
	s_andn2_saveexec_b64 s[82:83], s[82:83]
	s_cbranch_execz .LBB161_39
; %bb.45:                               ;   in Loop: Header=BB161_40 Depth=3
	v_subrev_u32_e32 v1, s70, v46
	v_lshlrev_b32_e32 v46, 2, v1
	ds_write_b32 v46, v70 offset:36864
	s_and_saveexec_b64 s[84:85], s[38:39]
	s_cbranch_execz .LBB161_38
; %bb.46:                               ;   in Loop: Header=BB161_40 Depth=3
	s_andn2_b64 vcc, exec, s[58:59]
	s_cbranch_vccnz .LBB161_50
; %bb.47:                               ;   in Loop: Header=BB161_40 Depth=3
	v_pk_mov_b32 v[46:47], 0, 0
	v_mov_b32_e32 v72, v65
	s_mov_b64 s[86:87], s[50:51]
	v_pk_mov_b32 v[50:51], v[40:41], v[40:41] op_sel:[0,1]
	v_pk_mov_b32 v[48:49], v[46:47], v[46:47] op_sel:[0,1]
.LBB161_48:                             ;   Parent Loop BB161_15 Depth=1
                                        ;     Parent Loop BB161_24 Depth=2
                                        ;       Parent Loop BB161_40 Depth=3
                                        ; =>      This Inner Loop Header: Depth=4
	global_load_dwordx4 v[74:77], v[50:51], off offset:-8
	ds_read_b128 v[78:81], v72
	s_add_u32 s86, s86, -1
	v_add_co_u32_e32 v50, vcc, 16, v50
	s_addc_u32 s87, s87, -1
	v_addc_co_u32_e32 v51, vcc, 0, v51, vcc
	v_add_u32_e32 v72, 0x80, v72
	s_cmp_lg_u64 s[86:87], 0
	s_waitcnt vmcnt(0) lgkmcnt(0)
	v_fmac_f64_e32 v[46:47], v[78:79], v[74:75]
	v_fmac_f64_e32 v[48:49], v[80:81], v[74:75]
	v_fma_f64 v[46:47], -v[80:81], v[76:77], v[46:47]
	v_fmac_f64_e32 v[48:49], v[78:79], v[76:77]
	s_cbranch_scc1 .LBB161_48
; %bb.49:                               ;   in Loop: Header=BB161_40 Depth=3
	s_branch .LBB161_37
.LBB161_50:                             ;   in Loop: Header=BB161_40 Depth=3
                                        ; implicit-def: $vgpr46_vgpr47
                                        ; implicit-def: $vgpr48_vgpr49
	s_cbranch_execz .LBB161_37
; %bb.51:                               ;   in Loop: Header=BB161_40 Depth=3
	v_pk_mov_b32 v[46:47], 0, 0
	v_mov_b32_e32 v72, v66
	v_pk_mov_b32 v[50:51], v[42:43], v[42:43] op_sel:[0,1]
	s_mov_b64 s[86:87], s[50:51]
	v_pk_mov_b32 v[48:49], v[46:47], v[46:47] op_sel:[0,1]
.LBB161_52:                             ;   Parent Loop BB161_15 Depth=1
                                        ;     Parent Loop BB161_24 Depth=2
                                        ;       Parent Loop BB161_40 Depth=3
                                        ; =>      This Inner Loop Header: Depth=4
	global_load_dwordx4 v[74:77], v[50:51], off offset:-8
	ds_read_b128 v[78:81], v72
	s_add_u32 s86, s86, -1
	v_add_co_u32_e32 v50, vcc, s64, v50
	s_addc_u32 s87, s87, -1
	v_addc_co_u32_e32 v51, vcc, v51, v71, vcc
	v_add_u32_e32 v72, 16, v72
	s_cmp_eq_u64 s[86:87], 0
	s_waitcnt vmcnt(0) lgkmcnt(0)
	v_fmac_f64_e32 v[46:47], v[78:79], v[74:75]
	v_fmac_f64_e32 v[48:49], v[80:81], v[74:75]
	v_fma_f64 v[46:47], -v[80:81], v[76:77], v[46:47]
	v_fmac_f64_e32 v[48:49], v[78:79], v[76:77]
	s_cbranch_scc0 .LBB161_52
	s_branch .LBB161_37
.LBB161_53:                             ;   in Loop: Header=BB161_24 Depth=2
	s_or_b64 exec, exec, s[80:81]
.LBB161_54:                             ;   in Loop: Header=BB161_24 Depth=2
	s_or_b64 exec, exec, s[78:79]
.LBB161_55:                             ;   in Loop: Header=BB161_24 Depth=2
	s_or_b64 exec, exec, s[76:77]
	s_waitcnt lgkmcnt(0)
	s_barrier
	s_and_saveexec_b64 s[22:23], s[20:21]
	s_cbranch_execz .LBB161_23
; %bb.56:                               ;   in Loop: Header=BB161_24 Depth=2
	v_mov_b32_e32 v1, s57
	v_add_co_u32_e32 v2, vcc, s56, v2
	v_addc_co_u32_e32 v3, vcc, v1, v3, vcc
	global_store_dwordx2 v[2:3], v[36:37], off
	s_branch .LBB161_23
.LBB161_57:                             ;   in Loop: Header=BB161_15 Depth=1
	s_andn2_b64 vcc, exec, s[34:35]
	s_cbranch_vccnz .LBB161_69
; %bb.58:                               ;   in Loop: Header=BB161_15 Depth=1
	s_load_dwordx4 s[20:23], s[24:25], 0x0
	s_waitcnt lgkmcnt(0)
	s_sub_u32 s22, s22, s89
	v_mov_b32_e32 v1, s21
	v_add_co_u32_e32 v38, vcc, s20, v56
	s_subb_u32 s23, s23, 0
	v_addc_co_u32_e32 v39, vcc, v1, v57, vcc
	v_cmp_gt_i64_e32 vcc, s[22:23], v[38:39]
	s_and_saveexec_b64 s[72:73], vcc
	s_cbranch_execz .LBB161_68
; %bb.59:                               ;   in Loop: Header=BB161_15 Depth=1
	v_lshlrev_b64 v[2:3], 3, v[38:39]
	v_mov_b32_e32 v1, s27
	v_add_co_u32_e32 v2, vcc, s26, v2
	v_addc_co_u32_e32 v3, vcc, v1, v3, vcc
	v_mad_u64_u32 v[36:37], s[74:75], s66, v38, v[28:29]
	v_mul_lo_u32 v1, s66, v39
	v_mul_lo_u32 v38, s67, v38
	v_add3_u32 v37, v38, v37, v1
	v_mov_b32_e32 v1, s21
	v_add_co_u32_e32 v38, vcc, s20, v67
	v_addc_co_u32_e32 v39, vcc, v68, v1, vcc
	s_mov_b64 s[74:75], 0
	s_branch .LBB161_62
.LBB161_60:                             ;   in Loop: Header=BB161_62 Depth=2
	s_or_b64 exec, exec, s[78:79]
	s_or_b64 s[20:21], s[20:21], exec
.LBB161_61:                             ;   in Loop: Header=BB161_62 Depth=2
	s_or_b64 exec, exec, s[76:77]
	v_cmp_le_i64_e32 vcc, s[22:23], v[38:39]
	s_xor_b64 s[20:21], s[20:21], -1
	s_or_b64 s[20:21], s[20:21], vcc
	v_add_co_u32_e32 v2, vcc, 32, v2
	v_addc_co_u32_e32 v3, vcc, 0, v3, vcc
	v_mov_b32_e32 v1, s69
	v_add_co_u32_e32 v36, vcc, s68, v36
	v_addc_co_u32_e32 v37, vcc, v37, v1, vcc
	s_and_b64 s[20:21], exec, s[20:21]
	v_add_co_u32_e32 v38, vcc, 4, v38
	s_or_b64 s[74:75], s[20:21], s[74:75]
	v_addc_co_u32_e32 v39, vcc, 0, v39, vcc
	s_andn2_b64 exec, exec, s[74:75]
	s_cbranch_execz .LBB161_67
.LBB161_62:                             ;   Parent Loop BB161_15 Depth=1
                                        ; =>  This Inner Loop Header: Depth=2
	global_load_dwordx2 v[40:41], v[2:3], off
	v_mov_b32_e32 v1, s90
	s_waitcnt vmcnt(0)
	v_subrev_co_u32_e32 v40, vcc, s89, v40
	v_subb_co_u32_e32 v41, vcc, v41, v1, vcc
	v_cmp_lt_i64_e32 vcc, v[40:41], v[32:33]
	v_cmp_gt_i64_e64 s[20:21], s[70:71], v[40:41]
	s_xor_b64 s[76:77], vcc, -1
	s_or_b64 s[76:77], s[20:21], s[76:77]
                                        ; implicit-def: $sgpr20_sgpr21
	s_and_saveexec_b64 s[78:79], s[76:77]
	s_xor_b64 s[76:77], exec, s[78:79]
; %bb.63:                               ;   in Loop: Header=BB161_62 Depth=2
	v_cmp_lt_i64_e64 s[20:21], v[40:41], v[34:35]
	v_cndmask_b32_e64 v1, v34, v40, s[20:21]
	v_cndmask_b32_e64 v40, v35, v41, s[20:21]
	v_cndmask_b32_e32 v35, v40, v35, vcc
	v_cndmask_b32_e32 v34, v1, v34, vcc
	s_and_b64 s[20:21], vcc, exec
                                        ; implicit-def: $vgpr40
; %bb.64:                               ;   in Loop: Header=BB161_62 Depth=2
	s_andn2_saveexec_b64 s[76:77], s[76:77]
	s_cbranch_execz .LBB161_61
; %bb.65:                               ;   in Loop: Header=BB161_62 Depth=2
	v_subrev_u32_e32 v1, s70, v40
	v_lshlrev_b32_e32 v40, 2, v1
	ds_write_b32 v40, v70 offset:36864
	s_and_saveexec_b64 s[78:79], s[60:61]
	s_cbranch_execz .LBB161_60
; %bb.66:                               ;   in Loop: Header=BB161_62 Depth=2
	global_load_dwordx4 v[40:43], v[36:37], off offset:-8
	v_lshlrev_b32_e32 v1, 6, v1
	v_or3_b32 v1, v1, v55, v18
	v_lshlrev_b32_e32 v1, 4, v1
	s_waitcnt vmcnt(0)
	v_mul_f64 v[44:45], v[42:43], -v[10:11]
	v_mul_f64 v[42:43], v[14:15], v[42:43]
	v_fmac_f64_e32 v[44:45], v[14:15], v[40:41]
	v_fmac_f64_e32 v[42:43], v[10:11], v[40:41]
	ds_add_f64 v1, v[44:45]
	ds_add_f64 v1, v[42:43] offset:8
	s_branch .LBB161_60
.LBB161_67:                             ;   in Loop: Header=BB161_15 Depth=1
	s_or_b64 exec, exec, s[74:75]
.LBB161_68:                             ;   in Loop: Header=BB161_15 Depth=1
	s_or_b64 exec, exec, s[72:73]
.LBB161_69:                             ;   in Loop: Header=BB161_15 Depth=1
	s_and_saveexec_b64 s[20:21], s[4:5]
	s_cbranch_execz .LBB161_74
; %bb.70:                               ;   in Loop: Header=BB161_15 Depth=1
	s_mov_b64 s[72:73], exec
	s_mov_b64 s[22:23], -1
.LBB161_71:                             ;   Parent Loop BB161_15 Depth=1
                                        ; =>  This Inner Loop Header: Depth=2
	s_ff1_i32_b64 s76, s[72:73]
	v_readlane_b32 s77, v35, s76
	v_readlane_b32 s78, v34, s76
	v_mov_b32_e32 v2, s78
	v_mov_b32_e32 v3, s77
	v_cmp_lt_u64_e32 vcc, s[22:23], v[2:3]
	s_and_b64 s[74:75], vcc, exec
	s_cselect_b32 s23, s23, s77
	s_cselect_b32 s22, s22, s78
	s_lshl_b64 s[74:75], 1, s76
	s_andn2_b64 s[72:73], s[72:73], s[74:75]
	s_cmp_lg_u64 s[72:73], 0
	s_cbranch_scc1 .LBB161_71
; %bb.72:                               ;   in Loop: Header=BB161_15 Depth=1
	v_mbcnt_lo_u32_b32 v1, exec_lo, 0
	v_mbcnt_hi_u32_b32 v1, exec_hi, v1
	v_cmp_eq_u32_e32 vcc, 0, v1
	s_and_saveexec_b64 s[72:73], vcc
	s_xor_b64 s[72:73], exec, s[72:73]
	s_cbranch_execz .LBB161_74
; %bb.73:                               ;   in Loop: Header=BB161_15 Depth=1
	v_pk_mov_b32 v[2:3], s[22:23], s[22:23] op_sel:[0,1]
	ds_min_u64 v0, v[2:3] offset:36992
.LBB161_74:                             ;   in Loop: Header=BB161_15 Depth=1
	s_or_b64 exec, exec, s[20:21]
	s_waitcnt lgkmcnt(0)
	s_barrier
	ds_read_b32 v1, v58
	s_waitcnt lgkmcnt(0)
	s_barrier
	s_and_saveexec_b64 s[20:21], s[8:9]
	s_cbranch_execz .LBB161_76
; %bb.75:                               ;   in Loop: Header=BB161_15 Depth=1
	ds_read_b32 v2, v59
	s_waitcnt lgkmcnt(0)
	v_add_u32_e32 v1, v2, v1
.LBB161_76:                             ;   in Loop: Header=BB161_15 Depth=1
	s_or_b64 exec, exec, s[20:21]
	s_barrier
	ds_write_b32 v58, v1
	s_waitcnt lgkmcnt(0)
	s_barrier
	s_and_saveexec_b64 s[20:21], s[10:11]
	s_cbranch_execz .LBB161_78
; %bb.77:                               ;   in Loop: Header=BB161_15 Depth=1
	ds_read_b32 v2, v61
	s_waitcnt lgkmcnt(0)
	v_add_u32_e32 v1, v2, v1
.LBB161_78:                             ;   in Loop: Header=BB161_15 Depth=1
	s_or_b64 exec, exec, s[20:21]
	s_barrier
	ds_write_b32 v58, v1
	;; [unrolled: 12-line block ×5, first 2 shown]
	s_waitcnt lgkmcnt(0)
	s_barrier
	ds_read_b32 v33, v0 offset:36988
	v_mov_b32_e32 v2, 0
	s_and_saveexec_b64 s[20:21], s[6:7]
	s_cbranch_execz .LBB161_86
; %bb.85:                               ;   in Loop: Header=BB161_15 Depth=1
	ds_read_b32 v2, v59
.LBB161_86:                             ;   in Loop: Header=BB161_15 Depth=1
	s_or_b64 exec, exec, s[20:21]
	s_waitcnt lgkmcnt(0)
	v_cmp_eq_u32_e32 vcc, v1, v2
	s_and_b64 s[22:23], s[6:7], vcc
	s_barrier
	s_and_saveexec_b64 s[20:21], s[22:23]
	s_cbranch_execz .LBB161_88
; %bb.87:                               ;   in Loop: Header=BB161_15 Depth=1
	ds_write_b32 v58, v0
.LBB161_88:                             ;   in Loop: Header=BB161_15 Depth=1
	s_or_b64 exec, exec, s[20:21]
	v_add_co_u32_e32 v34, vcc, -1, v30
	s_add_u32 s70, s46, s70
	v_addc_co_u32_e32 v35, vcc, -1, v31, vcc
	s_addc_u32 s71, 0, s71
	s_mov_b64 s[20:21], 0
	v_mov_b32_e32 v36, v69
	v_mov_b32_e32 v37, v25
	v_pk_mov_b32 v[2:3], v[16:17], v[16:17] op_sel:[0,1]
	s_waitcnt lgkmcnt(0)
	s_barrier
	s_branch .LBB161_90
.LBB161_89:                             ;   in Loop: Header=BB161_90 Depth=2
	s_or_b64 exec, exec, s[22:23]
	v_add_co_u32_e32 v2, vcc, 4, v2
	v_addc_co_u32_e32 v3, vcc, 0, v3, vcc
	v_add_u32_e32 v1, -4, v2
	v_cmp_lt_u32_e32 vcc, 27, v1
	v_add_u32_e32 v37, 0x1000, v37
	s_or_b64 s[20:21], vcc, s[20:21]
	v_add_u32_e32 v36, 16, v36
	s_andn2_b64 exec, exec, s[20:21]
	s_cbranch_execz .LBB161_14
.LBB161_90:                             ;   Parent Loop BB161_15 Depth=1
                                        ; =>  This Inner Loop Header: Depth=2
	ds_read_b32 v32, v36
	s_waitcnt lgkmcnt(0)
	v_cmp_ne_u32_e32 vcc, 0, v32
	s_and_saveexec_b64 s[22:23], vcc
	s_cbranch_execz .LBB161_89
; %bb.91:                               ;   in Loop: Header=BB161_90 Depth=2
	v_mov_b32_e32 v39, s71
	v_add_co_u32_e32 v38, vcc, s70, v2
	v_addc_co_u32_e32 v39, vcc, v39, v3, vcc
	v_ashrrev_i32_e32 v1, 31, v32
	v_add_co_u32_e32 v40, vcc, v30, v32
	v_addc_co_u32_e32 v41, vcc, v31, v1, vcc
	v_lshlrev_b64 v[40:41], 3, v[40:41]
	v_mov_b32_e32 v42, s93
	v_add_co_u32_e32 v40, vcc, s92, v40
	v_addc_co_u32_e32 v41, vcc, v42, v41, vcc
	global_store_dwordx2 v[40:41], v[38:39], off
	s_and_b64 exec, exec, s[60:61]
	s_cbranch_execz .LBB161_89
; %bb.92:                               ;   in Loop: Header=BB161_90 Depth=2
	v_add_co_u32_e32 v32, vcc, v34, v32
	v_addc_co_u32_e32 v1, vcc, v35, v1, vcc
	v_mul_lo_u32 v1, v1, s30
	v_mul_lo_u32 v40, v32, s31
	v_mad_u64_u32 v[38:39], s[72:73], v32, s30, 0
	v_add3_u32 v39, v39, v40, v1
	v_lshlrev_b64 v[42:43], 4, v[38:39]
	ds_read2_b64 v[38:41], v37 offset1:1
	v_add_co_u32_e32 v42, vcc, v24, v42
	v_addc_co_u32_e32 v43, vcc, v19, v43, vcc
	s_waitcnt lgkmcnt(0)
	global_store_dwordx4 v[42:43], v[38:41], off
	s_branch .LBB161_89
.LBB161_93:
	s_endpgm
	.section	.rodata,"a",@progbits
	.p2align	6, 0x0
	.amdhsa_kernel _ZN9rocsparseL38bsrgemm_block_per_row_atomic_multipassILj256ELj32ELj8Ell21rocsparse_complex_numIdEEEv20rocsparse_direction_T3_S4_PKS4_S6_NS_24const_host_device_scalarIT4_EEPKT2_S6_PKS8_SC_S6_SE_S9_SC_S6_SE_SC_PS4_PS8_PSA_21rocsparse_index_base_SI_SI_SI_bbb
		.amdhsa_group_segment_fixed_size 41096
		.amdhsa_private_segment_fixed_size 0
		.amdhsa_kernarg_size 196
		.amdhsa_user_sgpr_count 8
		.amdhsa_user_sgpr_private_segment_buffer 1
		.amdhsa_user_sgpr_dispatch_ptr 1
		.amdhsa_user_sgpr_queue_ptr 0
		.amdhsa_user_sgpr_kernarg_segment_ptr 1
		.amdhsa_user_sgpr_dispatch_id 0
		.amdhsa_user_sgpr_flat_scratch_init 0
		.amdhsa_user_sgpr_kernarg_preload_length 0
		.amdhsa_user_sgpr_kernarg_preload_offset 0
		.amdhsa_user_sgpr_private_segment_size 0
		.amdhsa_uses_dynamic_stack 0
		.amdhsa_system_sgpr_private_segment_wavefront_offset 0
		.amdhsa_system_sgpr_workgroup_id_x 1
		.amdhsa_system_sgpr_workgroup_id_y 0
		.amdhsa_system_sgpr_workgroup_id_z 0
		.amdhsa_system_sgpr_workgroup_info 0
		.amdhsa_system_vgpr_workitem_id 2
		.amdhsa_next_free_vgpr 82
		.amdhsa_next_free_sgpr 94
		.amdhsa_accum_offset 84
		.amdhsa_reserve_vcc 1
		.amdhsa_reserve_flat_scratch 0
		.amdhsa_float_round_mode_32 0
		.amdhsa_float_round_mode_16_64 0
		.amdhsa_float_denorm_mode_32 3
		.amdhsa_float_denorm_mode_16_64 3
		.amdhsa_dx10_clamp 1
		.amdhsa_ieee_mode 1
		.amdhsa_fp16_overflow 0
		.amdhsa_tg_split 0
		.amdhsa_exception_fp_ieee_invalid_op 0
		.amdhsa_exception_fp_denorm_src 0
		.amdhsa_exception_fp_ieee_div_zero 0
		.amdhsa_exception_fp_ieee_overflow 0
		.amdhsa_exception_fp_ieee_underflow 0
		.amdhsa_exception_fp_ieee_inexact 0
		.amdhsa_exception_int_div_zero 0
	.end_amdhsa_kernel
	.section	.text._ZN9rocsparseL38bsrgemm_block_per_row_atomic_multipassILj256ELj32ELj8Ell21rocsparse_complex_numIdEEEv20rocsparse_direction_T3_S4_PKS4_S6_NS_24const_host_device_scalarIT4_EEPKT2_S6_PKS8_SC_S6_SE_S9_SC_S6_SE_SC_PS4_PS8_PSA_21rocsparse_index_base_SI_SI_SI_bbb,"axG",@progbits,_ZN9rocsparseL38bsrgemm_block_per_row_atomic_multipassILj256ELj32ELj8Ell21rocsparse_complex_numIdEEEv20rocsparse_direction_T3_S4_PKS4_S6_NS_24const_host_device_scalarIT4_EEPKT2_S6_PKS8_SC_S6_SE_S9_SC_S6_SE_SC_PS4_PS8_PSA_21rocsparse_index_base_SI_SI_SI_bbb,comdat
.Lfunc_end161:
	.size	_ZN9rocsparseL38bsrgemm_block_per_row_atomic_multipassILj256ELj32ELj8Ell21rocsparse_complex_numIdEEEv20rocsparse_direction_T3_S4_PKS4_S6_NS_24const_host_device_scalarIT4_EEPKT2_S6_PKS8_SC_S6_SE_S9_SC_S6_SE_SC_PS4_PS8_PSA_21rocsparse_index_base_SI_SI_SI_bbb, .Lfunc_end161-_ZN9rocsparseL38bsrgemm_block_per_row_atomic_multipassILj256ELj32ELj8Ell21rocsparse_complex_numIdEEEv20rocsparse_direction_T3_S4_PKS4_S6_NS_24const_host_device_scalarIT4_EEPKT2_S6_PKS8_SC_S6_SE_S9_SC_S6_SE_SC_PS4_PS8_PSA_21rocsparse_index_base_SI_SI_SI_bbb
                                        ; -- End function
	.section	.AMDGPU.csdata,"",@progbits
; Kernel info:
; codeLenInByte = 3904
; NumSgprs: 98
; NumVgprs: 82
; NumAgprs: 0
; TotalNumVgprs: 82
; ScratchSize: 0
; MemoryBound: 0
; FloatMode: 240
; IeeeMode: 1
; LDSByteSize: 41096 bytes/workgroup (compile time only)
; SGPRBlocks: 12
; VGPRBlocks: 10
; NumSGPRsForWavesPerEU: 98
; NumVGPRsForWavesPerEU: 82
; AccumOffset: 84
; Occupancy: 1
; WaveLimiterHint : 1
; COMPUTE_PGM_RSRC2:SCRATCH_EN: 0
; COMPUTE_PGM_RSRC2:USER_SGPR: 8
; COMPUTE_PGM_RSRC2:TRAP_HANDLER: 0
; COMPUTE_PGM_RSRC2:TGID_X_EN: 1
; COMPUTE_PGM_RSRC2:TGID_Y_EN: 0
; COMPUTE_PGM_RSRC2:TGID_Z_EN: 0
; COMPUTE_PGM_RSRC2:TIDIG_COMP_CNT: 2
; COMPUTE_PGM_RSRC3_GFX90A:ACCUM_OFFSET: 20
; COMPUTE_PGM_RSRC3_GFX90A:TG_SPLIT: 0
	.section	.text._ZN9rocsparseL31bsrgemm_block_per_row_multipassILj256ELj8ELj16Ell21rocsparse_complex_numIdEEEv20rocsparse_direction_T3_S4_PKS4_S6_NS_24const_host_device_scalarIT4_EEPKT2_S6_PKS8_SC_S6_SE_S9_SC_S6_SE_SC_PS4_PS8_PSA_21rocsparse_index_base_SI_SI_SI_bbb,"axG",@progbits,_ZN9rocsparseL31bsrgemm_block_per_row_multipassILj256ELj8ELj16Ell21rocsparse_complex_numIdEEEv20rocsparse_direction_T3_S4_PKS4_S6_NS_24const_host_device_scalarIT4_EEPKT2_S6_PKS8_SC_S6_SE_S9_SC_S6_SE_SC_PS4_PS8_PSA_21rocsparse_index_base_SI_SI_SI_bbb,comdat
	.globl	_ZN9rocsparseL31bsrgemm_block_per_row_multipassILj256ELj8ELj16Ell21rocsparse_complex_numIdEEEv20rocsparse_direction_T3_S4_PKS4_S6_NS_24const_host_device_scalarIT4_EEPKT2_S6_PKS8_SC_S6_SE_S9_SC_S6_SE_SC_PS4_PS8_PSA_21rocsparse_index_base_SI_SI_SI_bbb ; -- Begin function _ZN9rocsparseL31bsrgemm_block_per_row_multipassILj256ELj8ELj16Ell21rocsparse_complex_numIdEEEv20rocsparse_direction_T3_S4_PKS4_S6_NS_24const_host_device_scalarIT4_EEPKT2_S6_PKS8_SC_S6_SE_S9_SC_S6_SE_SC_PS4_PS8_PSA_21rocsparse_index_base_SI_SI_SI_bbb
	.p2align	8
	.type	_ZN9rocsparseL31bsrgemm_block_per_row_multipassILj256ELj8ELj16Ell21rocsparse_complex_numIdEEEv20rocsparse_direction_T3_S4_PKS4_S6_NS_24const_host_device_scalarIT4_EEPKT2_S6_PKS8_SC_S6_SE_S9_SC_S6_SE_SC_PS4_PS8_PSA_21rocsparse_index_base_SI_SI_SI_bbb,@function
_ZN9rocsparseL31bsrgemm_block_per_row_multipassILj256ELj8ELj16Ell21rocsparse_complex_numIdEEEv20rocsparse_direction_T3_S4_PKS4_S6_NS_24const_host_device_scalarIT4_EEPKT2_S6_PKS8_SC_S6_SE_S9_SC_S6_SE_SC_PS4_PS8_PSA_21rocsparse_index_base_SI_SI_SI_bbb: ; @_ZN9rocsparseL31bsrgemm_block_per_row_multipassILj256ELj8ELj16Ell21rocsparse_complex_numIdEEEv20rocsparse_direction_T3_S4_PKS4_S6_NS_24const_host_device_scalarIT4_EEPKT2_S6_PKS8_SC_S6_SE_S9_SC_S6_SE_SC_PS4_PS8_PSA_21rocsparse_index_base_SI_SI_SI_bbb
; %bb.0:
	s_load_dword s9, s[6:7], 0xc0
	s_load_dwordx4 s[28:31], s[6:7], 0xb0
	s_load_dwordx2 s[2:3], s[4:5], 0x4
	s_load_dwordx4 s[16:19], s[6:7], 0x28
	s_load_dwordx4 s[12:15], s[6:7], 0x68
	v_and_b32_e32 v19, 0x3ff, v0
	s_waitcnt lgkmcnt(0)
	s_bitcmp1_b32 s9, 0
	s_cselect_b64 s[46:47], -1, 0
	s_bitcmp1_b32 s9, 16
	s_cselect_b64 s[0:1], -1, 0
	s_lshr_b32 s2, s2, 16
	s_mul_i32 s2, s2, s3
	v_mul_lo_u32 v1, s2, v19
	v_bfe_u32 v2, v0, 10, 10
	v_mad_u32_u24 v1, v2, s3, v1
	v_bfe_u32 v0, v0, 20, 10
	v_add_lshl_u32 v0, v1, v0, 3
	v_pk_mov_b32 v[2:3], s[16:17], s[16:17] op_sel:[0,1]
	v_pk_mov_b32 v[4:5], s[12:13], s[12:13] op_sel:[0,1]
	v_add_u32_e32 v1, 8, v0
	s_xor_b64 s[2:3], s[0:1], -1
	ds_write2st64_b64 v1, v[4:5], v[2:3] offset0:64 offset1:68
	v_pk_mov_b32 v[6:7], 0, 0
	v_cndmask_b32_e64 v1, 0, 1, s[2:3]
	s_bitcmp0_b32 s9, 0
	v_cmp_ne_u32_e64 s[2:3], 1, v1
	v_pk_mov_b32 v[4:5], v[6:7], v[6:7] op_sel:[0,1]
	v_pk_mov_b32 v[8:9], v[6:7], v[6:7] op_sel:[0,1]
	s_cbranch_scc1 .LBB162_3
; %bb.1:
	s_mov_b64 s[4:5], src_shared_base
	s_and_b64 s[10:11], s[0:1], exec
	v_add_u32_e32 v1, 0x8808, v0
	s_cselect_b32 s4, s5, s17
	v_mov_b32_e32 v2, s16
	v_cndmask_b32_e64 v2, v2, v1, s[0:1]
	v_mov_b32_e32 v3, s4
	flat_load_dwordx2 v[4:5], v[2:3]
	s_and_b64 vcc, exec, s[2:3]
	v_pk_mov_b32 v[8:9], s[18:19], s[18:19] op_sel:[0,1]
	s_cbranch_vccnz .LBB162_3
; %bb.2:
	v_pk_mov_b32 v[2:3], s[16:17], s[16:17] op_sel:[0,1]
	flat_load_dwordx2 v[8:9], v[2:3] offset:8
.LBB162_3:
	s_load_dwordx2 s[16:17], s[6:7], 0x20
	s_bitcmp1_b32 s9, 8
	s_cselect_b64 s[10:11], -1, 0
	s_bfe_u32 s4, s9, 0x10008
	s_cmp_eq_u32 s4, 0
	v_pk_mov_b32 v[10:11], v[6:7], v[6:7] op_sel:[0,1]
	s_cbranch_scc1 .LBB162_6
; %bb.4:
	s_mov_b64 s[4:5], src_shared_base
	s_and_b64 s[18:19], s[0:1], exec
	v_add_u32_e32 v0, 0x8008, v0
	s_cselect_b32 s4, s5, s13
	v_mov_b32_e32 v1, s12
	v_cndmask_b32_e64 v0, v1, v0, s[0:1]
	v_mov_b32_e32 v1, s4
	flat_load_dwordx2 v[10:11], v[0:1]
	s_and_b64 vcc, exec, s[2:3]
	v_pk_mov_b32 v[6:7], s[14:15], s[14:15] op_sel:[0,1]
	s_cbranch_vccnz .LBB162_6
; %bb.5:
	v_pk_mov_b32 v[0:1], s[12:13], s[12:13] op_sel:[0,1]
	flat_load_dwordx2 v[6:7], v[0:1] offset:8
.LBB162_6:
	s_load_dwordx2 s[4:5], s[6:7], 0x38
	s_waitcnt lgkmcnt(0)
	s_cmp_eq_u64 s[16:17], 0
	s_mov_b32 s9, 0
	s_cbranch_scc1 .LBB162_8
; %bb.7:
	s_load_dwordx2 s[0:1], s[6:7], 0x18
	s_waitcnt lgkmcnt(0)
	s_load_dwordx2 s[0:1], s[0:1], 0x0
	s_waitcnt lgkmcnt(0)
	s_lshl_b64 s[0:1], s[0:1], 3
	s_add_u32 s2, s16, s0
	s_addc_u32 s3, s17, s1
	s_lshl_b64 s[0:1], s[8:9], 3
	s_add_u32 s0, s2, s0
	s_addc_u32 s1, s3, s1
	s_load_dwordx2 s[8:9], s[0:1], 0x0
.LBB162_8:
	v_cndmask_b32_e64 v0, 0, 1, s[46:47]
	s_mov_b64 s[2:3], 0
	v_cmp_ne_u32_e64 s[0:1], 1, v0
	s_andn2_b64 vcc, exec, s[46:47]
	s_mov_b64 s[34:35], 0
	s_cbranch_vccz .LBB162_11
; %bb.9:
	s_and_b64 vcc, exec, s[0:1]
	s_cbranch_vccz .LBB162_12
.LBB162_10:
	s_load_dwordx4 s[36:39], s[6:7], 0x8
	s_waitcnt lgkmcnt(0)
	v_cmp_lt_i64_e64 s[0:1], s[36:37], 1
	s_and_b64 vcc, exec, s[0:1]
	s_cbranch_vccz .LBB162_13
	s_branch .LBB162_96
.LBB162_11:
	s_waitcnt lgkmcnt(0)
	s_lshl_b64 s[12:13], s[8:9], 3
	s_add_u32 s12, s4, s12
	s_addc_u32 s13, s5, s13
	s_load_dwordx2 s[12:13], s[12:13], 0x0
	s_waitcnt lgkmcnt(0)
	s_sub_u32 s34, s12, s28
	s_subb_u32 s35, s13, 0
	s_and_b64 vcc, exec, s[0:1]
	s_cbranch_vccnz .LBB162_10
.LBB162_12:
	s_waitcnt lgkmcnt(0)
	s_lshl_b64 s[0:1], s[8:9], 3
	s_add_u32 s0, s4, s0
	s_addc_u32 s1, s5, s1
	s_load_dwordx2 s[0:1], s[0:1], 0x8
	s_waitcnt lgkmcnt(0)
	s_sub_u32 s2, s0, s28
	s_subb_u32 s3, s1, 0
	s_load_dwordx4 s[36:39], s[6:7], 0x8
	s_waitcnt lgkmcnt(0)
	v_cmp_lt_i64_e64 s[0:1], s[36:37], 1
	s_and_b64 vcc, exec, s[0:1]
	s_cbranch_vccnz .LBB162_96
.LBB162_13:
	s_load_dwordx8 s[20:27], s[6:7], 0x78
	s_load_dwordx2 s[48:49], s[6:7], 0xa8
	s_load_dwordx4 s[40:43], s[6:7], 0x98
	s_load_dwordx2 s[56:57], s[6:7], 0x60
	s_load_dwordx8 s[12:19], s[6:7], 0x40
	s_lshl_b64 s[8:9], s[8:9], 3
	v_and_b32_e32 v12, 15, v19
	s_waitcnt lgkmcnt(0)
	s_add_u32 s0, s26, s8
	s_load_dword s26, s[6:7], 0x0
	v_mad_u64_u32 v[0:1], s[6:7], v12, s38, 0
	v_mov_b32_e32 v2, v1
	v_lshrrev_b32_e32 v14, 4, v19
	v_mad_u64_u32 v[2:3], s[6:7], v12, s39, v[2:3]
	v_mov_b32_e32 v1, v2
	v_mad_u64_u32 v[2:3], s[6:7], v14, s38, 0
	v_mov_b32_e32 v15, 0
	v_mov_b32_e32 v18, v3
	s_addc_u32 s1, s27, s9
	v_mov_b32_e32 v13, v15
	v_mad_u64_u32 v[20:21], s[6:7], v14, s39, v[18:19]
	v_lshlrev_b64 v[0:1], 4, v[0:1]
	s_load_dwordx2 s[0:1], s[0:1], 0x0
	v_pk_mov_b32 v[16:17], s[2:3], s[2:3] op_sel:[0,1]
	v_cmp_gt_i64_e64 s[2:3], s[38:39], v[12:13]
	v_cmp_gt_u64_e64 s[4:5], s[38:39], v[14:15]
	v_mov_b32_e32 v13, s25
	v_add_co_u32_e64 v14, s[6:7], s24, v0
	v_and_b32_e32 v50, 0xf0, v19
	v_addc_co_u32_e64 v18, s[6:7], v13, v1, s[6:7]
	v_mov_b32_e32 v3, v20
	v_add_co_u32_e64 v20, s[6:7], v14, v50
	v_addc_co_u32_e64 v18, s[6:7], 0, v18, s[6:7]
	v_lshlrev_b64 v[2:3], 4, v[2:3]
	v_add_co_u32_e64 v21, s[6:7], s24, v2
	s_waitcnt lgkmcnt(0)
	s_sub_u32 s60, s0, s30
	v_addc_co_u32_e64 v13, s[6:7], v13, v3, s[6:7]
	v_lshlrev_b32_e32 v14, 4, v12
	s_subb_u32 s61, s1, 0
	v_add_co_u32_e64 v21, s[6:7], v21, v14
	s_cmp_eq_u32 s26, 0
	v_addc_co_u32_e64 v13, s[6:7], 0, v13, s[6:7]
	s_cselect_b64 s[6:7], -1, 0
	s_cmp_lg_u32 s26, 0
	s_mul_i32 s26, s38, s39
	s_mul_hi_u32 s27, s38, s38
	s_cselect_b64 s[24:25], -1, 0
	s_add_i32 s27, s27, s26
	s_add_i32 s27, s27, s26
	s_add_u32 s20, s20, s8
	s_addc_u32 s21, s21, s9
	v_mov_b32_e32 v22, s43
	v_add_co_u32_e64 v0, s[8:9], s42, v0
	v_addc_co_u32_e64 v1, s[8:9], v22, v1, s[8:9]
	v_add_co_u32_e64 v51, s[8:9], v0, v50
	v_addc_co_u32_e64 v52, s[8:9], 0, v1, s[8:9]
	;; [unrolled: 2-line block ×3, first 2 shown]
	v_add_co_u32_e64 v53, s[8:9], v0, v14
	v_cmp_lt_i64_e32 vcc, s[34:35], v[16:17]
	v_addc_co_u32_e64 v54, s[8:9], 0, v1, s[8:9]
	s_and_b64 s[8:9], s[46:47], vcc
	s_and_b64 s[42:43], s[2:3], s[4:5]
	s_add_u32 s33, s16, 8
	s_mul_i32 s26, s38, s38
	s_addc_u32 s76, s17, 0
	s_add_u32 s77, s40, -8
	s_mul_i32 s4, s34, s27
	s_mul_hi_u32 s5, s34, s26
	s_addc_u32 s78, s41, -1
	s_add_i32 s4, s5, s4
	s_mul_i32 s5, s35, s26
	s_add_i32 s5, s4, s5
	s_mul_i32 s4, s34, s26
	v_or_b32_e32 v0, v50, v12
	s_lshl_b64 s[4:5], s[4:5], 4
	v_lshlrev_b32_e32 v0, 4, v0
	s_add_u32 s4, s14, s4
	v_or_b32_e32 v56, 0x1000, v0
	v_or_b32_e32 v57, 0x2000, v0
	;; [unrolled: 1-line block ×7, first 2 shown]
	s_movk_i32 s2, 0x700
	s_addc_u32 s5, s15, s5
	v_cmp_gt_u32_e64 s[2:3], s2, v0
	v_mov_b32_e32 v0, s5
	v_add_co_u32_e32 v1, vcc, s4, v50
	v_addc_co_u32_e32 v0, vcc, 0, v0, vcc
	s_lshl_b64 s[52:53], s[26:27], 4
	s_lshl_b64 s[54:55], s[38:39], 4
	v_cndmask_b32_e64 v3, v20, v21, s[6:7]
	v_add_co_u32_e32 v20, vcc, 8, v1
	s_add_u32 s56, s56, 8
	s_mul_i32 s4, s34, s39
	s_mul_hi_u32 s5, s34, s38
	v_addc_co_u32_e32 v21, vcc, 0, v0, vcc
	s_addc_u32 s57, s57, 0
	s_add_i32 s4, s5, s4
	s_mul_i32 s5, s35, s38
	v_mov_b32_e32 v0, s57
	v_add_co_u32_e32 v22, vcc, s56, v14
	s_add_i32 s5, s4, s5
	s_mul_i32 s4, s34, s38
	v_addc_co_u32_e32 v23, vcc, 0, v0, vcc
	s_lshl_b64 s[4:5], s[4:5], 4
	v_mov_b32_e32 v0, s5
	v_add_co_u32_e32 v24, vcc, s4, v50
	v_addc_co_u32_e32 v0, vcc, 0, v0, vcc
	s_mov_b32 s45, 0
	v_mul_lo_u32 v25, s38, v0
	v_pk_mov_b32 v[0:1], s[14:15], s[14:15] op_sel:[0,1]
	s_mov_b32 s50, s31
	s_mov_b32 s51, s45
	v_mul_lo_u32 v26, s39, v24
	v_mad_u64_u32 v[0:1], s[4:5], s38, v24, v[0:1]
	v_add3_u32 v1, v26, v1, v25
	v_add_co_u32_e32 v24, vcc, 8, v0
	s_lshl_b64 s[4:5], s[50:51], 3
	v_addc_co_u32_e32 v25, vcc, 0, v1, vcc
	s_sub_u32 s51, s22, s4
	v_cndmask_b32_e64 v2, v18, v13, s[6:7]
	s_subb_u32 s79, s23, s5
	v_add_co_u32_e32 v26, vcc, 8, v3
	s_mov_b32 s44, s45
	v_lshlrev_b32_e32 v55, 4, v19
	v_addc_co_u32_e32 v27, vcc, 0, v2, vcc
	s_sub_u32 s31, 1, s31
	s_mov_b32 s46, s45
	s_mov_b32 s47, s45
	v_pk_mov_b32 v[0:1], s[44:45], s[44:45] op_sel:[0,1]
	v_cmp_gt_u32_e64 s[0:1], 8, v19
	v_or_b32_e32 v59, 0x4000, v55
	v_cndmask_b32_e64 v13, v52, v54, s[6:7]
	v_cndmask_b32_e64 v18, v51, v53, s[6:7]
	s_mov_b64 s[58:59], 8
	s_subb_u32 s80, 0, 0
	s_mov_b64 s[22:23], 0
	v_pk_mov_b32 v[30:31], s[60:61], s[60:61] op_sel:[0,1]
	v_pk_mov_b32 v[2:3], s[46:47], s[46:47] op_sel:[0,1]
	v_mov_b32_e32 v63, s55
	v_mov_b32_e32 v64, s53
	v_pk_mov_b32 v[28:29], s[36:37], s[36:37] op_sel:[0,1]
	v_mov_b32_e32 v65, 1
	s_branch .LBB162_16
.LBB162_14:                             ;   in Loop: Header=BB162_16 Depth=1
	s_or_b64 exec, exec, s[4:5]
.LBB162_15:                             ;   in Loop: Header=BB162_16 Depth=1
	v_cmp_lt_i64_e32 vcc, s[14:15], v[28:29]
	s_and_b64 vcc, vcc, exec
	s_cselect_b32 s22, s14, s36
	s_cselect_b32 s23, s15, s37
	s_add_u32 s58, s22, 8
	s_addc_u32 s59, s23, 0
	v_pk_mov_b32 v[30:31], v[32:33], v[32:33] op_sel:[0,1]
	s_barrier
	s_barrier
	s_cbranch_vccz .LBB162_96
.LBB162_16:                             ; =>This Loop Header: Depth=1
                                        ;     Child Loop BB162_22 Depth 2
                                        ;       Child Loop BB162_27 Depth 3
                                        ;         Child Loop BB162_39 Depth 4
                                        ;         Child Loop BB162_35 Depth 4
                                        ;     Child Loop BB162_51 Depth 2
	s_and_saveexec_b64 s[4:5], s[0:1]
	s_cbranch_execz .LBB162_18
; %bb.17:                               ;   in Loop: Header=BB162_16 Depth=1
	ds_write_b8 v19, v15 offset:32768
.LBB162_18:                             ;   in Loop: Header=BB162_16 Depth=1
	s_or_b64 exec, exec, s[4:5]
	ds_write_b128 v55, v[0:3]
	ds_write_b128 v55, v[0:3] offset:4096
	ds_write_b128 v55, v[0:3] offset:8192
	;; [unrolled: 1-line block ×4, first 2 shown]
	s_and_saveexec_b64 s[4:5], s[2:3]
	s_xor_b64 s[4:5], exec, s[4:5]
	s_cbranch_execz .LBB162_20
; %bb.19:                               ;   in Loop: Header=BB162_16 Depth=1
	ds_write_b128 v55, v[0:3] offset:20480
	ds_write_b128 v55, v[0:3] offset:24576
	;; [unrolled: 1-line block ×3, first 2 shown]
.LBB162_20:                             ;   in Loop: Header=BB162_16 Depth=1
	s_or_b64 exec, exec, s[4:5]
	s_andn2_b64 vcc, exec, s[8:9]
	s_mov_b64 s[14:15], s[36:37]
	s_waitcnt lgkmcnt(0)
	s_barrier
	s_cbranch_vccnz .LBB162_48
; %bb.21:                               ;   in Loop: Header=BB162_16 Depth=1
	s_cmp_lg_u64 s[22:23], 0
	s_cselect_b64 s[46:47], -1, 0
	v_pk_mov_b32 v[32:33], v[24:25], v[24:25] op_sel:[0,1]
	v_pk_mov_b32 v[34:35], v[20:21], v[20:21] op_sel:[0,1]
	s_mov_b64 s[64:65], s[36:37]
	s_mov_b64 s[60:61], s[34:35]
.LBB162_22:                             ;   Parent Loop BB162_16 Depth=1
                                        ; =>  This Loop Header: Depth=2
                                        ;       Child Loop BB162_27 Depth 3
                                        ;         Child Loop BB162_39 Depth 4
                                        ;         Child Loop BB162_35 Depth 4
	s_lshl_b64 s[62:63], s[60:61], 3
	s_add_u32 s4, s12, s62
	s_addc_u32 s5, s13, s63
	s_load_dwordx2 s[4:5], s[4:5], 0x0
	s_waitcnt lgkmcnt(0)
	s_sub_u32 s4, s4, s28
	s_subb_u32 s5, s5, 0
	s_and_b64 vcc, exec, s[46:47]
	s_cbranch_vccz .LBB162_47
; %bb.23:                               ;   in Loop: Header=BB162_22 Depth=2
	s_add_u32 s6, s48, s62
	s_addc_u32 s7, s49, s63
	global_load_dwordx2 v[36:37], v15, s[6:7]
	s_waitcnt vmcnt(0)
	v_readfirstlane_b32 s66, v36
	v_readfirstlane_b32 s67, v37
	s_cbranch_execnz .LBB162_25
.LBB162_24:                             ;   in Loop: Header=BB162_22 Depth=2
	s_lshl_b64 s[6:7], s[4:5], 3
	s_add_u32 s6, s16, s6
	s_addc_u32 s7, s17, s7
	s_load_dwordx2 s[6:7], s[6:7], 0x0
	s_waitcnt lgkmcnt(0)
	s_sub_u32 s66, s6, s29
	s_subb_u32 s67, s7, 0
.LBB162_25:                             ;   in Loop: Header=BB162_22 Depth=2
	s_lshl_b64 s[4:5], s[4:5], 3
	s_add_u32 s4, s33, s4
	s_addc_u32 s5, s76, s5
	s_load_dwordx2 s[4:5], s[4:5], 0x0
	s_waitcnt lgkmcnt(0)
	s_sub_u32 s4, s4, s29
	s_subb_u32 s5, s5, 0
	v_pk_mov_b32 v[36:37], s[4:5], s[4:5] op_sel:[0,1]
	v_cmp_ge_i64_e32 vcc, s[66:67], v[36:37]
	s_cbranch_vccnz .LBB162_44
; %bb.26:                               ;   in Loop: Header=BB162_22 Depth=2
	s_mul_i32 s6, s55, s66
	s_mul_i32 s7, s54, s67
	v_mov_b32_e32 v40, s66
	s_add_i32 s14, s7, s6
	v_mad_u64_u32 v[36:37], s[6:7], s54, v40, v[14:15]
	v_add_u32_e32 v37, s14, v37
	v_pk_mov_b32 v[38:39], s[56:57], s[56:57] op_sel:[0,1]
	v_mul_lo_u32 v41, s38, v37
	v_mul_lo_u32 v42, s39, v36
	v_mad_u64_u32 v[36:37], s[6:7], s38, v36, v[38:39]
	s_mul_i32 s6, s53, s66
	s_mul_i32 s7, s52, s67
	s_add_i32 s14, s7, s6
	v_mad_u64_u32 v[38:39], s[6:7], s52, v40, v[22:23]
	v_add3_u32 v37, v42, v37, v41
	v_add_u32_e32 v39, s14, v39
	v_pk_mov_b32 v[40:41], s[4:5], s[4:5] op_sel:[0,1]
	s_mov_b64 s[68:69], s[66:67]
.LBB162_27:                             ;   Parent Loop BB162_16 Depth=1
                                        ;     Parent Loop BB162_22 Depth=2
                                        ; =>    This Loop Header: Depth=3
                                        ;         Child Loop BB162_39 Depth 4
                                        ;         Child Loop BB162_35 Depth 4
	s_lshl_b64 s[4:5], s[68:69], 3
	s_add_u32 s4, s18, s4
	s_addc_u32 s5, s19, s5
	s_load_dwordx2 s[4:5], s[4:5], 0x0
	v_pk_mov_b32 v[42:43], s[22:23], s[22:23] op_sel:[0,1]
	v_pk_mov_b32 v[44:45], s[58:59], s[58:59] op_sel:[0,1]
	s_mov_b64 s[74:75], -1
                                        ; implicit-def: $sgpr14_sgpr15
                                        ; implicit-def: $sgpr72_sgpr73
	s_waitcnt lgkmcnt(0)
	s_sub_u32 s70, s4, s29
	s_subb_u32 s71, s5, 0
	v_cmp_ge_i64_e32 vcc, s[70:71], v[42:43]
	v_cmp_lt_i64_e64 s[6:7], s[70:71], v[44:45]
	s_and_b64 s[6:7], vcc, s[6:7]
	v_cmp_ge_i64_e64 s[4:5], s[70:71], v[44:45]
	s_andn2_b64 vcc, exec, s[6:7]
                                        ; implicit-def: $sgpr6_sgpr7
	s_cbranch_vccz .LBB162_31
; %bb.28:                               ;   in Loop: Header=BB162_27 Depth=3
	s_mov_b64 s[72:73], -1
	s_andn2_b64 vcc, exec, s[4:5]
	s_mov_b64 s[14:15], s[64:65]
	s_mov_b64 s[6:7], s[66:67]
	s_cbranch_vccnz .LBB162_30
; %bb.29:                               ;   in Loop: Header=BB162_27 Depth=3
	v_pk_mov_b32 v[42:43], s[64:65], s[64:65] op_sel:[0,1]
	v_cmp_lt_i64_e32 vcc, s[70:71], v[42:43]
	s_and_b64 s[4:5], vcc, exec
	s_cselect_b32 s15, s71, s65
	s_cselect_b32 s14, s70, s64
	s_mov_b64 s[72:73], 0
	s_mov_b64 s[6:7], s[68:69]
.LBB162_30:                             ;   in Loop: Header=BB162_27 Depth=3
	s_mov_b64 s[74:75], 0
.LBB162_31:                             ;   in Loop: Header=BB162_27 Depth=3
	s_andn2_b64 vcc, exec, s[74:75]
	s_cbranch_vccnz .LBB162_42
; %bb.32:                               ;   in Loop: Header=BB162_27 Depth=3
	s_sub_i32 s14, s70, s22
	v_mov_b32_e32 v42, s14
	ds_write_b8 v42, v65 offset:32768
	s_and_saveexec_b64 s[4:5], s[42:43]
	s_cbranch_execz .LBB162_41
; %bb.33:                               ;   in Loop: Header=BB162_27 Depth=3
	s_andn2_b64 vcc, exec, s[24:25]
	s_cbranch_vccnz .LBB162_37
; %bb.34:                               ;   in Loop: Header=BB162_27 Depth=3
	v_pk_mov_b32 v[42:43], 0, 0
	s_mov_b64 s[6:7], s[38:39]
	v_pk_mov_b32 v[46:47], v[36:37], v[36:37] op_sel:[0,1]
	v_pk_mov_b32 v[48:49], v[34:35], v[34:35] op_sel:[0,1]
	;; [unrolled: 1-line block ×3, first 2 shown]
.LBB162_35:                             ;   Parent Loop BB162_16 Depth=1
                                        ;     Parent Loop BB162_22 Depth=2
                                        ;       Parent Loop BB162_27 Depth=3
                                        ; =>      This Inner Loop Header: Depth=4
	global_load_dwordx4 v[66:69], v[48:49], off offset:-8
	global_load_dwordx4 v[70:73], v[46:47], off offset:-8
	v_add_co_u32_e32 v48, vcc, s54, v48
	v_addc_co_u32_e32 v49, vcc, v49, v63, vcc
	s_add_u32 s6, s6, -1
	v_add_co_u32_e32 v46, vcc, 16, v46
	s_addc_u32 s7, s7, -1
	v_addc_co_u32_e32 v47, vcc, 0, v47, vcc
	s_cmp_lg_u64 s[6:7], 0
	s_waitcnt vmcnt(0)
	v_fmac_f64_e32 v[42:43], v[66:67], v[70:71]
	v_fmac_f64_e32 v[44:45], v[68:69], v[70:71]
	v_fma_f64 v[42:43], -v[68:69], v[72:73], v[42:43]
	v_fmac_f64_e32 v[44:45], v[66:67], v[72:73]
	s_cbranch_scc1 .LBB162_35
; %bb.36:                               ;   in Loop: Header=BB162_27 Depth=3
	s_branch .LBB162_40
.LBB162_37:                             ;   in Loop: Header=BB162_27 Depth=3
                                        ; implicit-def: $vgpr42_vgpr43
                                        ; implicit-def: $vgpr44_vgpr45
	s_cbranch_execz .LBB162_40
; %bb.38:                               ;   in Loop: Header=BB162_27 Depth=3
	v_pk_mov_b32 v[42:43], 0, 0
	s_mov_b64 s[6:7], s[38:39]
	v_pk_mov_b32 v[46:47], v[32:33], v[32:33] op_sel:[0,1]
	v_pk_mov_b32 v[48:49], v[38:39], v[38:39] op_sel:[0,1]
	;; [unrolled: 1-line block ×3, first 2 shown]
.LBB162_39:                             ;   Parent Loop BB162_16 Depth=1
                                        ;     Parent Loop BB162_22 Depth=2
                                        ;       Parent Loop BB162_27 Depth=3
                                        ; =>      This Inner Loop Header: Depth=4
	global_load_dwordx4 v[66:69], v[46:47], off offset:-8
	global_load_dwordx4 v[70:73], v[48:49], off offset:-8
	v_add_co_u32_e32 v48, vcc, s54, v48
	v_addc_co_u32_e32 v49, vcc, v49, v63, vcc
	s_add_u32 s6, s6, -1
	v_add_co_u32_e32 v46, vcc, 16, v46
	s_addc_u32 s7, s7, -1
	v_addc_co_u32_e32 v47, vcc, 0, v47, vcc
	s_cmp_eq_u64 s[6:7], 0
	s_waitcnt vmcnt(0)
	v_fmac_f64_e32 v[42:43], v[66:67], v[70:71]
	v_fmac_f64_e32 v[44:45], v[68:69], v[70:71]
	v_fma_f64 v[42:43], -v[68:69], v[72:73], v[42:43]
	v_fmac_f64_e32 v[44:45], v[66:67], v[72:73]
	s_cbranch_scc0 .LBB162_39
.LBB162_40:                             ;   in Loop: Header=BB162_27 Depth=3
	s_lshl_b32 s6, s14, 8
	v_or3_b32 v46, s6, v50, v12
	v_lshlrev_b32_e32 v66, 4, v46
	ds_read_b128 v[46:49], v66
	s_waitcnt vmcnt(0) lgkmcnt(0)
	v_fmac_f64_e32 v[46:47], v[4:5], v[42:43]
	v_fmac_f64_e32 v[48:49], v[8:9], v[42:43]
	v_fma_f64 v[46:47], -v[8:9], v[44:45], v[46:47]
	v_fmac_f64_e32 v[48:49], v[4:5], v[44:45]
	ds_write_b128 v66, v[46:49]
.LBB162_41:                             ;   in Loop: Header=BB162_27 Depth=3
	s_or_b64 exec, exec, s[4:5]
	s_mov_b64 s[72:73], -1
	s_mov_b64 s[14:15], s[64:65]
	s_mov_b64 s[6:7], s[66:67]
	s_waitcnt lgkmcnt(0)
	s_barrier
.LBB162_42:                             ;   in Loop: Header=BB162_27 Depth=3
	s_add_u32 s68, s68, 1
	s_addc_u32 s69, s69, 0
	v_cmp_lt_i64_e32 vcc, s[68:69], v[40:41]
	s_and_b64 s[4:5], s[72:73], vcc
	v_add_co_u32_e32 v36, vcc, s52, v36
	v_addc_co_u32_e32 v37, vcc, v37, v64, vcc
	v_add_co_u32_e32 v38, vcc, s52, v38
	v_addc_co_u32_e32 v39, vcc, v39, v64, vcc
	s_and_b64 vcc, exec, s[4:5]
	s_cbranch_vccz .LBB162_45
; %bb.43:                               ;   in Loop: Header=BB162_27 Depth=3
	s_mov_b64 s[64:65], s[14:15]
	s_mov_b64 s[66:67], s[6:7]
	s_branch .LBB162_27
.LBB162_44:                             ;   in Loop: Header=BB162_22 Depth=2
	s_mov_b64 s[14:15], s[64:65]
	s_mov_b64 s[6:7], s[66:67]
.LBB162_45:                             ;   in Loop: Header=BB162_22 Depth=2
	s_add_u32 s4, s48, s62
	v_add_co_u32_e32 v34, vcc, s52, v34
	s_addc_u32 s5, s49, s63
	v_addc_co_u32_e32 v35, vcc, v35, v64, vcc
	s_add_u32 s60, s60, 1
	v_add_co_u32_e32 v32, vcc, s52, v32
	s_addc_u32 s61, s61, 0
	v_addc_co_u32_e32 v33, vcc, v33, v64, vcc
	v_cmp_lt_i64_e32 vcc, s[60:61], v[16:17]
	v_pk_mov_b32 v[36:37], s[6:7], s[6:7] op_sel:[0,1]
	global_store_dwordx2 v15, v[36:37], s[4:5]
	s_cbranch_vccz .LBB162_48
; %bb.46:                               ;   in Loop: Header=BB162_22 Depth=2
	s_mov_b64 s[64:65], s[14:15]
	s_branch .LBB162_22
.LBB162_47:                             ;   in Loop: Header=BB162_22 Depth=2
                                        ; implicit-def: $sgpr66_sgpr67
	s_branch .LBB162_24
.LBB162_48:                             ;   in Loop: Header=BB162_16 Depth=1
	s_andn2_b64 vcc, exec, s[10:11]
	s_cbranch_vccnz .LBB162_60
; %bb.49:                               ;   in Loop: Header=BB162_16 Depth=1
	s_load_dwordx4 s[4:7], s[20:21], 0x0
	s_waitcnt lgkmcnt(0)
	v_pk_mov_b32 v[32:33], s[6:7], s[6:7] op_sel:[0,1]
	v_cmp_ge_i64_e32 vcc, s[4:5], v[32:33]
	s_cbranch_vccnz .LBB162_60
; %bb.50:                               ;   in Loop: Header=BB162_16 Depth=1
	s_sub_u32 s46, s6, s50
	s_subb_u32 s47, s7, 0
	s_sub_u32 s44, s4, s50
	s_subb_u32 s60, s5, 0
	s_lshl_b64 s[6:7], s[4:5], 3
	s_add_u32 s6, s51, s6
	s_mul_i32 s61, s53, s44
	s_mul_i32 s60, s52, s60
	s_addc_u32 s7, s79, s7
	s_add_i32 s62, s60, s61
	v_mov_b32_e32 v32, s44
	v_mad_u64_u32 v[32:33], s[60:61], s52, v32, v[26:27]
	s_add_u32 s4, s31, s4
	v_add_u32_e32 v33, s62, v33
	s_addc_u32 s5, s80, s5
	v_pk_mov_b32 v[34:35], s[46:47], s[46:47] op_sel:[0,1]
	v_pk_mov_b32 v[36:37], s[22:23], s[22:23] op_sel:[0,1]
	;; [unrolled: 1-line block ×3, first 2 shown]
.LBB162_51:                             ;   Parent Loop BB162_16 Depth=1
                                        ; =>  This Inner Loop Header: Depth=2
	s_load_dwordx2 s[46:47], s[6:7], 0x0
	s_mov_b64 s[62:63], -1
	s_waitcnt lgkmcnt(0)
	s_sub_u32 s60, s46, s50
	s_subb_u32 s61, s47, 0
	v_cmp_ge_i64_e32 vcc, s[60:61], v[36:37]
	v_cmp_lt_i64_e64 s[58:59], s[60:61], v[38:39]
	s_and_b64 s[46:47], vcc, s[58:59]
	s_andn2_b64 vcc, exec, s[46:47]
                                        ; implicit-def: $sgpr46_sgpr47
	s_cbranch_vccz .LBB162_53
; %bb.52:                               ;   in Loop: Header=BB162_51 Depth=2
	v_pk_mov_b32 v[40:41], s[14:15], s[14:15] op_sel:[0,1]
	v_cmp_lt_i64_e32 vcc, s[60:61], v[40:41]
	s_and_b64 s[46:47], vcc, exec
	s_cselect_b32 s44, s60, s14
	s_cselect_b32 s61, s61, s15
	s_and_b64 s[46:47], s[58:59], exec
	s_cselect_b32 s47, s15, s61
	s_cselect_b32 s46, s14, s44
	s_mov_b64 s[62:63], 0
.LBB162_53:                             ;   in Loop: Header=BB162_51 Depth=2
	s_andn2_b64 vcc, exec, s[62:63]
	s_cbranch_vccnz .LBB162_57
; %bb.54:                               ;   in Loop: Header=BB162_51 Depth=2
	s_sub_i32 s44, s60, s22
	v_mov_b32_e32 v40, s44
	ds_write_b8 v40, v65 offset:32768
	s_and_saveexec_b64 s[46:47], s[42:43]
	s_cbranch_execz .LBB162_56
; %bb.55:                               ;   in Loop: Header=BB162_51 Depth=2
	global_load_dwordx4 v[40:43], v[32:33], off offset:-8
	s_lshl_b32 s44, s44, 8
	v_or3_b32 v44, s44, v50, v12
	v_lshlrev_b32_e32 v48, 4, v44
	ds_read_b128 v[44:47], v48
	s_waitcnt vmcnt(0) lgkmcnt(0)
	v_fmac_f64_e32 v[44:45], v[10:11], v[40:41]
	v_fmac_f64_e32 v[46:47], v[6:7], v[40:41]
	v_fma_f64 v[44:45], -v[6:7], v[42:43], v[44:45]
	v_fmac_f64_e32 v[46:47], v[10:11], v[42:43]
	ds_write_b128 v48, v[44:47]
.LBB162_56:                             ;   in Loop: Header=BB162_51 Depth=2
	s_or_b64 exec, exec, s[46:47]
	s_mov_b64 s[58:59], -1
	s_mov_b64 s[46:47], s[14:15]
	s_waitcnt lgkmcnt(0)
	s_barrier
.LBB162_57:                             ;   in Loop: Header=BB162_51 Depth=2
	v_cmp_lt_i64_e32 vcc, s[4:5], v[34:35]
	s_and_b64 s[14:15], s[58:59], vcc
	s_add_u32 s6, s6, 8
	s_addc_u32 s7, s7, 0
	v_add_co_u32_e32 v32, vcc, s52, v32
	v_addc_co_u32_e32 v33, vcc, v33, v64, vcc
	s_add_u32 s4, s4, 1
	s_addc_u32 s5, s5, 0
	s_and_b64 vcc, exec, s[14:15]
	s_cbranch_vccz .LBB162_59
; %bb.58:                               ;   in Loop: Header=BB162_51 Depth=2
	s_mov_b64 s[14:15], s[46:47]
	s_branch .LBB162_51
.LBB162_59:                             ;   in Loop: Header=BB162_16 Depth=1
	s_mov_b64 s[14:15], s[46:47]
.LBB162_60:                             ;   in Loop: Header=BB162_16 Depth=1
	s_barrier
	ds_read_u8 v32, v15 offset:32768
	s_add_u32 s6, s22, s30
	s_addc_u32 s7, s23, 0
	s_mov_b32 s22, 0
	s_waitcnt lgkmcnt(0)
	v_cmp_eq_u32_e32 vcc, 0, v32
	s_cbranch_vccnz .LBB162_64
; %bb.61:                               ;   in Loop: Header=BB162_16 Depth=1
	v_lshlrev_b64 v[32:33], 3, v[30:31]
	v_mov_b32_e32 v34, s41
	v_add_co_u32_e32 v32, vcc, s40, v32
	v_addc_co_u32_e32 v33, vcc, v34, v33, vcc
	v_pk_mov_b32 v[34:35], s[6:7], s[6:7] op_sel:[0,1]
	global_store_dwordx2 v[32:33], v[34:35], off
	s_and_saveexec_b64 s[4:5], s[42:43]
	s_cbranch_execz .LBB162_63
; %bb.62:                               ;   in Loop: Header=BB162_16 Depth=1
	v_mul_lo_u32 v34, v31, s26
	v_mul_lo_u32 v35, v30, s27
	v_mad_u64_u32 v[32:33], s[22:23], v30, s26, 0
	v_add3_u32 v33, v33, v35, v34
	v_lshlrev_b64 v[36:37], 4, v[32:33]
	ds_read2_b64 v[32:35], v55 offset1:1
	v_add_co_u32_e32 v36, vcc, v18, v36
	v_addc_co_u32_e32 v37, vcc, v13, v37, vcc
	s_waitcnt lgkmcnt(0)
	global_store_dwordx4 v[36:37], v[32:35], off
.LBB162_63:                             ;   in Loop: Header=BB162_16 Depth=1
	s_or_b64 exec, exec, s[4:5]
	s_mov_b32 s22, 1
.LBB162_64:                             ;   in Loop: Header=BB162_16 Depth=1
	ds_read_u8 v32, v15 offset:32769
	v_add_co_u32_e64 v35, s[4:5], -1, v30
	v_addc_co_u32_e64 v34, s[4:5], -1, v31, s[4:5]
	s_waitcnt lgkmcnt(0)
	v_cmp_eq_u32_e32 vcc, 0, v32
	s_cbranch_vccz .LBB162_70
; %bb.65:                               ;   in Loop: Header=BB162_16 Depth=1
	ds_read_u8 v32, v15 offset:32770
	s_waitcnt lgkmcnt(0)
	v_cmp_eq_u32_e32 vcc, 0, v32
	s_cbranch_vccz .LBB162_73
.LBB162_66:                             ;   in Loop: Header=BB162_16 Depth=1
	ds_read_u8 v32, v15 offset:32771
	s_waitcnt lgkmcnt(0)
	v_cmp_eq_u32_e32 vcc, 0, v32
	s_cbranch_vccz .LBB162_76
.LBB162_67:                             ;   in Loop: Header=BB162_16 Depth=1
	ds_read_u8 v32, v15 offset:32772
	s_waitcnt lgkmcnt(0)
	v_cmp_eq_u32_e32 vcc, 0, v32
	s_cbranch_vccz .LBB162_79
.LBB162_68:                             ;   in Loop: Header=BB162_16 Depth=1
	ds_read_u8 v32, v15 offset:32773
	s_waitcnt lgkmcnt(0)
	v_cmp_eq_u32_e32 vcc, 0, v32
	s_cbranch_vccz .LBB162_82
.LBB162_69:                             ;   in Loop: Header=BB162_16 Depth=1
	ds_read_u8 v32, v15 offset:32774
	s_waitcnt lgkmcnt(0)
	v_cmp_eq_u32_e32 vcc, 0, v32
	s_cbranch_vccz .LBB162_85
	s_branch .LBB162_88
.LBB162_70:                             ;   in Loop: Header=BB162_16 Depth=1
	s_add_i32 s22, s22, 1
	v_add_co_u32_e32 v32, vcc, s22, v30
	v_addc_co_u32_e32 v33, vcc, 0, v31, vcc
	s_add_u32 s4, s6, 1
	v_lshlrev_b64 v[32:33], 3, v[32:33]
	s_addc_u32 s5, s7, 0
	v_mov_b32_e32 v36, s78
	v_add_co_u32_e32 v32, vcc, s77, v32
	v_addc_co_u32_e32 v33, vcc, v36, v33, vcc
	v_pk_mov_b32 v[36:37], s[4:5], s[4:5] op_sel:[0,1]
	global_store_dwordx2 v[32:33], v[36:37], off
	s_and_saveexec_b64 s[4:5], s[42:43]
	s_cbranch_execz .LBB162_72
; %bb.71:                               ;   in Loop: Header=BB162_16 Depth=1
	v_mov_b32_e32 v32, s45
	v_add_co_u32_e32 v33, vcc, s22, v35
	v_addc_co_u32_e32 v32, vcc, v34, v32, vcc
	v_mul_lo_u32 v36, v32, s26
	v_mul_lo_u32 v37, v33, s27
	v_mad_u64_u32 v[32:33], s[46:47], v33, s26, 0
	v_add3_u32 v33, v33, v37, v36
	ds_read2_b64 v[36:39], v56 offset1:1
	v_lshlrev_b64 v[32:33], 4, v[32:33]
	v_add_co_u32_e32 v32, vcc, v18, v32
	v_addc_co_u32_e32 v33, vcc, v13, v33, vcc
	s_waitcnt lgkmcnt(0)
	global_store_dwordx4 v[32:33], v[36:39], off
.LBB162_72:                             ;   in Loop: Header=BB162_16 Depth=1
	s_or_b64 exec, exec, s[4:5]
	ds_read_u8 v32, v15 offset:32770
	s_waitcnt lgkmcnt(0)
	v_cmp_eq_u32_e32 vcc, 0, v32
	s_cbranch_vccnz .LBB162_66
.LBB162_73:                             ;   in Loop: Header=BB162_16 Depth=1
	s_add_i32 s22, s22, 1
	v_add_co_u32_e32 v32, vcc, s22, v30
	v_addc_co_u32_e32 v33, vcc, 0, v31, vcc
	s_add_u32 s4, s6, 2
	v_lshlrev_b64 v[32:33], 3, v[32:33]
	s_addc_u32 s5, s7, 0
	v_mov_b32_e32 v36, s78
	v_add_co_u32_e32 v32, vcc, s77, v32
	v_addc_co_u32_e32 v33, vcc, v36, v33, vcc
	v_pk_mov_b32 v[36:37], s[4:5], s[4:5] op_sel:[0,1]
	global_store_dwordx2 v[32:33], v[36:37], off
	s_and_saveexec_b64 s[4:5], s[42:43]
	s_cbranch_execz .LBB162_75
; %bb.74:                               ;   in Loop: Header=BB162_16 Depth=1
	v_mov_b32_e32 v32, s45
	v_add_co_u32_e32 v33, vcc, s22, v35
	v_addc_co_u32_e32 v32, vcc, v34, v32, vcc
	v_mul_lo_u32 v36, v32, s26
	v_mul_lo_u32 v37, v33, s27
	v_mad_u64_u32 v[32:33], s[46:47], v33, s26, 0
	v_add3_u32 v33, v33, v37, v36
	ds_read2_b64 v[36:39], v57 offset1:1
	v_lshlrev_b64 v[32:33], 4, v[32:33]
	v_add_co_u32_e32 v32, vcc, v18, v32
	v_addc_co_u32_e32 v33, vcc, v13, v33, vcc
	s_waitcnt lgkmcnt(0)
	global_store_dwordx4 v[32:33], v[36:39], off
.LBB162_75:                             ;   in Loop: Header=BB162_16 Depth=1
	s_or_b64 exec, exec, s[4:5]
	ds_read_u8 v32, v15 offset:32771
	s_waitcnt lgkmcnt(0)
	v_cmp_eq_u32_e32 vcc, 0, v32
	s_cbranch_vccnz .LBB162_67
.LBB162_76:                             ;   in Loop: Header=BB162_16 Depth=1
	s_add_i32 s22, s22, 1
	v_add_co_u32_e32 v32, vcc, s22, v30
	v_addc_co_u32_e32 v33, vcc, 0, v31, vcc
	s_add_u32 s4, s6, 3
	v_lshlrev_b64 v[32:33], 3, v[32:33]
	s_addc_u32 s5, s7, 0
	v_mov_b32_e32 v36, s78
	v_add_co_u32_e32 v32, vcc, s77, v32
	v_addc_co_u32_e32 v33, vcc, v36, v33, vcc
	v_pk_mov_b32 v[36:37], s[4:5], s[4:5] op_sel:[0,1]
	global_store_dwordx2 v[32:33], v[36:37], off
	s_and_saveexec_b64 s[4:5], s[42:43]
	s_cbranch_execz .LBB162_78
; %bb.77:                               ;   in Loop: Header=BB162_16 Depth=1
	v_mov_b32_e32 v32, s45
	v_add_co_u32_e32 v33, vcc, s22, v35
	v_addc_co_u32_e32 v32, vcc, v34, v32, vcc
	v_mul_lo_u32 v36, v32, s26
	v_mul_lo_u32 v37, v33, s27
	v_mad_u64_u32 v[32:33], s[46:47], v33, s26, 0
	v_add3_u32 v33, v33, v37, v36
	ds_read2_b64 v[36:39], v58 offset1:1
	v_lshlrev_b64 v[32:33], 4, v[32:33]
	v_add_co_u32_e32 v32, vcc, v18, v32
	v_addc_co_u32_e32 v33, vcc, v13, v33, vcc
	s_waitcnt lgkmcnt(0)
	global_store_dwordx4 v[32:33], v[36:39], off
.LBB162_78:                             ;   in Loop: Header=BB162_16 Depth=1
	s_or_b64 exec, exec, s[4:5]
	ds_read_u8 v32, v15 offset:32772
	s_waitcnt lgkmcnt(0)
	v_cmp_eq_u32_e32 vcc, 0, v32
	s_cbranch_vccnz .LBB162_68
.LBB162_79:                             ;   in Loop: Header=BB162_16 Depth=1
	s_add_i32 s22, s22, 1
	v_add_co_u32_e32 v32, vcc, s22, v30
	v_addc_co_u32_e32 v33, vcc, 0, v31, vcc
	s_add_u32 s4, s6, 4
	v_lshlrev_b64 v[32:33], 3, v[32:33]
	s_addc_u32 s5, s7, 0
	v_mov_b32_e32 v36, s78
	v_add_co_u32_e32 v32, vcc, s77, v32
	v_addc_co_u32_e32 v33, vcc, v36, v33, vcc
	v_pk_mov_b32 v[36:37], s[4:5], s[4:5] op_sel:[0,1]
	global_store_dwordx2 v[32:33], v[36:37], off
	s_and_saveexec_b64 s[4:5], s[42:43]
	s_cbranch_execz .LBB162_81
; %bb.80:                               ;   in Loop: Header=BB162_16 Depth=1
	v_mov_b32_e32 v32, s45
	v_add_co_u32_e32 v33, vcc, s22, v35
	v_addc_co_u32_e32 v32, vcc, v34, v32, vcc
	v_mul_lo_u32 v36, v32, s26
	v_mul_lo_u32 v37, v33, s27
	v_mad_u64_u32 v[32:33], s[46:47], v33, s26, 0
	v_add3_u32 v33, v33, v37, v36
	ds_read2_b64 v[36:39], v59 offset1:1
	v_lshlrev_b64 v[32:33], 4, v[32:33]
	v_add_co_u32_e32 v32, vcc, v18, v32
	v_addc_co_u32_e32 v33, vcc, v13, v33, vcc
	s_waitcnt lgkmcnt(0)
	global_store_dwordx4 v[32:33], v[36:39], off
.LBB162_81:                             ;   in Loop: Header=BB162_16 Depth=1
	s_or_b64 exec, exec, s[4:5]
	ds_read_u8 v32, v15 offset:32773
	s_waitcnt lgkmcnt(0)
	v_cmp_eq_u32_e32 vcc, 0, v32
	s_cbranch_vccnz .LBB162_69
.LBB162_82:                             ;   in Loop: Header=BB162_16 Depth=1
	s_add_i32 s22, s22, 1
	v_add_co_u32_e32 v32, vcc, s22, v30
	v_addc_co_u32_e32 v33, vcc, 0, v31, vcc
	s_add_u32 s4, s6, 5
	v_lshlrev_b64 v[32:33], 3, v[32:33]
	s_addc_u32 s5, s7, 0
	v_mov_b32_e32 v36, s78
	v_add_co_u32_e32 v32, vcc, s77, v32
	v_addc_co_u32_e32 v33, vcc, v36, v33, vcc
	v_pk_mov_b32 v[36:37], s[4:5], s[4:5] op_sel:[0,1]
	global_store_dwordx2 v[32:33], v[36:37], off
	s_and_saveexec_b64 s[4:5], s[42:43]
	s_cbranch_execz .LBB162_84
; %bb.83:                               ;   in Loop: Header=BB162_16 Depth=1
	v_mov_b32_e32 v32, s45
	v_add_co_u32_e32 v33, vcc, s22, v35
	v_addc_co_u32_e32 v32, vcc, v34, v32, vcc
	v_mul_lo_u32 v36, v32, s26
	v_mul_lo_u32 v37, v33, s27
	v_mad_u64_u32 v[32:33], s[46:47], v33, s26, 0
	v_add3_u32 v33, v33, v37, v36
	ds_read2_b64 v[36:39], v60 offset1:1
	v_lshlrev_b64 v[32:33], 4, v[32:33]
	v_add_co_u32_e32 v32, vcc, v18, v32
	v_addc_co_u32_e32 v33, vcc, v13, v33, vcc
	s_waitcnt lgkmcnt(0)
	global_store_dwordx4 v[32:33], v[36:39], off
.LBB162_84:                             ;   in Loop: Header=BB162_16 Depth=1
	s_or_b64 exec, exec, s[4:5]
	ds_read_u8 v32, v15 offset:32774
	s_waitcnt lgkmcnt(0)
	v_cmp_eq_u32_e32 vcc, 0, v32
	s_cbranch_vccnz .LBB162_88
.LBB162_85:                             ;   in Loop: Header=BB162_16 Depth=1
	s_add_i32 s22, s22, 1
	v_add_co_u32_e32 v32, vcc, s22, v30
	v_addc_co_u32_e32 v33, vcc, 0, v31, vcc
	s_add_u32 s4, s6, 6
	v_lshlrev_b64 v[32:33], 3, v[32:33]
	s_addc_u32 s5, s7, 0
	v_mov_b32_e32 v36, s78
	v_add_co_u32_e32 v32, vcc, s77, v32
	v_addc_co_u32_e32 v33, vcc, v36, v33, vcc
	v_pk_mov_b32 v[36:37], s[4:5], s[4:5] op_sel:[0,1]
	global_store_dwordx2 v[32:33], v[36:37], off
	s_and_saveexec_b64 s[4:5], s[42:43]
	s_cbranch_execz .LBB162_87
; %bb.86:                               ;   in Loop: Header=BB162_16 Depth=1
	v_mov_b32_e32 v32, s45
	v_add_co_u32_e32 v33, vcc, s22, v35
	v_addc_co_u32_e32 v32, vcc, v34, v32, vcc
	v_mul_lo_u32 v36, v32, s26
	v_mul_lo_u32 v37, v33, s27
	v_mad_u64_u32 v[32:33], s[46:47], v33, s26, 0
	v_add3_u32 v33, v33, v37, v36
	ds_read2_b64 v[36:39], v61 offset1:1
	v_lshlrev_b64 v[32:33], 4, v[32:33]
	v_add_co_u32_e32 v32, vcc, v18, v32
	v_addc_co_u32_e32 v33, vcc, v13, v33, vcc
	s_waitcnt lgkmcnt(0)
	global_store_dwordx4 v[32:33], v[36:39], off
.LBB162_87:                             ;   in Loop: Header=BB162_16 Depth=1
	s_or_b64 exec, exec, s[4:5]
.LBB162_88:                             ;   in Loop: Header=BB162_16 Depth=1
	ds_read_u8 v32, v15 offset:32775
	s_waitcnt lgkmcnt(0)
	v_readfirstlane_b32 s4, v32
	s_bitcmp1_b32 s4, 0
	s_cselect_b64 s[4:5], -1, 0
	s_and_b64 vcc, exec, s[4:5]
	s_cbranch_vccnz .LBB162_90
; %bb.89:                               ;   in Loop: Header=BB162_16 Depth=1
	v_add_co_u32_e32 v32, vcc, s22, v30
	v_addc_co_u32_e32 v33, vcc, 0, v31, vcc
	s_cbranch_execnz .LBB162_15
	s_branch .LBB162_91
.LBB162_90:                             ;   in Loop: Header=BB162_16 Depth=1
                                        ; implicit-def: $vgpr32_vgpr33
.LBB162_91:                             ;   in Loop: Header=BB162_16 Depth=1
	s_add_i32 s22, s22, 1
	v_add_co_u32_e32 v32, vcc, s22, v30
	v_addc_co_u32_e32 v33, vcc, 0, v31, vcc
	s_add_u32 s4, s6, 7
	v_lshlrev_b64 v[30:31], 3, v[32:33]
	s_addc_u32 s5, s7, 0
	v_mov_b32_e32 v36, s78
	v_add_co_u32_e32 v30, vcc, s77, v30
	v_addc_co_u32_e32 v31, vcc, v36, v31, vcc
	v_pk_mov_b32 v[36:37], s[4:5], s[4:5] op_sel:[0,1]
	global_store_dwordx2 v[30:31], v[36:37], off
	s_and_saveexec_b64 s[4:5], s[42:43]
	s_cbranch_execz .LBB162_14
; %bb.92:                               ;   in Loop: Header=BB162_16 Depth=1
	v_mov_b32_e32 v30, s45
	v_add_co_u32_e32 v31, vcc, s22, v35
	v_addc_co_u32_e32 v30, vcc, v34, v30, vcc
	v_mul_lo_u32 v34, v30, s26
	v_mul_lo_u32 v35, v31, s27
	v_mad_u64_u32 v[30:31], s[6:7], v31, s26, 0
	v_add3_u32 v31, v31, v35, v34
	s_andn2_b64 vcc, exec, s[24:25]
	v_lshlrev_b64 v[30:31], 4, v[30:31]
	s_cbranch_vccnz .LBB162_94
; %bb.93:                               ;   in Loop: Header=BB162_16 Depth=1
	ds_read2_b64 v[34:37], v62 offset1:1
	v_add_co_u32_e32 v38, vcc, v51, v30
	v_addc_co_u32_e32 v39, vcc, v52, v31, vcc
	s_waitcnt lgkmcnt(0)
	global_store_dwordx4 v[38:39], v[34:37], off
	s_cbranch_execnz .LBB162_14
	s_branch .LBB162_95
.LBB162_94:                             ;   in Loop: Header=BB162_16 Depth=1
.LBB162_95:                             ;   in Loop: Header=BB162_16 Depth=1
	ds_read2_b64 v[34:37], v62 offset1:1
	v_add_co_u32_e32 v30, vcc, v53, v30
	v_addc_co_u32_e32 v31, vcc, v54, v31, vcc
	s_waitcnt lgkmcnt(0)
	global_store_dwordx4 v[30:31], v[34:37], off
	s_branch .LBB162_14
.LBB162_96:
	s_endpgm
	.section	.rodata,"a",@progbits
	.p2align	6, 0x0
	.amdhsa_kernel _ZN9rocsparseL31bsrgemm_block_per_row_multipassILj256ELj8ELj16Ell21rocsparse_complex_numIdEEEv20rocsparse_direction_T3_S4_PKS4_S6_NS_24const_host_device_scalarIT4_EEPKT2_S6_PKS8_SC_S6_SE_S9_SC_S6_SE_SC_PS4_PS8_PSA_21rocsparse_index_base_SI_SI_SI_bbb
		.amdhsa_group_segment_fixed_size 36872
		.amdhsa_private_segment_fixed_size 0
		.amdhsa_kernarg_size 196
		.amdhsa_user_sgpr_count 8
		.amdhsa_user_sgpr_private_segment_buffer 1
		.amdhsa_user_sgpr_dispatch_ptr 1
		.amdhsa_user_sgpr_queue_ptr 0
		.amdhsa_user_sgpr_kernarg_segment_ptr 1
		.amdhsa_user_sgpr_dispatch_id 0
		.amdhsa_user_sgpr_flat_scratch_init 0
		.amdhsa_user_sgpr_kernarg_preload_length 0
		.amdhsa_user_sgpr_kernarg_preload_offset 0
		.amdhsa_user_sgpr_private_segment_size 0
		.amdhsa_uses_dynamic_stack 0
		.amdhsa_system_sgpr_private_segment_wavefront_offset 0
		.amdhsa_system_sgpr_workgroup_id_x 1
		.amdhsa_system_sgpr_workgroup_id_y 0
		.amdhsa_system_sgpr_workgroup_id_z 0
		.amdhsa_system_sgpr_workgroup_info 0
		.amdhsa_system_vgpr_workitem_id 2
		.amdhsa_next_free_vgpr 74
		.amdhsa_next_free_sgpr 81
		.amdhsa_accum_offset 76
		.amdhsa_reserve_vcc 1
		.amdhsa_reserve_flat_scratch 0
		.amdhsa_float_round_mode_32 0
		.amdhsa_float_round_mode_16_64 0
		.amdhsa_float_denorm_mode_32 3
		.amdhsa_float_denorm_mode_16_64 3
		.amdhsa_dx10_clamp 1
		.amdhsa_ieee_mode 1
		.amdhsa_fp16_overflow 0
		.amdhsa_tg_split 0
		.amdhsa_exception_fp_ieee_invalid_op 0
		.amdhsa_exception_fp_denorm_src 0
		.amdhsa_exception_fp_ieee_div_zero 0
		.amdhsa_exception_fp_ieee_overflow 0
		.amdhsa_exception_fp_ieee_underflow 0
		.amdhsa_exception_fp_ieee_inexact 0
		.amdhsa_exception_int_div_zero 0
	.end_amdhsa_kernel
	.section	.text._ZN9rocsparseL31bsrgemm_block_per_row_multipassILj256ELj8ELj16Ell21rocsparse_complex_numIdEEEv20rocsparse_direction_T3_S4_PKS4_S6_NS_24const_host_device_scalarIT4_EEPKT2_S6_PKS8_SC_S6_SE_S9_SC_S6_SE_SC_PS4_PS8_PSA_21rocsparse_index_base_SI_SI_SI_bbb,"axG",@progbits,_ZN9rocsparseL31bsrgemm_block_per_row_multipassILj256ELj8ELj16Ell21rocsparse_complex_numIdEEEv20rocsparse_direction_T3_S4_PKS4_S6_NS_24const_host_device_scalarIT4_EEPKT2_S6_PKS8_SC_S6_SE_S9_SC_S6_SE_SC_PS4_PS8_PSA_21rocsparse_index_base_SI_SI_SI_bbb,comdat
.Lfunc_end162:
	.size	_ZN9rocsparseL31bsrgemm_block_per_row_multipassILj256ELj8ELj16Ell21rocsparse_complex_numIdEEEv20rocsparse_direction_T3_S4_PKS4_S6_NS_24const_host_device_scalarIT4_EEPKT2_S6_PKS8_SC_S6_SE_S9_SC_S6_SE_SC_PS4_PS8_PSA_21rocsparse_index_base_SI_SI_SI_bbb, .Lfunc_end162-_ZN9rocsparseL31bsrgemm_block_per_row_multipassILj256ELj8ELj16Ell21rocsparse_complex_numIdEEEv20rocsparse_direction_T3_S4_PKS4_S6_NS_24const_host_device_scalarIT4_EEPKT2_S6_PKS8_SC_S6_SE_S9_SC_S6_SE_SC_PS4_PS8_PSA_21rocsparse_index_base_SI_SI_SI_bbb
                                        ; -- End function
	.section	.AMDGPU.csdata,"",@progbits
; Kernel info:
; codeLenInByte = 4440
; NumSgprs: 85
; NumVgprs: 74
; NumAgprs: 0
; TotalNumVgprs: 74
; ScratchSize: 0
; MemoryBound: 1
; FloatMode: 240
; IeeeMode: 1
; LDSByteSize: 36872 bytes/workgroup (compile time only)
; SGPRBlocks: 10
; VGPRBlocks: 9
; NumSGPRsForWavesPerEU: 85
; NumVGPRsForWavesPerEU: 74
; AccumOffset: 76
; Occupancy: 1
; WaveLimiterHint : 1
; COMPUTE_PGM_RSRC2:SCRATCH_EN: 0
; COMPUTE_PGM_RSRC2:USER_SGPR: 8
; COMPUTE_PGM_RSRC2:TRAP_HANDLER: 0
; COMPUTE_PGM_RSRC2:TGID_X_EN: 1
; COMPUTE_PGM_RSRC2:TGID_Y_EN: 0
; COMPUTE_PGM_RSRC2:TGID_Z_EN: 0
; COMPUTE_PGM_RSRC2:TIDIG_COMP_CNT: 2
; COMPUTE_PGM_RSRC3_GFX90A:ACCUM_OFFSET: 18
; COMPUTE_PGM_RSRC3_GFX90A:TG_SPLIT: 0
	.section	.text._ZN9rocsparseL31bsrgemm_block_per_row_multipassILj256ELj2ELj32Ell21rocsparse_complex_numIdEEEv20rocsparse_direction_T3_S4_PKS4_S6_NS_24const_host_device_scalarIT4_EEPKT2_S6_PKS8_SC_S6_SE_S9_SC_S6_SE_SC_PS4_PS8_PSA_21rocsparse_index_base_SI_SI_SI_bbb,"axG",@progbits,_ZN9rocsparseL31bsrgemm_block_per_row_multipassILj256ELj2ELj32Ell21rocsparse_complex_numIdEEEv20rocsparse_direction_T3_S4_PKS4_S6_NS_24const_host_device_scalarIT4_EEPKT2_S6_PKS8_SC_S6_SE_S9_SC_S6_SE_SC_PS4_PS8_PSA_21rocsparse_index_base_SI_SI_SI_bbb,comdat
	.globl	_ZN9rocsparseL31bsrgemm_block_per_row_multipassILj256ELj2ELj32Ell21rocsparse_complex_numIdEEEv20rocsparse_direction_T3_S4_PKS4_S6_NS_24const_host_device_scalarIT4_EEPKT2_S6_PKS8_SC_S6_SE_S9_SC_S6_SE_SC_PS4_PS8_PSA_21rocsparse_index_base_SI_SI_SI_bbb ; -- Begin function _ZN9rocsparseL31bsrgemm_block_per_row_multipassILj256ELj2ELj32Ell21rocsparse_complex_numIdEEEv20rocsparse_direction_T3_S4_PKS4_S6_NS_24const_host_device_scalarIT4_EEPKT2_S6_PKS8_SC_S6_SE_S9_SC_S6_SE_SC_PS4_PS8_PSA_21rocsparse_index_base_SI_SI_SI_bbb
	.p2align	8
	.type	_ZN9rocsparseL31bsrgemm_block_per_row_multipassILj256ELj2ELj32Ell21rocsparse_complex_numIdEEEv20rocsparse_direction_T3_S4_PKS4_S6_NS_24const_host_device_scalarIT4_EEPKT2_S6_PKS8_SC_S6_SE_S9_SC_S6_SE_SC_PS4_PS8_PSA_21rocsparse_index_base_SI_SI_SI_bbb,@function
_ZN9rocsparseL31bsrgemm_block_per_row_multipassILj256ELj2ELj32Ell21rocsparse_complex_numIdEEEv20rocsparse_direction_T3_S4_PKS4_S6_NS_24const_host_device_scalarIT4_EEPKT2_S6_PKS8_SC_S6_SE_S9_SC_S6_SE_SC_PS4_PS8_PSA_21rocsparse_index_base_SI_SI_SI_bbb: ; @_ZN9rocsparseL31bsrgemm_block_per_row_multipassILj256ELj2ELj32Ell21rocsparse_complex_numIdEEEv20rocsparse_direction_T3_S4_PKS4_S6_NS_24const_host_device_scalarIT4_EEPKT2_S6_PKS8_SC_S6_SE_S9_SC_S6_SE_SC_PS4_PS8_PSA_21rocsparse_index_base_SI_SI_SI_bbb
; %bb.0:
	s_load_dword s9, s[6:7], 0xc0
	s_load_dwordx4 s[28:31], s[6:7], 0xb0
	s_load_dwordx2 s[2:3], s[4:5], 0x4
	s_load_dwordx4 s[16:19], s[6:7], 0x28
	s_load_dwordx4 s[12:15], s[6:7], 0x68
	v_and_b32_e32 v74, 0x3ff, v0
	s_waitcnt lgkmcnt(0)
	s_bitcmp1_b32 s9, 0
	s_cselect_b64 s[10:11], -1, 0
	s_bitcmp1_b32 s9, 16
	s_cselect_b64 s[0:1], -1, 0
	s_lshr_b32 s2, s2, 16
	s_mul_i32 s2, s2, s3
	v_mul_lo_u32 v1, s2, v74
	v_bfe_u32 v2, v0, 10, 10
	v_mad_u32_u24 v1, v2, s3, v1
	v_bfe_u32 v0, v0, 20, 10
	v_add_lshl_u32 v0, v1, v0, 3
	v_pk_mov_b32 v[2:3], s[16:17], s[16:17] op_sel:[0,1]
	v_pk_mov_b32 v[4:5], s[12:13], s[12:13] op_sel:[0,1]
	v_add_u32_e32 v1, 8, v0
	s_xor_b64 s[2:3], s[0:1], -1
	ds_write2st64_b64 v1, v[4:5], v[2:3] offset0:64 offset1:68
	v_pk_mov_b32 v[6:7], 0, 0
	v_cndmask_b32_e64 v1, 0, 1, s[2:3]
	s_bitcmp0_b32 s9, 0
	v_cmp_ne_u32_e64 s[2:3], 1, v1
	v_pk_mov_b32 v[4:5], v[6:7], v[6:7] op_sel:[0,1]
	v_pk_mov_b32 v[8:9], v[6:7], v[6:7] op_sel:[0,1]
	s_cbranch_scc1 .LBB163_3
; %bb.1:
	s_mov_b64 s[4:5], src_shared_base
	s_and_b64 s[20:21], s[0:1], exec
	v_add_u32_e32 v1, 0x8808, v0
	s_cselect_b32 s4, s5, s17
	v_mov_b32_e32 v2, s16
	v_cndmask_b32_e64 v2, v2, v1, s[0:1]
	v_mov_b32_e32 v3, s4
	flat_load_dwordx2 v[4:5], v[2:3]
	s_and_b64 vcc, exec, s[2:3]
	v_pk_mov_b32 v[8:9], s[18:19], s[18:19] op_sel:[0,1]
	s_cbranch_vccnz .LBB163_3
; %bb.2:
	v_pk_mov_b32 v[2:3], s[16:17], s[16:17] op_sel:[0,1]
	flat_load_dwordx2 v[8:9], v[2:3] offset:8
.LBB163_3:
	s_load_dwordx2 s[4:5], s[6:7], 0x20
	s_bitcmp1_b32 s9, 8
	s_cselect_b64 s[34:35], -1, 0
	s_bfe_u32 s9, s9, 0x10008
	s_cmp_eq_u32 s9, 0
	v_pk_mov_b32 v[10:11], v[6:7], v[6:7] op_sel:[0,1]
	s_cbranch_scc1 .LBB163_6
; %bb.4:
	s_mov_b64 s[16:17], src_shared_base
	s_and_b64 s[18:19], s[0:1], exec
	v_add_u32_e32 v0, 0x8008, v0
	s_cselect_b32 s9, s17, s13
	v_mov_b32_e32 v1, s12
	v_cndmask_b32_e64 v0, v1, v0, s[0:1]
	v_mov_b32_e32 v1, s9
	flat_load_dwordx2 v[10:11], v[0:1]
	s_and_b64 vcc, exec, s[2:3]
	v_pk_mov_b32 v[6:7], s[14:15], s[14:15] op_sel:[0,1]
	s_cbranch_vccnz .LBB163_6
; %bb.5:
	v_pk_mov_b32 v[0:1], s[12:13], s[12:13] op_sel:[0,1]
	flat_load_dwordx2 v[6:7], v[0:1] offset:8
.LBB163_6:
	s_load_dwordx2 s[2:3], s[6:7], 0x38
	s_waitcnt lgkmcnt(0)
	s_cmp_eq_u64 s[4:5], 0
	s_mov_b32 s9, 0
	s_cbranch_scc1 .LBB163_8
; %bb.7:
	s_load_dwordx2 s[0:1], s[6:7], 0x18
	s_waitcnt lgkmcnt(0)
	s_load_dwordx2 s[0:1], s[0:1], 0x0
	s_waitcnt lgkmcnt(0)
	s_lshl_b64 s[0:1], s[0:1], 3
	s_add_u32 s4, s4, s0
	s_addc_u32 s5, s5, s1
	s_lshl_b64 s[0:1], s[8:9], 3
	s_add_u32 s0, s4, s0
	s_addc_u32 s1, s5, s1
	s_load_dwordx2 s[8:9], s[0:1], 0x0
.LBB163_8:
	v_cndmask_b32_e64 v0, 0, 1, s[10:11]
	s_mov_b64 s[44:45], 0
	v_cmp_ne_u32_e64 s[0:1], 1, v0
	s_andn2_b64 vcc, exec, s[10:11]
	s_mov_b64 s[46:47], 0
	s_cbranch_vccz .LBB163_11
; %bb.9:
	s_and_b64 vcc, exec, s[0:1]
	s_cbranch_vccz .LBB163_12
.LBB163_10:
	s_load_dwordx4 s[36:39], s[6:7], 0x8
	s_waitcnt lgkmcnt(0)
	v_cmp_lt_i64_e64 s[0:1], s[36:37], 1
	s_and_b64 vcc, exec, s[0:1]
	s_cbranch_vccz .LBB163_13
	s_branch .LBB163_115
.LBB163_11:
	s_waitcnt lgkmcnt(0)
	s_lshl_b64 s[4:5], s[8:9], 3
	s_add_u32 s4, s2, s4
	s_addc_u32 s5, s3, s5
	s_load_dwordx2 s[4:5], s[4:5], 0x0
	s_waitcnt lgkmcnt(0)
	s_sub_u32 s46, s4, s28
	s_subb_u32 s47, s5, 0
	s_and_b64 vcc, exec, s[0:1]
	s_cbranch_vccnz .LBB163_10
.LBB163_12:
	s_waitcnt lgkmcnt(0)
	s_lshl_b64 s[0:1], s[8:9], 3
	s_add_u32 s0, s2, s0
	s_addc_u32 s1, s3, s1
	s_load_dwordx2 s[0:1], s[0:1], 0x8
	s_waitcnt lgkmcnt(0)
	s_sub_u32 s44, s0, s28
	s_subb_u32 s45, s1, 0
	s_load_dwordx4 s[36:39], s[6:7], 0x8
	s_waitcnt lgkmcnt(0)
	v_cmp_lt_i64_e64 s[0:1], s[36:37], 1
	s_and_b64 vcc, exec, s[0:1]
	s_cbranch_vccnz .LBB163_115
.LBB163_13:
	s_load_dwordx8 s[12:19], s[6:7], 0x78
	s_load_dwordx2 s[48:49], s[6:7], 0xa8
	s_load_dwordx4 s[40:43], s[6:7], 0x98
	s_load_dwordx2 s[68:69], s[6:7], 0x60
	s_load_dwordx8 s[20:27], s[6:7], 0x40
	s_lshl_b64 s[54:55], s[8:9], 3
	s_waitcnt lgkmcnt(0)
	s_add_u32 s0, s18, s54
	s_addc_u32 s1, s19, s55
	s_load_dwordx2 s[0:1], s[0:1], 0x0
	v_lshrrev_b32_e32 v0, 3, v74
	s_load_dword s6, s[6:7], 0x0
	s_mul_hi_u32 s7, s38, s38
	v_pk_mov_b32 v[2:3], s[44:45], s[44:45] op_sel:[0,1]
	s_waitcnt lgkmcnt(0)
	s_sub_u32 s8, s0, s30
	s_subb_u32 s9, s1, 0
	s_cmp_eq_u32 s6, 0
	s_cselect_b64 s[2:3], -1, 0
	s_cmp_lg_u32 s6, 0
	s_mul_i32 s6, s38, s39
	s_cselect_b64 s[50:51], -1, 0
	s_add_i32 s7, s7, s6
	v_cmp_lt_i64_e32 vcc, s[46:47], v[2:3]
	s_add_i32 s53, s7, s6
	v_mad_u64_u32 v[2:3], s[6:7], v0, s38, 0
	v_mov_b32_e32 v13, 0
	v_mov_b32_e32 v14, v3
	;; [unrolled: 1-line block ×3, first 2 shown]
	v_mad_u64_u32 v[14:15], s[6:7], v0, s39, v[14:15]
	v_mov_b32_e32 v3, v14
	v_lshlrev_b64 v[14:15], 4, v[0:1]
	v_cmp_gt_u64_e64 s[4:5], s[38:39], v[0:1]
	v_mov_b32_e32 v1, s43
	v_add_co_u32_e64 v76, s[6:7], s42, v14
	v_addc_co_u32_e64 v77, s[6:7], v1, v15, s[6:7]
	v_lshlrev_b64 v[2:3], 4, v[2:3]
	v_and_b32_e32 v12, 7, v74
	v_add_co_u32_e64 v78, s[6:7], s42, v2
	v_addc_co_u32_e64 v79, s[6:7], v1, v3, s[6:7]
	v_mad_u64_u32 v[14:15], s[6:7], v12, s38, 0
	v_mov_b32_e32 v2, v15
	s_add_u32 s12, s12, s54
	v_mad_u64_u32 v[2:3], s[6:7], v12, s39, v[2:3]
	s_addc_u32 s13, s13, s55
	s_and_b64 s[42:43], s[10:11], vcc
	v_cmp_gt_i64_e32 vcc, s[38:39], v[12:13]
	v_mov_b32_e32 v15, v2
	v_or_b32_e32 v2, 8, v12
	v_mov_b32_e32 v3, v13
	s_and_b64 s[54:55], vcc, s[4:5]
	v_cmp_gt_i64_e32 vcc, s[38:39], v[2:3]
	v_mad_u64_u32 v[16:17], s[6:7], v2, s38, 0
	v_or_b32_e32 v22, 16, v12
	v_mov_b32_e32 v23, v13
	s_and_b64 s[56:57], vcc, s[4:5]
	v_mov_b32_e32 v18, v17
	v_cmp_gt_i64_e32 vcc, s[38:39], v[22:23]
	v_or_b32_e32 v24, 24, v12
	v_mov_b32_e32 v25, v13
	v_mad_u64_u32 v[18:19], s[6:7], v2, s39, v[18:19]
	s_and_b64 s[58:59], vcc, s[4:5]
	v_cmp_gt_i64_e32 vcc, s[38:39], v[24:25]
	v_mov_b32_e32 v17, v18
	v_mad_u64_u32 v[18:19], s[6:7], v22, s38, 0
	s_and_b64 s[60:61], vcc, s[4:5]
	v_mov_b32_e32 v20, v19
	s_add_u32 s33, s24, 8
	s_mul_i32 s52, s38, s38
	v_mad_u64_u32 v[20:21], s[6:7], v22, s39, v[20:21]
	s_addc_u32 s88, s25, 0
	v_lshlrev_b32_e32 v75, 5, v0
	s_add_u32 s89, s40, -8
	s_mul_i32 s6, s46, s53
	s_mul_hi_u32 s7, s46, s52
	v_or_b32_e32 v1, v75, v12
	s_addc_u32 s90, s41, -1
	s_add_i32 s6, s7, s6
	s_mul_i32 s7, s47, s52
	v_mov_b32_e32 v19, v20
	v_mad_u64_u32 v[20:21], s[4:5], v24, s38, 0
	v_lshlrev_b32_e32 v80, 4, v1
	v_or_b32_e32 v1, v75, v2
	v_mov_b32_e32 v2, 0x4000
	s_add_i32 s7, s6, s7
	s_mul_i32 s6, s46, s52
	v_mov_b32_e32 v26, v21
	v_lshl_add_u32 v85, v1, 4, v2
	v_or_b32_e32 v1, v75, v22
	s_lshl_b64 s[6:7], s[6:7], 4
	v_mad_u64_u32 v[26:27], s[4:5], v24, s39, v[26:27]
	v_lshl_add_u32 v86, v1, 4, v2
	v_or_b32_e32 v1, v75, v24
	s_add_u32 s6, s22, s6
	v_lshl_add_u32 v87, v1, 4, v2
	v_or_b32_e32 v1, 0x400, v74
	s_movk_i32 s4, 0x700
	v_lshlrev_b32_e32 v22, 4, v0
	s_addc_u32 s7, s23, s7
	v_cmp_gt_u32_e64 s[4:5], s4, v1
	v_mov_b32_e32 v0, s7
	v_add_co_u32_e32 v1, vcc, s6, v22
	v_addc_co_u32_e32 v0, vcc, 0, v0, vcc
	v_add_co_u32_e32 v24, vcc, 8, v1
	v_mov_b32_e32 v21, v26
	v_addc_co_u32_e32 v25, vcc, 0, v0, vcc
	s_lshl_b64 s[62:63], s[52:53], 4
	s_lshl_b64 s[64:65], s[38:39], 4
	v_lshlrev_b32_e32 v26, 4, v12
	s_add_u32 s66, s68, 8
	v_mov_b32_e32 v0, s69
	v_add_co_u32_e32 v2, vcc, s68, v26
	s_mul_i32 s6, s46, s39
	s_mul_hi_u32 s7, s46, s38
	s_addc_u32 s67, s69, 0
	v_addc_co_u32_e32 v3, vcc, 0, v0, vcc
	s_add_i32 s6, s7, s6
	s_mul_i32 s7, s47, s38
	v_add_co_u32_e32 v28, vcc, 8, v2
	s_add_i32 s7, s6, s7
	s_mul_i32 s6, s46, s38
	v_addc_co_u32_e32 v29, vcc, 0, v3, vcc
	s_lshl_b64 s[6:7], s[6:7], 4
	v_mov_b32_e32 v0, s7
	v_add_co_u32_e32 v30, vcc, s6, v22
	v_addc_co_u32_e32 v0, vcc, 0, v0, vcc
	v_mul_lo_u32 v31, s38, v0
	v_pk_mov_b32 v[0:1], s[22:23], s[22:23] op_sel:[0,1]
	v_mul_lo_u32 v32, s39, v30
	v_mad_u64_u32 v[0:1], s[6:7], s38, v30, v[0:1]
	v_add3_u32 v1, v32, v1, v31
	v_add_co_u32_e32 v30, vcc, 8, v0
	v_addc_co_u32_e32 v31, vcc, 0, v1, vcc
	v_or_b32_e32 v32, 0x80, v26
	v_mov_b32_e32 v0, s69
	v_add_co_u32_e32 v34, vcc, s68, v32
	v_addc_co_u32_e32 v35, vcc, 0, v0, vcc
	v_or_b32_e32 v36, 0x100, v26
	v_add_co_u32_e32 v38, vcc, s68, v36
	s_mov_b32 s19, 0
	s_mov_b32 s18, s31
	v_addc_co_u32_e32 v39, vcc, 0, v0, vcc
	s_movk_i32 s6, 0x188
	v_add_co_u32_e32 v42, vcc, s6, v2
	s_lshl_b64 s[6:7], s[18:19], 3
	s_sub_u32 s91, s14, s6
	s_subb_u32 s92, s15, s7
	v_pk_mov_b32 v[44:45], s[8:9], s[8:9] op_sel:[0,1]
	s_mov_b32 s8, s19
	s_mov_b32 s9, s19
	v_addc_co_u32_e32 v43, vcc, 0, v3, vcc
	s_sub_u32 s31, 1, s31
	s_mov_b32 s10, s19
	s_mov_b32 s11, s19
	v_pk_mov_b32 v[0:1], s[8:9], s[8:9] op_sel:[0,1]
	v_cmp_gt_u32_e64 s[0:1], 2, v74
	v_or_b32_e32 v81, 0x80, v80
	v_or_b32_e32 v82, 0x100, v80
	;; [unrolled: 1-line block ×3, first 2 shown]
	v_add_u32_e32 v84, 0x4000, v80
	v_lshlrev_b32_e32 v88, 4, v74
	v_mov_b32_e32 v27, v13
	v_mov_b32_e32 v33, v13
	;; [unrolled: 1-line block ×3, first 2 shown]
	v_or_b32_e32 v40, 0x180, v26
	v_mov_b32_e32 v41, v13
	s_subb_u32 s93, 0, 0
	s_mov_b64 s[22:23], 2
	s_mov_b64 s[14:15], 0
	v_pk_mov_b32 v[2:3], s[10:11], s[10:11] op_sel:[0,1]
	v_cndmask_b32_e64 v89, 0, 1, s[50:51]
	v_mov_b32_e32 v90, s65
	v_mov_b32_e32 v91, 1
	s_branch .LBB163_16
.LBB163_14:                             ;   in Loop: Header=BB163_16 Depth=1
	s_or_b64 exec, exec, s[6:7]
.LBB163_15:                             ;   in Loop: Header=BB163_16 Depth=1
	v_pk_mov_b32 v[44:45], s[36:37], s[36:37] op_sel:[0,1]
	v_cmp_lt_i64_e32 vcc, s[80:81], v[44:45]
	s_and_b64 vcc, vcc, exec
	s_cselect_b32 s14, s80, s36
	s_cselect_b32 s15, s81, s37
	s_add_u32 s22, s14, 2
	s_addc_u32 s23, s15, 0
	v_pk_mov_b32 v[44:45], v[46:47], v[46:47] op_sel:[0,1]
	s_barrier
	s_barrier
	s_cbranch_vccz .LBB163_115
.LBB163_16:                             ; =>This Loop Header: Depth=1
                                        ;     Child Loop BB163_22 Depth 2
                                        ;       Child Loop BB163_27 Depth 3
                                        ;         Child Loop BB163_42 Depth 4
                                        ;         Child Loop BB163_38 Depth 4
	;; [unrolled: 1-line block ×8, first 2 shown]
                                        ;     Child Loop BB163_80 Depth 2
	s_and_saveexec_b64 s[6:7], s[0:1]
	s_cbranch_execz .LBB163_18
; %bb.17:                               ;   in Loop: Header=BB163_16 Depth=1
	ds_write_b8 v74, v13 offset:32768
.LBB163_18:                             ;   in Loop: Header=BB163_16 Depth=1
	s_or_b64 exec, exec, s[6:7]
	ds_write_b128 v88, v[0:3]
	ds_write_b128 v88, v[0:3] offset:4096
	ds_write_b128 v88, v[0:3] offset:8192
	;; [unrolled: 1-line block ×4, first 2 shown]
	s_and_saveexec_b64 s[6:7], s[4:5]
	s_xor_b64 s[6:7], exec, s[6:7]
	s_cbranch_execz .LBB163_20
; %bb.19:                               ;   in Loop: Header=BB163_16 Depth=1
	ds_write_b128 v88, v[0:3] offset:20480
	ds_write_b128 v88, v[0:3] offset:24576
	;; [unrolled: 1-line block ×3, first 2 shown]
.LBB163_20:                             ;   in Loop: Header=BB163_16 Depth=1
	s_or_b64 exec, exec, s[6:7]
	s_andn2_b64 vcc, exec, s[42:43]
	s_mov_b64 s[80:81], s[36:37]
	s_waitcnt lgkmcnt(0)
	s_barrier
	s_cbranch_vccnz .LBB163_75
; %bb.21:                               ;   in Loop: Header=BB163_16 Depth=1
	s_cmp_lg_u64 s[14:15], 0
	s_cselect_b64 s[10:11], -1, 0
	v_pk_mov_b32 v[46:47], v[30:31], v[30:31] op_sel:[0,1]
	v_pk_mov_b32 v[48:49], v[24:25], v[24:25] op_sel:[0,1]
	s_mov_b64 s[72:73], s[36:37]
	s_mov_b64 s[68:69], s[46:47]
.LBB163_22:                             ;   Parent Loop BB163_16 Depth=1
                                        ; =>  This Loop Header: Depth=2
                                        ;       Child Loop BB163_27 Depth 3
                                        ;         Child Loop BB163_42 Depth 4
                                        ;         Child Loop BB163_38 Depth 4
	;; [unrolled: 1-line block ×8, first 2 shown]
	s_lshl_b64 s[70:71], s[68:69], 3
	s_add_u32 s6, s20, s70
	s_addc_u32 s7, s21, s71
	s_load_dwordx2 s[6:7], s[6:7], 0x0
	s_waitcnt lgkmcnt(0)
	s_sub_u32 s6, s6, s28
	s_subb_u32 s7, s7, 0
	s_and_b64 vcc, exec, s[10:11]
	s_cbranch_vccz .LBB163_74
; %bb.23:                               ;   in Loop: Header=BB163_22 Depth=2
	s_add_u32 s8, s48, s70
	s_addc_u32 s9, s49, s71
	global_load_dwordx2 v[50:51], v13, s[8:9]
	s_waitcnt vmcnt(0)
	v_readfirstlane_b32 s76, v50
	v_readfirstlane_b32 s77, v51
	s_cbranch_execnz .LBB163_25
.LBB163_24:                             ;   in Loop: Header=BB163_22 Depth=2
	s_lshl_b64 s[8:9], s[6:7], 3
	s_add_u32 s8, s24, s8
	s_addc_u32 s9, s25, s9
	s_load_dwordx2 s[8:9], s[8:9], 0x0
	s_waitcnt lgkmcnt(0)
	s_sub_u32 s76, s8, s29
	s_subb_u32 s77, s9, 0
.LBB163_25:                             ;   in Loop: Header=BB163_22 Depth=2
	s_lshl_b64 s[6:7], s[6:7], 3
	s_add_u32 s6, s33, s6
	s_addc_u32 s7, s88, s7
	s_load_dwordx2 s[6:7], s[6:7], 0x0
	s_waitcnt lgkmcnt(0)
	s_sub_u32 s74, s6, s29
	s_subb_u32 s75, s7, 0
	v_pk_mov_b32 v[50:51], s[74:75], s[74:75] op_sel:[0,1]
	v_cmp_ge_i64_e32 vcc, s[76:77], v[50:51]
	s_cbranch_vccnz .LBB163_71
; %bb.26:                               ;   in Loop: Header=BB163_22 Depth=2
	v_mov_b32_e32 v66, s76
	v_mad_u64_u32 v[50:51], s[6:7], s64, v66, v[26:27]
	s_mul_i32 s6, s65, s76
	s_mul_i32 s7, s64, s77
	s_add_i32 s8, s7, s6
	v_add_u32_e32 v51, s8, v51
	v_pk_mov_b32 v[62:63], s[66:67], s[66:67] op_sel:[0,1]
	v_mul_lo_u32 v52, s38, v51
	v_mul_lo_u32 v53, s39, v50
	v_mad_u64_u32 v[50:51], s[6:7], s38, v50, v[62:63]
	v_add3_u32 v51, v53, v51, v52
	v_mad_u64_u32 v[52:53], s[6:7], s62, v66, v[28:29]
	s_mul_i32 s6, s63, s76
	s_mul_i32 s7, s62, s77
	s_add_i32 s9, s7, s6
	v_mad_u64_u32 v[54:55], s[6:7], s64, v66, v[32:33]
	v_mad_u64_u32 v[58:59], s[6:7], s64, v66, v[36:37]
	;; [unrolled: 1-line block ×3, first 2 shown]
	v_add_u32_e32 v55, s8, v55
	v_add_u32_e32 v59, s8, v59
	;; [unrolled: 1-line block ×3, first 2 shown]
	v_mul_lo_u32 v56, s38, v55
	v_mul_lo_u32 v57, s39, v54
	v_mad_u64_u32 v[54:55], s[6:7], s38, v54, v[62:63]
	v_mul_lo_u32 v60, s38, v59
	v_mul_lo_u32 v61, s39, v58
	v_mad_u64_u32 v[58:59], s[6:7], s38, v58, v[62:63]
	;; [unrolled: 3-line block ×3, first 2 shown]
	v_add3_u32 v55, v57, v55, v56
	v_mad_u64_u32 v[56:57], s[6:7], s62, v66, v[34:35]
	v_add3_u32 v59, v61, v59, v60
	v_mad_u64_u32 v[60:61], s[6:7], s62, v66, v[38:39]
	v_add3_u32 v63, v67, v63, v65
	v_mad_u64_u32 v[64:65], s[6:7], s62, v66, v[42:43]
	v_add_u32_e32 v53, s9, v53
	v_add_u32_e32 v57, s9, v57
	;; [unrolled: 1-line block ×4, first 2 shown]
	s_mov_b64 s[78:79], s[76:77]
.LBB163_27:                             ;   Parent Loop BB163_16 Depth=1
                                        ;     Parent Loop BB163_22 Depth=2
                                        ; =>    This Loop Header: Depth=3
                                        ;         Child Loop BB163_42 Depth 4
                                        ;         Child Loop BB163_38 Depth 4
	;; [unrolled: 1-line block ×8, first 2 shown]
	s_lshl_b64 s[6:7], s[78:79], 3
	s_add_u32 s6, s26, s6
	s_addc_u32 s7, s27, s7
	s_load_dwordx2 s[6:7], s[6:7], 0x0
	v_pk_mov_b32 v[66:67], s[14:15], s[14:15] op_sel:[0,1]
	v_pk_mov_b32 v[68:69], s[22:23], s[22:23] op_sel:[0,1]
	s_mov_b64 s[86:87], -1
                                        ; implicit-def: $sgpr80_sgpr81
                                        ; implicit-def: $sgpr84_sgpr85
	s_waitcnt lgkmcnt(0)
	s_sub_u32 s82, s6, s29
	s_subb_u32 s83, s7, 0
	v_cmp_ge_i64_e32 vcc, s[82:83], v[66:67]
	v_cmp_lt_i64_e64 s[8:9], s[82:83], v[68:69]
	s_and_b64 s[8:9], vcc, s[8:9]
	v_cmp_ge_i64_e64 s[6:7], s[82:83], v[68:69]
	s_andn2_b64 vcc, exec, s[8:9]
                                        ; implicit-def: $sgpr8_sgpr9
	s_cbranch_vccz .LBB163_31
; %bb.28:                               ;   in Loop: Header=BB163_27 Depth=3
	s_mov_b64 s[84:85], -1
	s_andn2_b64 vcc, exec, s[6:7]
	s_mov_b64 s[80:81], s[72:73]
	s_mov_b64 s[8:9], s[76:77]
	s_cbranch_vccnz .LBB163_30
; %bb.29:                               ;   in Loop: Header=BB163_27 Depth=3
	v_pk_mov_b32 v[66:67], s[72:73], s[72:73] op_sel:[0,1]
	v_cmp_lt_i64_e32 vcc, s[82:83], v[66:67]
	s_and_b64 s[6:7], vcc, exec
	s_cselect_b32 s81, s83, s73
	s_cselect_b32 s80, s82, s72
	s_mov_b64 s[84:85], 0
	s_mov_b64 s[8:9], s[78:79]
.LBB163_30:                             ;   in Loop: Header=BB163_27 Depth=3
	s_mov_b64 s[86:87], 0
.LBB163_31:                             ;   in Loop: Header=BB163_27 Depth=3
	s_andn2_b64 vcc, exec, s[86:87]
	s_cbranch_vccnz .LBB163_69
; %bb.32:                               ;   in Loop: Header=BB163_27 Depth=3
	s_sub_i32 s6, s82, s14
	v_mov_b32_e32 v66, s6
	v_lshl_add_u32 v92, s6, 10, v75
	v_cmp_ne_u32_e64 s[6:7], 1, v89
	ds_write_b8 v66, v91 offset:32768
	s_and_saveexec_b64 s[8:9], s[54:55]
	s_cbranch_execnz .LBB163_36
; %bb.33:                               ;   in Loop: Header=BB163_27 Depth=3
	s_or_b64 exec, exec, s[8:9]
	s_and_saveexec_b64 s[8:9], s[56:57]
	s_cbranch_execnz .LBB163_44
.LBB163_34:                             ;   in Loop: Header=BB163_27 Depth=3
	s_or_b64 exec, exec, s[8:9]
	s_and_saveexec_b64 s[8:9], s[58:59]
	s_cbranch_execnz .LBB163_52
.LBB163_35:                             ;   in Loop: Header=BB163_27 Depth=3
	s_or_b64 exec, exec, s[8:9]
	s_and_saveexec_b64 s[8:9], s[60:61]
	s_cbranch_execnz .LBB163_60
	s_branch .LBB163_68
.LBB163_36:                             ;   in Loop: Header=BB163_27 Depth=3
	s_and_b64 vcc, exec, s[6:7]
	s_cbranch_vccnz .LBB163_40
; %bb.37:                               ;   in Loop: Header=BB163_27 Depth=3
	v_pk_mov_b32 v[66:67], 0, 0
	s_mov_b64 s[80:81], s[38:39]
	v_pk_mov_b32 v[70:71], v[50:51], v[50:51] op_sel:[0,1]
	v_pk_mov_b32 v[72:73], v[48:49], v[48:49] op_sel:[0,1]
	;; [unrolled: 1-line block ×3, first 2 shown]
.LBB163_38:                             ;   Parent Loop BB163_16 Depth=1
                                        ;     Parent Loop BB163_22 Depth=2
                                        ;       Parent Loop BB163_27 Depth=3
                                        ; =>      This Inner Loop Header: Depth=4
	global_load_dwordx4 v[94:97], v[72:73], off offset:-8
	global_load_dwordx4 v[98:101], v[70:71], off offset:-8
	v_add_co_u32_e32 v72, vcc, s64, v72
	v_addc_co_u32_e32 v73, vcc, v73, v90, vcc
	s_add_u32 s80, s80, -1
	v_add_co_u32_e32 v70, vcc, 16, v70
	s_addc_u32 s81, s81, -1
	v_addc_co_u32_e32 v71, vcc, 0, v71, vcc
	s_cmp_lg_u64 s[80:81], 0
	s_waitcnt vmcnt(0)
	v_fmac_f64_e32 v[66:67], v[94:95], v[98:99]
	v_fmac_f64_e32 v[68:69], v[96:97], v[98:99]
	v_fma_f64 v[66:67], -v[96:97], v[100:101], v[66:67]
	v_fmac_f64_e32 v[68:69], v[94:95], v[100:101]
	s_cbranch_scc1 .LBB163_38
; %bb.39:                               ;   in Loop: Header=BB163_27 Depth=3
	s_branch .LBB163_43
.LBB163_40:                             ;   in Loop: Header=BB163_27 Depth=3
                                        ; implicit-def: $vgpr66_vgpr67
                                        ; implicit-def: $vgpr68_vgpr69
	s_cbranch_execz .LBB163_43
; %bb.41:                               ;   in Loop: Header=BB163_27 Depth=3
	v_pk_mov_b32 v[66:67], 0, 0
	s_mov_b64 s[80:81], s[38:39]
	v_pk_mov_b32 v[70:71], v[46:47], v[46:47] op_sel:[0,1]
	v_pk_mov_b32 v[72:73], v[52:53], v[52:53] op_sel:[0,1]
	v_pk_mov_b32 v[68:69], v[66:67], v[66:67] op_sel:[0,1]
.LBB163_42:                             ;   Parent Loop BB163_16 Depth=1
                                        ;     Parent Loop BB163_22 Depth=2
                                        ;       Parent Loop BB163_27 Depth=3
                                        ; =>      This Inner Loop Header: Depth=4
	global_load_dwordx4 v[94:97], v[70:71], off offset:-8
	global_load_dwordx4 v[98:101], v[72:73], off offset:-8
	v_add_co_u32_e32 v72, vcc, s64, v72
	v_addc_co_u32_e32 v73, vcc, v73, v90, vcc
	s_add_u32 s80, s80, -1
	v_add_co_u32_e32 v70, vcc, 16, v70
	s_addc_u32 s81, s81, -1
	v_addc_co_u32_e32 v71, vcc, 0, v71, vcc
	s_cmp_eq_u64 s[80:81], 0
	s_waitcnt vmcnt(0)
	v_fmac_f64_e32 v[66:67], v[94:95], v[98:99]
	v_fmac_f64_e32 v[68:69], v[96:97], v[98:99]
	v_fma_f64 v[66:67], -v[96:97], v[100:101], v[66:67]
	v_fmac_f64_e32 v[68:69], v[94:95], v[100:101]
	s_cbranch_scc0 .LBB163_42
.LBB163_43:                             ;   in Loop: Header=BB163_27 Depth=3
	v_or_b32_e32 v70, v92, v12
	v_lshlrev_b32_e32 v93, 4, v70
	ds_read_b128 v[70:73], v93
	s_waitcnt vmcnt(0) lgkmcnt(0)
	v_fmac_f64_e32 v[70:71], v[4:5], v[66:67]
	v_fmac_f64_e32 v[72:73], v[8:9], v[66:67]
	v_fma_f64 v[70:71], -v[8:9], v[68:69], v[70:71]
	v_fmac_f64_e32 v[72:73], v[4:5], v[68:69]
	ds_write_b128 v93, v[70:73]
	s_or_b64 exec, exec, s[8:9]
	s_and_saveexec_b64 s[8:9], s[56:57]
	s_cbranch_execz .LBB163_34
.LBB163_44:                             ;   in Loop: Header=BB163_27 Depth=3
	s_and_b64 vcc, exec, s[6:7]
	s_cbranch_vccnz .LBB163_48
; %bb.45:                               ;   in Loop: Header=BB163_27 Depth=3
	v_pk_mov_b32 v[66:67], 0, 0
	s_mov_b64 s[80:81], s[38:39]
	v_pk_mov_b32 v[70:71], v[54:55], v[54:55] op_sel:[0,1]
	v_pk_mov_b32 v[72:73], v[48:49], v[48:49] op_sel:[0,1]
	;; [unrolled: 1-line block ×3, first 2 shown]
.LBB163_46:                             ;   Parent Loop BB163_16 Depth=1
                                        ;     Parent Loop BB163_22 Depth=2
                                        ;       Parent Loop BB163_27 Depth=3
                                        ; =>      This Inner Loop Header: Depth=4
	global_load_dwordx4 v[94:97], v[72:73], off offset:-8
	global_load_dwordx4 v[98:101], v[70:71], off offset:-8
	v_add_co_u32_e32 v72, vcc, s64, v72
	v_addc_co_u32_e32 v73, vcc, v73, v90, vcc
	s_add_u32 s80, s80, -1
	v_add_co_u32_e32 v70, vcc, 16, v70
	s_addc_u32 s81, s81, -1
	v_addc_co_u32_e32 v71, vcc, 0, v71, vcc
	s_cmp_eq_u64 s[80:81], 0
	s_waitcnt vmcnt(0)
	v_fmac_f64_e32 v[66:67], v[94:95], v[98:99]
	v_fmac_f64_e32 v[68:69], v[96:97], v[98:99]
	v_fma_f64 v[66:67], -v[96:97], v[100:101], v[66:67]
	v_fmac_f64_e32 v[68:69], v[94:95], v[100:101]
	s_cbranch_scc0 .LBB163_46
; %bb.47:                               ;   in Loop: Header=BB163_27 Depth=3
	s_branch .LBB163_51
.LBB163_48:                             ;   in Loop: Header=BB163_27 Depth=3
                                        ; implicit-def: $vgpr66_vgpr67
                                        ; implicit-def: $vgpr68_vgpr69
	s_cbranch_execz .LBB163_51
; %bb.49:                               ;   in Loop: Header=BB163_27 Depth=3
	v_pk_mov_b32 v[66:67], 0, 0
	s_mov_b64 s[80:81], s[38:39]
	v_pk_mov_b32 v[70:71], v[46:47], v[46:47] op_sel:[0,1]
	v_pk_mov_b32 v[72:73], v[56:57], v[56:57] op_sel:[0,1]
	;; [unrolled: 1-line block ×3, first 2 shown]
.LBB163_50:                             ;   Parent Loop BB163_16 Depth=1
                                        ;     Parent Loop BB163_22 Depth=2
                                        ;       Parent Loop BB163_27 Depth=3
                                        ; =>      This Inner Loop Header: Depth=4
	global_load_dwordx4 v[94:97], v[70:71], off offset:-8
	global_load_dwordx4 v[98:101], v[72:73], off
	v_add_co_u32_e32 v72, vcc, s64, v72
	v_addc_co_u32_e32 v73, vcc, v73, v90, vcc
	s_add_u32 s80, s80, -1
	v_add_co_u32_e32 v70, vcc, 16, v70
	s_addc_u32 s81, s81, -1
	v_addc_co_u32_e32 v71, vcc, 0, v71, vcc
	s_cmp_eq_u64 s[80:81], 0
	s_waitcnt vmcnt(0)
	v_fmac_f64_e32 v[66:67], v[94:95], v[98:99]
	v_fmac_f64_e32 v[68:69], v[96:97], v[98:99]
	v_fma_f64 v[66:67], -v[96:97], v[100:101], v[66:67]
	v_fmac_f64_e32 v[68:69], v[94:95], v[100:101]
	s_cbranch_scc0 .LBB163_50
.LBB163_51:                             ;   in Loop: Header=BB163_27 Depth=3
	v_add_lshl_u32 v93, v92, v12, 4
	ds_read_b128 v[70:73], v93 offset:128
	s_waitcnt vmcnt(0) lgkmcnt(0)
	v_fmac_f64_e32 v[70:71], v[4:5], v[66:67]
	v_fmac_f64_e32 v[72:73], v[8:9], v[66:67]
	v_fma_f64 v[70:71], -v[8:9], v[68:69], v[70:71]
	v_fmac_f64_e32 v[72:73], v[4:5], v[68:69]
	ds_write_b128 v93, v[70:73] offset:128
	s_or_b64 exec, exec, s[8:9]
	s_and_saveexec_b64 s[8:9], s[58:59]
	s_cbranch_execz .LBB163_35
.LBB163_52:                             ;   in Loop: Header=BB163_27 Depth=3
	s_and_b64 vcc, exec, s[6:7]
	s_cbranch_vccnz .LBB163_56
; %bb.53:                               ;   in Loop: Header=BB163_27 Depth=3
	v_pk_mov_b32 v[66:67], 0, 0
	s_mov_b64 s[80:81], s[38:39]
	v_pk_mov_b32 v[70:71], v[58:59], v[58:59] op_sel:[0,1]
	v_pk_mov_b32 v[72:73], v[48:49], v[48:49] op_sel:[0,1]
	;; [unrolled: 1-line block ×3, first 2 shown]
.LBB163_54:                             ;   Parent Loop BB163_16 Depth=1
                                        ;     Parent Loop BB163_22 Depth=2
                                        ;       Parent Loop BB163_27 Depth=3
                                        ; =>      This Inner Loop Header: Depth=4
	global_load_dwordx4 v[94:97], v[72:73], off offset:-8
	global_load_dwordx4 v[98:101], v[70:71], off offset:-8
	v_add_co_u32_e32 v72, vcc, s64, v72
	v_addc_co_u32_e32 v73, vcc, v73, v90, vcc
	s_add_u32 s80, s80, -1
	v_add_co_u32_e32 v70, vcc, 16, v70
	s_addc_u32 s81, s81, -1
	v_addc_co_u32_e32 v71, vcc, 0, v71, vcc
	s_cmp_eq_u64 s[80:81], 0
	s_waitcnt vmcnt(0)
	v_fmac_f64_e32 v[66:67], v[94:95], v[98:99]
	v_fmac_f64_e32 v[68:69], v[96:97], v[98:99]
	v_fma_f64 v[66:67], -v[96:97], v[100:101], v[66:67]
	v_fmac_f64_e32 v[68:69], v[94:95], v[100:101]
	s_cbranch_scc0 .LBB163_54
; %bb.55:                               ;   in Loop: Header=BB163_27 Depth=3
	s_branch .LBB163_59
.LBB163_56:                             ;   in Loop: Header=BB163_27 Depth=3
                                        ; implicit-def: $vgpr66_vgpr67
                                        ; implicit-def: $vgpr68_vgpr69
	s_cbranch_execz .LBB163_59
; %bb.57:                               ;   in Loop: Header=BB163_27 Depth=3
	v_pk_mov_b32 v[66:67], 0, 0
	s_mov_b64 s[80:81], s[38:39]
	v_pk_mov_b32 v[70:71], v[46:47], v[46:47] op_sel:[0,1]
	v_pk_mov_b32 v[72:73], v[60:61], v[60:61] op_sel:[0,1]
	;; [unrolled: 1-line block ×3, first 2 shown]
.LBB163_58:                             ;   Parent Loop BB163_16 Depth=1
                                        ;     Parent Loop BB163_22 Depth=2
                                        ;       Parent Loop BB163_27 Depth=3
                                        ; =>      This Inner Loop Header: Depth=4
	global_load_dwordx4 v[94:97], v[70:71], off offset:-8
	global_load_dwordx4 v[98:101], v[72:73], off
	v_add_co_u32_e32 v72, vcc, s64, v72
	v_addc_co_u32_e32 v73, vcc, v73, v90, vcc
	s_add_u32 s80, s80, -1
	v_add_co_u32_e32 v70, vcc, 16, v70
	s_addc_u32 s81, s81, -1
	v_addc_co_u32_e32 v71, vcc, 0, v71, vcc
	s_cmp_eq_u64 s[80:81], 0
	s_waitcnt vmcnt(0)
	v_fmac_f64_e32 v[66:67], v[94:95], v[98:99]
	v_fmac_f64_e32 v[68:69], v[96:97], v[98:99]
	v_fma_f64 v[66:67], -v[96:97], v[100:101], v[66:67]
	v_fmac_f64_e32 v[68:69], v[94:95], v[100:101]
	s_cbranch_scc0 .LBB163_58
.LBB163_59:                             ;   in Loop: Header=BB163_27 Depth=3
	v_add_lshl_u32 v93, v92, v12, 4
	ds_read_b128 v[70:73], v93 offset:256
	s_waitcnt vmcnt(0) lgkmcnt(0)
	v_fmac_f64_e32 v[70:71], v[4:5], v[66:67]
	v_fmac_f64_e32 v[72:73], v[8:9], v[66:67]
	v_fma_f64 v[70:71], -v[8:9], v[68:69], v[70:71]
	v_fmac_f64_e32 v[72:73], v[4:5], v[68:69]
	ds_write_b128 v93, v[70:73] offset:256
	s_or_b64 exec, exec, s[8:9]
	s_and_saveexec_b64 s[8:9], s[60:61]
	s_cbranch_execz .LBB163_68
.LBB163_60:                             ;   in Loop: Header=BB163_27 Depth=3
	s_and_b64 vcc, exec, s[6:7]
	s_cbranch_vccnz .LBB163_64
; %bb.61:                               ;   in Loop: Header=BB163_27 Depth=3
	v_pk_mov_b32 v[66:67], 0, 0
	s_mov_b64 s[6:7], s[38:39]
	v_pk_mov_b32 v[70:71], v[62:63], v[62:63] op_sel:[0,1]
	v_pk_mov_b32 v[72:73], v[48:49], v[48:49] op_sel:[0,1]
	;; [unrolled: 1-line block ×3, first 2 shown]
.LBB163_62:                             ;   Parent Loop BB163_16 Depth=1
                                        ;     Parent Loop BB163_22 Depth=2
                                        ;       Parent Loop BB163_27 Depth=3
                                        ; =>      This Inner Loop Header: Depth=4
	global_load_dwordx4 v[94:97], v[72:73], off offset:-8
	global_load_dwordx4 v[98:101], v[70:71], off offset:-8
	v_add_co_u32_e32 v72, vcc, s64, v72
	v_addc_co_u32_e32 v73, vcc, v73, v90, vcc
	s_add_u32 s6, s6, -1
	v_add_co_u32_e32 v70, vcc, 16, v70
	s_addc_u32 s7, s7, -1
	v_addc_co_u32_e32 v71, vcc, 0, v71, vcc
	s_cmp_eq_u64 s[6:7], 0
	s_waitcnt vmcnt(0)
	v_fmac_f64_e32 v[66:67], v[94:95], v[98:99]
	v_fmac_f64_e32 v[68:69], v[96:97], v[98:99]
	v_fma_f64 v[66:67], -v[96:97], v[100:101], v[66:67]
	v_fmac_f64_e32 v[68:69], v[94:95], v[100:101]
	s_cbranch_scc0 .LBB163_62
; %bb.63:                               ;   in Loop: Header=BB163_27 Depth=3
	s_branch .LBB163_67
.LBB163_64:                             ;   in Loop: Header=BB163_27 Depth=3
                                        ; implicit-def: $vgpr66_vgpr67
                                        ; implicit-def: $vgpr68_vgpr69
	s_cbranch_execz .LBB163_67
; %bb.65:                               ;   in Loop: Header=BB163_27 Depth=3
	v_pk_mov_b32 v[66:67], 0, 0
	s_mov_b64 s[6:7], s[38:39]
	v_pk_mov_b32 v[70:71], v[46:47], v[46:47] op_sel:[0,1]
	v_pk_mov_b32 v[72:73], v[64:65], v[64:65] op_sel:[0,1]
	;; [unrolled: 1-line block ×3, first 2 shown]
.LBB163_66:                             ;   Parent Loop BB163_16 Depth=1
                                        ;     Parent Loop BB163_22 Depth=2
                                        ;       Parent Loop BB163_27 Depth=3
                                        ; =>      This Inner Loop Header: Depth=4
	global_load_dwordx4 v[94:97], v[70:71], off offset:-8
	global_load_dwordx4 v[98:101], v[72:73], off offset:-8
	v_add_co_u32_e32 v70, vcc, 16, v70
	v_addc_co_u32_e32 v71, vcc, 0, v71, vcc
	s_add_u32 s6, s6, -1
	v_mov_b32_e32 v93, s65
	v_add_co_u32_e32 v72, vcc, s64, v72
	s_addc_u32 s7, s7, -1
	v_addc_co_u32_e32 v73, vcc, v73, v93, vcc
	s_cmp_eq_u64 s[6:7], 0
	s_waitcnt vmcnt(0)
	v_fmac_f64_e32 v[66:67], v[94:95], v[98:99]
	v_fmac_f64_e32 v[68:69], v[96:97], v[98:99]
	v_fma_f64 v[66:67], -v[96:97], v[100:101], v[66:67]
	v_fmac_f64_e32 v[68:69], v[94:95], v[100:101]
	s_cbranch_scc0 .LBB163_66
.LBB163_67:                             ;   in Loop: Header=BB163_27 Depth=3
	v_add_lshl_u32 v92, v92, v12, 4
	ds_read_b128 v[70:73], v92 offset:384
	s_waitcnt vmcnt(0) lgkmcnt(0)
	v_fmac_f64_e32 v[70:71], v[4:5], v[66:67]
	v_fmac_f64_e32 v[72:73], v[8:9], v[66:67]
	v_fma_f64 v[70:71], -v[8:9], v[68:69], v[70:71]
	v_fmac_f64_e32 v[72:73], v[4:5], v[68:69]
	ds_write_b128 v92, v[70:73] offset:384
.LBB163_68:                             ;   in Loop: Header=BB163_27 Depth=3
	s_or_b64 exec, exec, s[8:9]
	s_mov_b64 s[84:85], -1
	s_mov_b64 s[80:81], s[72:73]
	s_mov_b64 s[8:9], s[76:77]
	s_waitcnt lgkmcnt(0)
	s_barrier
.LBB163_69:                             ;   in Loop: Header=BB163_27 Depth=3
	s_add_u32 s78, s78, 1
	s_addc_u32 s79, s79, 0
	v_pk_mov_b32 v[66:67], s[74:75], s[74:75] op_sel:[0,1]
	v_cmp_lt_i64_e32 vcc, s[78:79], v[66:67]
	s_and_b64 s[6:7], s[84:85], vcc
	v_mov_b32_e32 v66, s63
	v_add_co_u32_e32 v50, vcc, s62, v50
	v_addc_co_u32_e32 v51, vcc, v51, v66, vcc
	v_add_co_u32_e32 v52, vcc, s62, v52
	v_addc_co_u32_e32 v53, vcc, v53, v66, vcc
	;; [unrolled: 2-line block ×8, first 2 shown]
	s_and_b64 vcc, exec, s[6:7]
	s_cbranch_vccz .LBB163_72
; %bb.70:                               ;   in Loop: Header=BB163_27 Depth=3
	s_mov_b64 s[72:73], s[80:81]
	s_mov_b64 s[76:77], s[8:9]
	s_branch .LBB163_27
.LBB163_71:                             ;   in Loop: Header=BB163_22 Depth=2
	s_mov_b64 s[80:81], s[72:73]
	s_mov_b64 s[8:9], s[76:77]
.LBB163_72:                             ;   in Loop: Header=BB163_22 Depth=2
	s_add_u32 s6, s48, s70
	s_addc_u32 s7, s49, s71
	v_pk_mov_b32 v[50:51], s[8:9], s[8:9] op_sel:[0,1]
	global_store_dwordx2 v13, v[50:51], s[6:7]
	v_mov_b32_e32 v50, s63
	v_add_co_u32_e32 v48, vcc, s62, v48
	v_addc_co_u32_e32 v49, vcc, v49, v50, vcc
	s_add_u32 s68, s68, 1
	v_add_co_u32_e32 v46, vcc, s62, v46
	s_addc_u32 s69, s69, 0
	v_addc_co_u32_e32 v47, vcc, v47, v50, vcc
	v_pk_mov_b32 v[50:51], s[44:45], s[44:45] op_sel:[0,1]
	v_cmp_lt_i64_e32 vcc, s[68:69], v[50:51]
	s_cbranch_vccz .LBB163_75
; %bb.73:                               ;   in Loop: Header=BB163_22 Depth=2
	s_mov_b64 s[72:73], s[80:81]
	s_branch .LBB163_22
.LBB163_74:                             ;   in Loop: Header=BB163_22 Depth=2
                                        ; implicit-def: $sgpr76_sgpr77
	s_branch .LBB163_24
.LBB163_75:                             ;   in Loop: Header=BB163_16 Depth=1
	s_andn2_b64 vcc, exec, s[34:35]
	s_cbranch_vccnz .LBB163_91
; %bb.76:                               ;   in Loop: Header=BB163_16 Depth=1
	s_load_dwordx4 s[8:11], s[12:13], 0x0
	s_waitcnt lgkmcnt(0)
	v_pk_mov_b32 v[46:47], s[10:11], s[10:11] op_sel:[0,1]
	v_cmp_ge_i64_e32 vcc, s[8:9], v[46:47]
	s_cbranch_vccnz .LBB163_91
; %bb.77:                               ;   in Loop: Header=BB163_16 Depth=1
	s_sub_u32 s6, s10, s18
	s_subb_u32 s7, s11, 0
	s_sub_u32 s19, s8, s18
	v_mov_b32_e32 v54, s19
	s_subb_u32 s70, s9, 0
	s_lshl_b64 s[10:11], s[8:9], 3
	v_mad_u64_u32 v[46:47], s[68:69], s64, v54, v[22:23]
	s_add_u32 s10, s91, s10
	s_mul_i32 s19, s65, s19
	s_mul_i32 s68, s64, s70
	s_addc_u32 s11, s92, s11
	s_add_i32 s19, s68, s19
	v_add_u32_e32 v47, s19, v47
	v_mul_lo_u32 v48, s38, v47
	v_mul_lo_u32 v49, s39, v46
	v_mad_u64_u32 v[46:47], s[68:69], s38, v46, v[26:27]
	v_add3_u32 v47, v49, v47, v48
	v_mad_u64_u32 v[48:49], s[68:69], s64, v54, v[26:27]
	v_add_u32_e32 v49, s19, v49
	v_mul_lo_u32 v50, s38, v49
	v_mul_lo_u32 v51, s39, v48
	v_mad_u64_u32 v[48:49], s[68:69], s38, v48, v[22:23]
	v_add3_u32 v49, v51, v49, v50
	v_mad_u64_u32 v[50:51], s[68:69], s64, v54, v[32:33]
	;; [unrolled: 6-line block ×4, first 2 shown]
	v_add_u32_e32 v55, s19, v55
	v_mul_lo_u32 v56, s38, v55
	v_mul_lo_u32 v57, s39, v54
	v_mad_u64_u32 v[54:55], s[68:69], s38, v54, v[22:23]
	s_add_u32 s8, s31, s8
	v_add3_u32 v55, v57, v55, v56
	s_addc_u32 s9, s93, s9
	s_mov_b64 s[68:69], s[16:17]
	s_branch .LBB163_80
.LBB163_78:                             ;   in Loop: Header=BB163_80 Depth=2
	s_or_b64 exec, exec, s[70:71]
	s_mov_b64 s[72:73], -1
	s_mov_b64 s[70:71], s[80:81]
	s_waitcnt lgkmcnt(0)
	s_barrier
.LBB163_79:                             ;   in Loop: Header=BB163_80 Depth=2
	v_pk_mov_b32 v[56:57], s[6:7], s[6:7] op_sel:[0,1]
	v_cmp_lt_i64_e32 vcc, s[8:9], v[56:57]
	s_and_b64 s[72:73], s[72:73], vcc
	s_add_u32 s10, s10, 8
	s_addc_u32 s11, s11, 0
	s_add_u32 s68, s68, s62
	s_addc_u32 s69, s69, s63
	;; [unrolled: 2-line block ×3, first 2 shown]
	s_mov_b64 s[80:81], s[70:71]
	s_and_b64 vcc, exec, s[72:73]
	s_cbranch_vccz .LBB163_91
.LBB163_80:                             ;   Parent Loop BB163_16 Depth=1
                                        ; =>  This Inner Loop Header: Depth=2
	s_load_dwordx2 s[70:71], s[10:11], 0x0
	v_pk_mov_b32 v[56:57], s[14:15], s[14:15] op_sel:[0,1]
	v_pk_mov_b32 v[58:59], s[22:23], s[22:23] op_sel:[0,1]
	s_mov_b64 s[76:77], -1
	s_waitcnt lgkmcnt(0)
	s_sub_u32 s74, s70, s18
	s_subb_u32 s75, s71, 0
	v_cmp_ge_i64_e32 vcc, s[74:75], v[56:57]
	v_cmp_lt_i64_e64 s[72:73], s[74:75], v[58:59]
	s_and_b64 s[70:71], vcc, s[72:73]
	s_andn2_b64 vcc, exec, s[70:71]
                                        ; implicit-def: $sgpr70_sgpr71
	s_cbranch_vccz .LBB163_82
; %bb.81:                               ;   in Loop: Header=BB163_80 Depth=2
	v_pk_mov_b32 v[56:57], s[80:81], s[80:81] op_sel:[0,1]
	v_cmp_lt_i64_e32 vcc, s[74:75], v[56:57]
	s_and_b64 s[70:71], vcc, exec
	s_cselect_b32 s19, s74, s80
	s_cselect_b32 s75, s75, s81
	s_and_b64 s[70:71], s[72:73], exec
	s_cselect_b32 s71, s81, s75
	s_cselect_b32 s70, s80, s19
	s_mov_b64 s[76:77], 0
.LBB163_82:                             ;   in Loop: Header=BB163_80 Depth=2
	s_andn2_b64 vcc, exec, s[76:77]
	s_cbranch_vccnz .LBB163_79
; %bb.83:                               ;   in Loop: Header=BB163_80 Depth=2
	s_sub_i32 s19, s74, s14
	v_mov_b32_e32 v56, s19
	ds_write_b8 v56, v91 offset:32768
	v_lshl_add_u32 v56, s19, 10, v75
	s_and_saveexec_b64 s[70:71], s[54:55]
	s_cbranch_execnz .LBB163_87
; %bb.84:                               ;   in Loop: Header=BB163_80 Depth=2
	s_or_b64 exec, exec, s[70:71]
	v_add_lshl_u32 v56, v56, v12, 4
	s_and_saveexec_b64 s[70:71], s[56:57]
	s_cbranch_execnz .LBB163_88
.LBB163_85:                             ;   in Loop: Header=BB163_80 Depth=2
	s_or_b64 exec, exec, s[70:71]
	s_and_saveexec_b64 s[70:71], s[58:59]
	s_cbranch_execnz .LBB163_89
.LBB163_86:                             ;   in Loop: Header=BB163_80 Depth=2
	s_or_b64 exec, exec, s[70:71]
	s_and_saveexec_b64 s[70:71], s[60:61]
	s_cbranch_execz .LBB163_78
	s_branch .LBB163_90
.LBB163_87:                             ;   in Loop: Header=BB163_80 Depth=2
	v_cndmask_b32_e64 v58, v48, v46, s[2:3]
	v_cndmask_b32_e64 v57, v49, v47, s[2:3]
	v_mov_b32_e32 v59, s69
	v_add_co_u32_e32 v58, vcc, s68, v58
	v_addc_co_u32_e32 v59, vcc, v59, v57, vcc
	global_load_dwordx4 v[58:61], v[58:59], off
	v_or_b32_e32 v57, v56, v12
	v_lshlrev_b32_e32 v57, 4, v57
	ds_read_b128 v[62:65], v57
	s_waitcnt vmcnt(0) lgkmcnt(0)
	v_fmac_f64_e32 v[62:63], v[10:11], v[58:59]
	v_fmac_f64_e32 v[64:65], v[6:7], v[58:59]
	v_fma_f64 v[62:63], -v[6:7], v[60:61], v[62:63]
	v_fmac_f64_e32 v[64:65], v[10:11], v[60:61]
	ds_write_b128 v57, v[62:65]
	s_or_b64 exec, exec, s[70:71]
	v_add_lshl_u32 v56, v56, v12, 4
	s_and_saveexec_b64 s[70:71], s[56:57]
	s_cbranch_execz .LBB163_85
.LBB163_88:                             ;   in Loop: Header=BB163_80 Depth=2
	v_mov_b32_e32 v57, s69
	v_add_co_u32_e32 v58, vcc, s68, v46
	v_addc_co_u32_e32 v59, vcc, v57, v47, vcc
	v_add_co_u32_e32 v58, vcc, 0x80, v58
	v_addc_co_u32_e32 v59, vcc, 0, v59, vcc
	;; [unrolled: 2-line block ×3, first 2 shown]
	v_cndmask_b32_e64 v59, v57, v59, s[2:3]
	v_cndmask_b32_e64 v58, v60, v58, s[2:3]
	global_load_dwordx4 v[58:61], v[58:59], off
	ds_read_b128 v[62:65], v56 offset:128
	s_waitcnt vmcnt(0) lgkmcnt(0)
	v_fmac_f64_e32 v[62:63], v[10:11], v[58:59]
	v_fmac_f64_e32 v[64:65], v[6:7], v[58:59]
	v_fma_f64 v[62:63], -v[6:7], v[60:61], v[62:63]
	v_fmac_f64_e32 v[64:65], v[10:11], v[60:61]
	ds_write_b128 v56, v[62:65] offset:128
	s_or_b64 exec, exec, s[70:71]
	s_and_saveexec_b64 s[70:71], s[58:59]
	s_cbranch_execz .LBB163_86
.LBB163_89:                             ;   in Loop: Header=BB163_80 Depth=2
	v_mov_b32_e32 v57, s69
	v_add_co_u32_e32 v58, vcc, s68, v46
	v_addc_co_u32_e32 v59, vcc, v57, v47, vcc
	v_add_co_u32_e32 v58, vcc, 0x100, v58
	v_addc_co_u32_e32 v59, vcc, 0, v59, vcc
	;; [unrolled: 2-line block ×3, first 2 shown]
	v_cndmask_b32_e64 v59, v57, v59, s[2:3]
	v_cndmask_b32_e64 v58, v60, v58, s[2:3]
	global_load_dwordx4 v[58:61], v[58:59], off
	ds_read_b128 v[62:65], v56 offset:256
	s_waitcnt vmcnt(0) lgkmcnt(0)
	v_fmac_f64_e32 v[62:63], v[10:11], v[58:59]
	v_fmac_f64_e32 v[64:65], v[6:7], v[58:59]
	v_fma_f64 v[62:63], -v[6:7], v[60:61], v[62:63]
	v_fmac_f64_e32 v[64:65], v[10:11], v[60:61]
	ds_write_b128 v56, v[62:65] offset:256
	s_or_b64 exec, exec, s[70:71]
	s_and_saveexec_b64 s[70:71], s[60:61]
	s_cbranch_execz .LBB163_78
.LBB163_90:                             ;   in Loop: Header=BB163_80 Depth=2
	v_mov_b32_e32 v57, s69
	v_add_co_u32_e32 v58, vcc, s68, v46
	v_addc_co_u32_e32 v59, vcc, v57, v47, vcc
	v_add_co_u32_e32 v58, vcc, 0x180, v58
	v_addc_co_u32_e32 v59, vcc, 0, v59, vcc
	;; [unrolled: 2-line block ×3, first 2 shown]
	v_cndmask_b32_e64 v59, v57, v59, s[2:3]
	v_cndmask_b32_e64 v58, v60, v58, s[2:3]
	global_load_dwordx4 v[58:61], v[58:59], off
	ds_read_b128 v[62:65], v56 offset:384
	s_waitcnt vmcnt(0) lgkmcnt(0)
	v_fmac_f64_e32 v[62:63], v[10:11], v[58:59]
	v_fmac_f64_e32 v[64:65], v[6:7], v[58:59]
	v_fma_f64 v[62:63], -v[6:7], v[60:61], v[62:63]
	v_fmac_f64_e32 v[64:65], v[10:11], v[60:61]
	ds_write_b128 v56, v[62:65] offset:384
	s_branch .LBB163_78
.LBB163_91:                             ;   in Loop: Header=BB163_16 Depth=1
	s_barrier
	ds_read_u8 v46, v13 offset:32768
	s_add_u32 s6, s14, s30
	s_addc_u32 s7, s15, 0
	s_mov_b32 s10, 0
	s_waitcnt lgkmcnt(0)
	v_cmp_eq_u32_e32 vcc, 0, v46
	s_cbranch_vccnz .LBB163_98
; %bb.92:                               ;   in Loop: Header=BB163_16 Depth=1
	v_lshlrev_b64 v[46:47], 3, v[44:45]
	v_mov_b32_e32 v48, s41
	v_add_co_u32_e32 v46, vcc, s40, v46
	v_addc_co_u32_e32 v47, vcc, v48, v47, vcc
	v_pk_mov_b32 v[48:49], s[6:7], s[6:7] op_sel:[0,1]
	global_store_dwordx2 v[46:47], v[48:49], off
	v_mul_lo_u32 v48, v45, s52
	v_mul_lo_u32 v49, v44, s53
	v_mad_u64_u32 v[46:47], s[8:9], v44, s52, 0
	v_add3_u32 v47, v47, v49, v48
	v_lshlrev_b64 v[48:49], 4, v[46:47]
	v_add_co_u32_e32 v46, vcc, v76, v48
	v_addc_co_u32_e32 v47, vcc, v77, v49, vcc
	v_add_co_u32_e32 v48, vcc, v78, v48
	v_addc_co_u32_e32 v49, vcc, v79, v49, vcc
	s_and_saveexec_b64 s[8:9], s[54:55]
	s_cbranch_execnz .LBB163_105
; %bb.93:                               ;   in Loop: Header=BB163_16 Depth=1
	s_or_b64 exec, exec, s[8:9]
	s_and_saveexec_b64 s[8:9], s[56:57]
	s_cbranch_execnz .LBB163_106
.LBB163_94:                             ;   in Loop: Header=BB163_16 Depth=1
	s_or_b64 exec, exec, s[8:9]
	s_and_saveexec_b64 s[8:9], s[58:59]
	s_cbranch_execnz .LBB163_107
.LBB163_95:                             ;   in Loop: Header=BB163_16 Depth=1
	s_or_b64 exec, exec, s[8:9]
	s_and_saveexec_b64 s[8:9], s[60:61]
	s_cbranch_execz .LBB163_97
.LBB163_96:                             ;   in Loop: Header=BB163_16 Depth=1
	v_lshlrev_b32_e32 v50, 4, v12
	v_add_co_u32_e32 v48, vcc, v48, v50
	v_addc_co_u32_e32 v49, vcc, 0, v49, vcc
	v_add_co_u32_e32 v54, vcc, 0x180, v48
	v_addc_co_u32_e32 v55, vcc, 0, v49, vcc
	ds_read2_b64 v[48:51], v83 offset1:1
	v_lshlrev_b64 v[52:53], 4, v[20:21]
	v_add_co_u32_e32 v46, vcc, v46, v52
	v_addc_co_u32_e32 v47, vcc, v47, v53, vcc
	v_cndmask_b32_e64 v47, v47, v55, s[2:3]
	v_cndmask_b32_e64 v46, v46, v54, s[2:3]
	s_waitcnt lgkmcnt(0)
	global_store_dwordx4 v[46:47], v[48:51], off
.LBB163_97:                             ;   in Loop: Header=BB163_16 Depth=1
	s_or_b64 exec, exec, s[8:9]
	s_mov_b32 s10, 1
.LBB163_98:                             ;   in Loop: Header=BB163_16 Depth=1
	ds_read_u8 v46, v13 offset:32769
	s_waitcnt lgkmcnt(0)
	v_readfirstlane_b32 s8, v46
	s_bitcmp1_b32 s8, 0
	s_cselect_b64 s[8:9], -1, 0
	s_and_b64 vcc, exec, s[8:9]
	s_cbranch_vccnz .LBB163_100
; %bb.99:                               ;   in Loop: Header=BB163_16 Depth=1
	v_add_co_u32_e32 v46, vcc, s10, v44
	v_addc_co_u32_e32 v47, vcc, 0, v45, vcc
	s_cbranch_execnz .LBB163_15
	s_branch .LBB163_101
.LBB163_100:                            ;   in Loop: Header=BB163_16 Depth=1
                                        ; implicit-def: $vgpr46_vgpr47
.LBB163_101:                            ;   in Loop: Header=BB163_16 Depth=1
	s_add_i32 s8, s10, 1
	v_add_co_u32_e32 v46, vcc, s8, v44
	v_addc_co_u32_e32 v47, vcc, 0, v45, vcc
	v_add_co_u32_e32 v50, vcc, -1, v46
	v_addc_co_u32_e32 v51, vcc, -1, v47, vcc
	s_add_u32 s6, s6, 1
	v_lshlrev_b64 v[44:45], 3, v[46:47]
	s_addc_u32 s7, s7, 0
	v_mov_b32_e32 v48, s90
	v_add_co_u32_e32 v44, vcc, s89, v44
	v_addc_co_u32_e32 v45, vcc, v48, v45, vcc
	v_pk_mov_b32 v[48:49], s[6:7], s[6:7] op_sel:[0,1]
	global_store_dwordx2 v[44:45], v[48:49], off
	v_mul_lo_u32 v48, v51, s52
	v_mul_lo_u32 v49, v50, s53
	v_mad_u64_u32 v[44:45], s[6:7], v50, s52, 0
	v_add3_u32 v45, v45, v49, v48
	v_lshlrev_b64 v[44:45], 4, v[44:45]
	v_add_co_u32_e32 v48, vcc, v76, v44
	v_addc_co_u32_e32 v49, vcc, v77, v45, vcc
	v_add_co_u32_e32 v44, vcc, v78, v44
	v_addc_co_u32_e32 v45, vcc, v79, v45, vcc
	s_and_saveexec_b64 s[6:7], s[54:55]
	s_cbranch_execnz .LBB163_108
; %bb.102:                              ;   in Loop: Header=BB163_16 Depth=1
	s_or_b64 exec, exec, s[6:7]
	s_and_saveexec_b64 s[6:7], s[56:57]
	s_cbranch_execnz .LBB163_109
.LBB163_103:                            ;   in Loop: Header=BB163_16 Depth=1
	s_or_b64 exec, exec, s[6:7]
	s_and_saveexec_b64 s[6:7], s[58:59]
	s_cbranch_execnz .LBB163_110
.LBB163_104:                            ;   in Loop: Header=BB163_16 Depth=1
	s_or_b64 exec, exec, s[6:7]
	s_and_saveexec_b64 s[6:7], s[60:61]
	s_cbranch_execz .LBB163_14
	s_branch .LBB163_111
.LBB163_105:                            ;   in Loop: Header=BB163_16 Depth=1
	v_lshlrev_b64 v[50:51], 4, v[14:15]
	v_add_co_u32_e32 v54, vcc, v46, v50
	v_addc_co_u32_e32 v55, vcc, v47, v51, vcc
	ds_read2_b64 v[50:53], v80 offset1:1
	v_lshlrev_b32_e32 v56, 4, v12
	v_add_co_u32_e32 v56, vcc, v48, v56
	v_addc_co_u32_e32 v57, vcc, 0, v49, vcc
	v_cndmask_b32_e64 v55, v55, v57, s[2:3]
	v_cndmask_b32_e64 v54, v54, v56, s[2:3]
	s_waitcnt lgkmcnt(0)
	global_store_dwordx4 v[54:55], v[50:53], off
	s_or_b64 exec, exec, s[8:9]
	s_and_saveexec_b64 s[8:9], s[56:57]
	s_cbranch_execz .LBB163_94
.LBB163_106:                            ;   in Loop: Header=BB163_16 Depth=1
	v_lshlrev_b32_e32 v50, 4, v12
	v_add_co_u32_e32 v50, vcc, v48, v50
	v_addc_co_u32_e32 v51, vcc, 0, v49, vcc
	v_add_co_u32_e32 v56, vcc, 0x80, v50
	v_addc_co_u32_e32 v57, vcc, 0, v51, vcc
	ds_read2_b64 v[50:53], v81 offset1:1
	v_lshlrev_b64 v[54:55], 4, v[16:17]
	v_add_co_u32_e32 v54, vcc, v46, v54
	v_addc_co_u32_e32 v55, vcc, v47, v55, vcc
	v_cndmask_b32_e64 v55, v55, v57, s[2:3]
	v_cndmask_b32_e64 v54, v54, v56, s[2:3]
	s_waitcnt lgkmcnt(0)
	global_store_dwordx4 v[54:55], v[50:53], off
	s_or_b64 exec, exec, s[8:9]
	s_and_saveexec_b64 s[8:9], s[58:59]
	s_cbranch_execz .LBB163_95
.LBB163_107:                            ;   in Loop: Header=BB163_16 Depth=1
	v_lshlrev_b32_e32 v50, 4, v12
	v_add_co_u32_e32 v50, vcc, v48, v50
	v_addc_co_u32_e32 v51, vcc, 0, v49, vcc
	v_add_co_u32_e32 v56, vcc, 0x100, v50
	v_addc_co_u32_e32 v57, vcc, 0, v51, vcc
	ds_read2_b64 v[50:53], v82 offset1:1
	v_lshlrev_b64 v[54:55], 4, v[18:19]
	v_add_co_u32_e32 v54, vcc, v46, v54
	v_addc_co_u32_e32 v55, vcc, v47, v55, vcc
	v_cndmask_b32_e64 v55, v55, v57, s[2:3]
	v_cndmask_b32_e64 v54, v54, v56, s[2:3]
	s_waitcnt lgkmcnt(0)
	global_store_dwordx4 v[54:55], v[50:53], off
	s_or_b64 exec, exec, s[8:9]
	s_and_saveexec_b64 s[8:9], s[60:61]
	s_cbranch_execnz .LBB163_96
	s_branch .LBB163_97
.LBB163_108:                            ;   in Loop: Header=BB163_16 Depth=1
	v_lshlrev_b32_e32 v50, 4, v12
	v_add_co_u32_e32 v56, vcc, v44, v50
	ds_read2_b64 v[50:53], v84 offset1:1
	v_addc_co_u32_e32 v57, vcc, 0, v45, vcc
	v_lshlrev_b64 v[54:55], 4, v[14:15]
	v_add_co_u32_e32 v54, vcc, v48, v54
	v_addc_co_u32_e32 v55, vcc, v49, v55, vcc
	v_cndmask_b32_e64 v55, v55, v57, s[2:3]
	v_cndmask_b32_e64 v54, v54, v56, s[2:3]
	s_waitcnt lgkmcnt(0)
	global_store_dwordx4 v[54:55], v[50:53], off
	s_or_b64 exec, exec, s[6:7]
	s_and_saveexec_b64 s[6:7], s[56:57]
	s_cbranch_execz .LBB163_103
.LBB163_109:                            ;   in Loop: Header=BB163_16 Depth=1
	v_lshlrev_b32_e32 v50, 4, v12
	v_add_co_u32_e32 v50, vcc, v44, v50
	v_addc_co_u32_e32 v51, vcc, 0, v45, vcc
	v_add_co_u32_e32 v56, vcc, 0x80, v50
	v_addc_co_u32_e32 v57, vcc, 0, v51, vcc
	ds_read2_b64 v[50:53], v85 offset1:1
	v_lshlrev_b64 v[54:55], 4, v[16:17]
	v_add_co_u32_e32 v54, vcc, v48, v54
	v_addc_co_u32_e32 v55, vcc, v49, v55, vcc
	v_cndmask_b32_e64 v55, v55, v57, s[2:3]
	v_cndmask_b32_e64 v54, v54, v56, s[2:3]
	s_waitcnt lgkmcnt(0)
	global_store_dwordx4 v[54:55], v[50:53], off
	s_or_b64 exec, exec, s[6:7]
	s_and_saveexec_b64 s[6:7], s[58:59]
	s_cbranch_execz .LBB163_104
.LBB163_110:                            ;   in Loop: Header=BB163_16 Depth=1
	v_lshlrev_b32_e32 v50, 4, v12
	v_add_co_u32_e32 v50, vcc, v44, v50
	v_addc_co_u32_e32 v51, vcc, 0, v45, vcc
	v_add_co_u32_e32 v56, vcc, 0x100, v50
	v_addc_co_u32_e32 v57, vcc, 0, v51, vcc
	ds_read2_b64 v[50:53], v86 offset1:1
	v_lshlrev_b64 v[54:55], 4, v[18:19]
	v_add_co_u32_e32 v54, vcc, v48, v54
	v_addc_co_u32_e32 v55, vcc, v49, v55, vcc
	v_cndmask_b32_e64 v55, v55, v57, s[2:3]
	v_cndmask_b32_e64 v54, v54, v56, s[2:3]
	s_waitcnt lgkmcnt(0)
	global_store_dwordx4 v[54:55], v[50:53], off
	s_or_b64 exec, exec, s[6:7]
	s_and_saveexec_b64 s[6:7], s[60:61]
	s_cbranch_execz .LBB163_14
.LBB163_111:                            ;   in Loop: Header=BB163_16 Depth=1
	s_andn2_b64 vcc, exec, s[50:51]
	s_cbranch_vccnz .LBB163_113
; %bb.112:                              ;   in Loop: Header=BB163_16 Depth=1
	ds_read2_b64 v[50:53], v87 offset1:1
	v_lshlrev_b64 v[54:55], 4, v[20:21]
	v_add_co_u32_e32 v48, vcc, v48, v54
	v_addc_co_u32_e32 v49, vcc, v49, v55, vcc
	s_waitcnt lgkmcnt(0)
	global_store_dwordx4 v[48:49], v[50:53], off
	s_cbranch_execnz .LBB163_14
	s_branch .LBB163_114
.LBB163_113:                            ;   in Loop: Header=BB163_16 Depth=1
.LBB163_114:                            ;   in Loop: Header=BB163_16 Depth=1
	ds_read2_b64 v[48:51], v87 offset1:1
	v_lshlrev_b32_e32 v52, 4, v12
	v_add_co_u32_e32 v44, vcc, v44, v52
	v_addc_co_u32_e32 v45, vcc, 0, v45, vcc
	s_waitcnt lgkmcnt(0)
	global_store_dwordx4 v[44:45], v[48:51], off offset:384
	s_branch .LBB163_14
.LBB163_115:
	s_endpgm
	.section	.rodata,"a",@progbits
	.p2align	6, 0x0
	.amdhsa_kernel _ZN9rocsparseL31bsrgemm_block_per_row_multipassILj256ELj2ELj32Ell21rocsparse_complex_numIdEEEv20rocsparse_direction_T3_S4_PKS4_S6_NS_24const_host_device_scalarIT4_EEPKT2_S6_PKS8_SC_S6_SE_S9_SC_S6_SE_SC_PS4_PS8_PSA_21rocsparse_index_base_SI_SI_SI_bbb
		.amdhsa_group_segment_fixed_size 36872
		.amdhsa_private_segment_fixed_size 0
		.amdhsa_kernarg_size 196
		.amdhsa_user_sgpr_count 8
		.amdhsa_user_sgpr_private_segment_buffer 1
		.amdhsa_user_sgpr_dispatch_ptr 1
		.amdhsa_user_sgpr_queue_ptr 0
		.amdhsa_user_sgpr_kernarg_segment_ptr 1
		.amdhsa_user_sgpr_dispatch_id 0
		.amdhsa_user_sgpr_flat_scratch_init 0
		.amdhsa_user_sgpr_kernarg_preload_length 0
		.amdhsa_user_sgpr_kernarg_preload_offset 0
		.amdhsa_user_sgpr_private_segment_size 0
		.amdhsa_uses_dynamic_stack 0
		.amdhsa_system_sgpr_private_segment_wavefront_offset 0
		.amdhsa_system_sgpr_workgroup_id_x 1
		.amdhsa_system_sgpr_workgroup_id_y 0
		.amdhsa_system_sgpr_workgroup_id_z 0
		.amdhsa_system_sgpr_workgroup_info 0
		.amdhsa_system_vgpr_workitem_id 2
		.amdhsa_next_free_vgpr 102
		.amdhsa_next_free_sgpr 94
		.amdhsa_accum_offset 104
		.amdhsa_reserve_vcc 1
		.amdhsa_reserve_flat_scratch 0
		.amdhsa_float_round_mode_32 0
		.amdhsa_float_round_mode_16_64 0
		.amdhsa_float_denorm_mode_32 3
		.amdhsa_float_denorm_mode_16_64 3
		.amdhsa_dx10_clamp 1
		.amdhsa_ieee_mode 1
		.amdhsa_fp16_overflow 0
		.amdhsa_tg_split 0
		.amdhsa_exception_fp_ieee_invalid_op 0
		.amdhsa_exception_fp_denorm_src 0
		.amdhsa_exception_fp_ieee_div_zero 0
		.amdhsa_exception_fp_ieee_overflow 0
		.amdhsa_exception_fp_ieee_underflow 0
		.amdhsa_exception_fp_ieee_inexact 0
		.amdhsa_exception_int_div_zero 0
	.end_amdhsa_kernel
	.section	.text._ZN9rocsparseL31bsrgemm_block_per_row_multipassILj256ELj2ELj32Ell21rocsparse_complex_numIdEEEv20rocsparse_direction_T3_S4_PKS4_S6_NS_24const_host_device_scalarIT4_EEPKT2_S6_PKS8_SC_S6_SE_S9_SC_S6_SE_SC_PS4_PS8_PSA_21rocsparse_index_base_SI_SI_SI_bbb,"axG",@progbits,_ZN9rocsparseL31bsrgemm_block_per_row_multipassILj256ELj2ELj32Ell21rocsparse_complex_numIdEEEv20rocsparse_direction_T3_S4_PKS4_S6_NS_24const_host_device_scalarIT4_EEPKT2_S6_PKS8_SC_S6_SE_S9_SC_S6_SE_SC_PS4_PS8_PSA_21rocsparse_index_base_SI_SI_SI_bbb,comdat
.Lfunc_end163:
	.size	_ZN9rocsparseL31bsrgemm_block_per_row_multipassILj256ELj2ELj32Ell21rocsparse_complex_numIdEEEv20rocsparse_direction_T3_S4_PKS4_S6_NS_24const_host_device_scalarIT4_EEPKT2_S6_PKS8_SC_S6_SE_S9_SC_S6_SE_SC_PS4_PS8_PSA_21rocsparse_index_base_SI_SI_SI_bbb, .Lfunc_end163-_ZN9rocsparseL31bsrgemm_block_per_row_multipassILj256ELj2ELj32Ell21rocsparse_complex_numIdEEEv20rocsparse_direction_T3_S4_PKS4_S6_NS_24const_host_device_scalarIT4_EEPKT2_S6_PKS8_SC_S6_SE_S9_SC_S6_SE_SC_PS4_PS8_PSA_21rocsparse_index_base_SI_SI_SI_bbb
                                        ; -- End function
	.section	.AMDGPU.csdata,"",@progbits
; Kernel info:
; codeLenInByte = 5844
; NumSgprs: 98
; NumVgprs: 102
; NumAgprs: 0
; TotalNumVgprs: 102
; ScratchSize: 0
; MemoryBound: 1
; FloatMode: 240
; IeeeMode: 1
; LDSByteSize: 36872 bytes/workgroup (compile time only)
; SGPRBlocks: 12
; VGPRBlocks: 12
; NumSGPRsForWavesPerEU: 98
; NumVGPRsForWavesPerEU: 102
; AccumOffset: 104
; Occupancy: 1
; WaveLimiterHint : 1
; COMPUTE_PGM_RSRC2:SCRATCH_EN: 0
; COMPUTE_PGM_RSRC2:USER_SGPR: 8
; COMPUTE_PGM_RSRC2:TRAP_HANDLER: 0
; COMPUTE_PGM_RSRC2:TGID_X_EN: 1
; COMPUTE_PGM_RSRC2:TGID_Y_EN: 0
; COMPUTE_PGM_RSRC2:TGID_Z_EN: 0
; COMPUTE_PGM_RSRC2:TIDIG_COMP_CNT: 2
; COMPUTE_PGM_RSRC3_GFX90A:ACCUM_OFFSET: 25
; COMPUTE_PGM_RSRC3_GFX90A:TG_SPLIT: 0
	.section	.text._ZN9rocsparseL25csrgemm_max_row_nnz_part1ILj256EliEEvT1_PKT0_PS1_,"axG",@progbits,_ZN9rocsparseL25csrgemm_max_row_nnz_part1ILj256EliEEvT1_PKT0_PS1_,comdat
	.globl	_ZN9rocsparseL25csrgemm_max_row_nnz_part1ILj256EliEEvT1_PKT0_PS1_ ; -- Begin function _ZN9rocsparseL25csrgemm_max_row_nnz_part1ILj256EliEEvT1_PKT0_PS1_
	.p2align	8
	.type	_ZN9rocsparseL25csrgemm_max_row_nnz_part1ILj256EliEEvT1_PKT0_PS1_,@function
_ZN9rocsparseL25csrgemm_max_row_nnz_part1ILj256EliEEvT1_PKT0_PS1_: ; @_ZN9rocsparseL25csrgemm_max_row_nnz_part1ILj256EliEEvT1_PKT0_PS1_
; %bb.0:
	s_load_dword s7, s[4:5], 0x0
	s_load_dwordx2 s[0:1], s[4:5], 0x10
	v_lshl_or_b32 v2, s6, 8, v0
	v_mov_b32_e32 v4, 0
	s_waitcnt lgkmcnt(0)
	v_cmp_gt_i32_e32 vcc, s7, v2
	s_and_saveexec_b64 s[2:3], vcc
	s_cbranch_execz .LBB164_4
; %bb.1:
	s_load_dword s10, s[4:5], 0x18
	s_load_dwordx2 s[8:9], s[4:5], 0x8
	s_mov_b64 s[4:5], 0
	v_mov_b32_e32 v4, 0
	s_waitcnt lgkmcnt(0)
	s_lshl_b32 s10, s10, 8
	v_mov_b32_e32 v1, s9
.LBB164_2:                              ; =>This Inner Loop Header: Depth=1
	v_ashrrev_i32_e32 v3, 31, v2
	v_lshlrev_b64 v[6:7], 3, v[2:3]
	v_add_co_u32_e32 v6, vcc, s8, v6
	v_addc_co_u32_e32 v7, vcc, v1, v7, vcc
	global_load_dwordx4 v[6:9], v[6:7], off
	v_add_u32_e32 v2, s10, v2
	v_cmp_le_i32_e32 vcc, s7, v2
	s_or_b64 s[4:5], vcc, s[4:5]
	s_waitcnt vmcnt(0)
	v_sub_u32_e32 v3, v8, v6
	v_max_i32_e32 v4, v4, v3
	s_andn2_b64 exec, exec, s[4:5]
	s_cbranch_execnz .LBB164_2
; %bb.3:
	s_or_b64 exec, exec, s[4:5]
.LBB164_4:
	s_or_b64 exec, exec, s[2:3]
	s_movk_i32 s2, 0x80
	v_lshlrev_b32_e32 v1, 2, v0
	v_cmp_gt_u32_e32 vcc, s2, v0
	ds_write_b32 v1, v4
	s_waitcnt lgkmcnt(0)
	s_barrier
	s_and_saveexec_b64 s[2:3], vcc
	s_cbranch_execz .LBB164_6
; %bb.5:
	ds_read2st64_b32 v[2:3], v1 offset1:2
	s_waitcnt lgkmcnt(0)
	v_max_i32_e32 v2, v2, v3
	ds_write_b32 v1, v2
.LBB164_6:
	s_or_b64 exec, exec, s[2:3]
	v_cmp_gt_u32_e32 vcc, 64, v0
	s_waitcnt lgkmcnt(0)
	s_barrier
	s_and_saveexec_b64 s[2:3], vcc
	s_cbranch_execz .LBB164_8
; %bb.7:
	ds_read2st64_b32 v[2:3], v1 offset1:1
	s_waitcnt lgkmcnt(0)
	v_max_i32_e32 v2, v2, v3
	ds_write_b32 v1, v2
.LBB164_8:
	s_or_b64 exec, exec, s[2:3]
	v_cmp_gt_u32_e32 vcc, 32, v0
	s_waitcnt lgkmcnt(0)
	s_barrier
	s_and_saveexec_b64 s[2:3], vcc
	s_cbranch_execz .LBB164_10
; %bb.9:
	ds_read2_b32 v[2:3], v1 offset1:32
	s_waitcnt lgkmcnt(0)
	v_max_i32_e32 v2, v2, v3
	ds_write_b32 v1, v2
.LBB164_10:
	s_or_b64 exec, exec, s[2:3]
	v_cmp_gt_u32_e32 vcc, 16, v0
	s_waitcnt lgkmcnt(0)
	s_barrier
	s_and_saveexec_b64 s[2:3], vcc
	s_cbranch_execz .LBB164_12
; %bb.11:
	ds_read2_b32 v[2:3], v1 offset1:16
	s_waitcnt lgkmcnt(0)
	v_max_i32_e32 v2, v2, v3
	ds_write_b32 v1, v2
.LBB164_12:
	;; [unrolled: 12-line block ×5, first 2 shown]
	s_or_b64 exec, exec, s[2:3]
	v_cmp_eq_u32_e32 vcc, 0, v0
	s_waitcnt lgkmcnt(0)
	s_barrier
	s_and_saveexec_b64 s[2:3], vcc
	s_cbranch_execz .LBB164_20
; %bb.19:
	v_mov_b32_e32 v2, 0
	ds_read_b64 v[0:1], v2
	s_waitcnt lgkmcnt(0)
	v_max_i32_e32 v0, v0, v1
	ds_write_b32 v2, v0
.LBB164_20:
	s_or_b64 exec, exec, s[2:3]
	s_waitcnt lgkmcnt(0)
	s_barrier
	s_and_saveexec_b64 s[2:3], vcc
	s_cbranch_execz .LBB164_22
; %bb.21:
	v_mov_b32_e32 v0, 0
	ds_read_b32 v1, v0
	s_mov_b32 s7, 0
	s_lshl_b64 s[2:3], s[6:7], 2
	s_add_u32 s0, s0, s2
	s_addc_u32 s1, s1, s3
	s_waitcnt lgkmcnt(0)
	global_store_dword v0, v1, s[0:1]
.LBB164_22:
	s_endpgm
	.section	.rodata,"a",@progbits
	.p2align	6, 0x0
	.amdhsa_kernel _ZN9rocsparseL25csrgemm_max_row_nnz_part1ILj256EliEEvT1_PKT0_PS1_
		.amdhsa_group_segment_fixed_size 1024
		.amdhsa_private_segment_fixed_size 0
		.amdhsa_kernarg_size 280
		.amdhsa_user_sgpr_count 6
		.amdhsa_user_sgpr_private_segment_buffer 1
		.amdhsa_user_sgpr_dispatch_ptr 0
		.amdhsa_user_sgpr_queue_ptr 0
		.amdhsa_user_sgpr_kernarg_segment_ptr 1
		.amdhsa_user_sgpr_dispatch_id 0
		.amdhsa_user_sgpr_flat_scratch_init 0
		.amdhsa_user_sgpr_kernarg_preload_length 0
		.amdhsa_user_sgpr_kernarg_preload_offset 0
		.amdhsa_user_sgpr_private_segment_size 0
		.amdhsa_uses_dynamic_stack 0
		.amdhsa_system_sgpr_private_segment_wavefront_offset 0
		.amdhsa_system_sgpr_workgroup_id_x 1
		.amdhsa_system_sgpr_workgroup_id_y 0
		.amdhsa_system_sgpr_workgroup_id_z 0
		.amdhsa_system_sgpr_workgroup_info 0
		.amdhsa_system_vgpr_workitem_id 0
		.amdhsa_next_free_vgpr 10
		.amdhsa_next_free_sgpr 11
		.amdhsa_accum_offset 12
		.amdhsa_reserve_vcc 1
		.amdhsa_reserve_flat_scratch 0
		.amdhsa_float_round_mode_32 0
		.amdhsa_float_round_mode_16_64 0
		.amdhsa_float_denorm_mode_32 3
		.amdhsa_float_denorm_mode_16_64 3
		.amdhsa_dx10_clamp 1
		.amdhsa_ieee_mode 1
		.amdhsa_fp16_overflow 0
		.amdhsa_tg_split 0
		.amdhsa_exception_fp_ieee_invalid_op 0
		.amdhsa_exception_fp_denorm_src 0
		.amdhsa_exception_fp_ieee_div_zero 0
		.amdhsa_exception_fp_ieee_overflow 0
		.amdhsa_exception_fp_ieee_underflow 0
		.amdhsa_exception_fp_ieee_inexact 0
		.amdhsa_exception_int_div_zero 0
	.end_amdhsa_kernel
	.section	.text._ZN9rocsparseL25csrgemm_max_row_nnz_part1ILj256EliEEvT1_PKT0_PS1_,"axG",@progbits,_ZN9rocsparseL25csrgemm_max_row_nnz_part1ILj256EliEEvT1_PKT0_PS1_,comdat
.Lfunc_end164:
	.size	_ZN9rocsparseL25csrgemm_max_row_nnz_part1ILj256EliEEvT1_PKT0_PS1_, .Lfunc_end164-_ZN9rocsparseL25csrgemm_max_row_nnz_part1ILj256EliEEvT1_PKT0_PS1_
                                        ; -- End function
	.section	.AMDGPU.csdata,"",@progbits
; Kernel info:
; codeLenInByte = 612
; NumSgprs: 15
; NumVgprs: 10
; NumAgprs: 0
; TotalNumVgprs: 10
; ScratchSize: 0
; MemoryBound: 0
; FloatMode: 240
; IeeeMode: 1
; LDSByteSize: 1024 bytes/workgroup (compile time only)
; SGPRBlocks: 1
; VGPRBlocks: 1
; NumSGPRsForWavesPerEU: 15
; NumVGPRsForWavesPerEU: 10
; AccumOffset: 12
; Occupancy: 8
; WaveLimiterHint : 0
; COMPUTE_PGM_RSRC2:SCRATCH_EN: 0
; COMPUTE_PGM_RSRC2:USER_SGPR: 6
; COMPUTE_PGM_RSRC2:TRAP_HANDLER: 0
; COMPUTE_PGM_RSRC2:TGID_X_EN: 1
; COMPUTE_PGM_RSRC2:TGID_Y_EN: 0
; COMPUTE_PGM_RSRC2:TGID_Z_EN: 0
; COMPUTE_PGM_RSRC2:TIDIG_COMP_CNT: 0
; COMPUTE_PGM_RSRC3_GFX90A:ACCUM_OFFSET: 2
; COMPUTE_PGM_RSRC3_GFX90A:TG_SPLIT: 0
	.section	.text._ZN9rocsparseL26bsrgemm_group_reduce_part2ILj256ELj8ELj2EfliEEvT4_PKT3_PS1_Pi,"axG",@progbits,_ZN9rocsparseL26bsrgemm_group_reduce_part2ILj256ELj8ELj2EfliEEvT4_PKT3_PS1_Pi,comdat
	.globl	_ZN9rocsparseL26bsrgemm_group_reduce_part2ILj256ELj8ELj2EfliEEvT4_PKT3_PS1_Pi ; -- Begin function _ZN9rocsparseL26bsrgemm_group_reduce_part2ILj256ELj8ELj2EfliEEvT4_PKT3_PS1_Pi
	.p2align	8
	.type	_ZN9rocsparseL26bsrgemm_group_reduce_part2ILj256ELj8ELj2EfliEEvT4_PKT3_PS1_Pi,@function
_ZN9rocsparseL26bsrgemm_group_reduce_part2ILj256ELj8ELj2EfliEEvT4_PKT3_PS1_Pi: ; @_ZN9rocsparseL26bsrgemm_group_reduce_part2ILj256ELj8ELj2EfliEEvT4_PKT3_PS1_Pi
; %bb.0:
	s_mov_b32 s8, 0
	s_load_dword s7, s[4:5], 0x0
	s_load_dwordx2 s[2:3], s[4:5], 0x10
	s_mov_b32 s9, s8
	s_mov_b32 s10, s8
	;; [unrolled: 1-line block ×3, first 2 shown]
	v_pk_mov_b32 v[2:3], s[8:9], s[8:9] op_sel:[0,1]
	v_lshlrev_b32_e32 v1, 5, v0
	v_pk_mov_b32 v[4:5], s[10:11], s[10:11] op_sel:[0,1]
	ds_write_b128 v1, v[2:5]
	ds_write_b128 v1, v[2:5] offset:16
	v_lshl_or_b32 v2, s6, 8, v0
	s_waitcnt lgkmcnt(0)
	v_cmp_gt_i32_e32 vcc, s7, v2
	s_and_saveexec_b64 s[8:9], vcc
	s_cbranch_execz .LBB165_31
; %bb.1:
	s_load_dword s0, s[4:5], 0x20
	s_load_dwordx2 s[10:11], s[4:5], 0x8
	s_load_dwordx2 s[12:13], s[4:5], 0x18
	s_mov_b64 s[4:5], 0
	s_mov_b64 s[14:15], 0x80
	s_waitcnt lgkmcnt(0)
	s_lshl_b32 s33, s0, 8
	v_mov_b32_e32 v6, s11
	s_mov_b64 s[16:17], 0x100
	s_mov_b64 s[18:19], 0x200
	v_mov_b32_e32 v7, 7
	v_mov_b32_e32 v8, 6
	;; [unrolled: 1-line block ×8, first 2 shown]
	s_branch .LBB165_3
.LBB165_2:                              ;   in Loop: Header=BB165_3 Depth=1
	s_or_b64 exec, exec, s[0:1]
	v_add_u32_e32 v2, s33, v2
	v_cmp_le_i32_e32 vcc, s7, v2
	s_or_b64 s[4:5], vcc, s[4:5]
	s_andn2_b64 exec, exec, s[4:5]
	s_cbranch_execz .LBB165_31
.LBB165_3:                              ; =>This Inner Loop Header: Depth=1
	v_ashrrev_i32_e32 v3, 31, v2
	v_lshlrev_b64 v[4:5], 3, v[2:3]
	v_add_co_u32_e32 v4, vcc, s10, v4
	v_addc_co_u32_e32 v5, vcc, v6, v5, vcc
	global_load_dwordx4 v[16:19], v[4:5], off
	s_waitcnt vmcnt(0)
	v_sub_co_u32_e32 v4, vcc, v18, v16
	v_subb_co_u32_e32 v5, vcc, v19, v17, vcc
	v_cmp_lt_i64_e32 vcc, 8, v[4:5]
	s_and_saveexec_b64 s[0:1], vcc
	s_xor_b64 s[20:21], exec, s[0:1]
	s_cbranch_execz .LBB165_29
; %bb.4:                                ;   in Loop: Header=BB165_3 Depth=1
	v_cmp_lt_u64_e32 vcc, 16, v[4:5]
	s_and_saveexec_b64 s[0:1], vcc
	s_xor_b64 s[22:23], exec, s[0:1]
	s_cbranch_execz .LBB165_26
; %bb.5:                                ;   in Loop: Header=BB165_3 Depth=1
	v_cmp_lt_u64_e32 vcc, 32, v[4:5]
	;; [unrolled: 5-line block ×6, first 2 shown]
	v_lshlrev_b64 v[4:5], 2, v[2:3]
	v_mov_b32_e32 v15, s13
	v_add_co_u32_e64 v4, s[0:1], s12, v4
	v_addc_co_u32_e64 v5, s[0:1], v15, v5, s[0:1]
	s_and_saveexec_b64 s[0:1], vcc
	s_xor_b64 s[0:1], exec, s[0:1]
	s_cbranch_execz .LBB165_11
; %bb.10:                               ;   in Loop: Header=BB165_3 Depth=1
	ds_read_b32 v15, v1 offset:28
	global_store_dword v[4:5], v7, off
                                        ; implicit-def: $vgpr4_vgpr5
	s_waitcnt lgkmcnt(0)
	v_add_u32_e32 v15, 1, v15
	ds_write_b32 v1, v15 offset:28
.LBB165_11:                             ;   in Loop: Header=BB165_3 Depth=1
	s_andn2_saveexec_b64 s[0:1], s[0:1]
	s_cbranch_execz .LBB165_13
; %bb.12:                               ;   in Loop: Header=BB165_3 Depth=1
	ds_read_b32 v15, v1 offset:24
	global_store_dword v[4:5], v8, off
	s_waitcnt lgkmcnt(0)
	v_add_u32_e32 v15, 1, v15
	ds_write_b32 v1, v15 offset:24
.LBB165_13:                             ;   in Loop: Header=BB165_3 Depth=1
	s_or_b64 exec, exec, s[0:1]
.LBB165_14:                             ;   in Loop: Header=BB165_3 Depth=1
	s_andn2_saveexec_b64 s[0:1], s[30:31]
	s_cbranch_execz .LBB165_16
; %bb.15:                               ;   in Loop: Header=BB165_3 Depth=1
	ds_read_b32 v15, v1 offset:20
	v_lshlrev_b64 v[4:5], 2, v[2:3]
	v_mov_b32_e32 v16, s13
	v_add_co_u32_e32 v4, vcc, s12, v4
	s_waitcnt lgkmcnt(0)
	v_add_u32_e32 v15, 1, v15
	v_addc_co_u32_e32 v5, vcc, v16, v5, vcc
	ds_write_b32 v1, v15 offset:20
	global_store_dword v[4:5], v9, off
.LBB165_16:                             ;   in Loop: Header=BB165_3 Depth=1
	s_or_b64 exec, exec, s[0:1]
.LBB165_17:                             ;   in Loop: Header=BB165_3 Depth=1
	s_andn2_saveexec_b64 s[0:1], s[28:29]
	s_cbranch_execz .LBB165_19
; %bb.18:                               ;   in Loop: Header=BB165_3 Depth=1
	ds_read_b32 v15, v1 offset:16
	v_lshlrev_b64 v[4:5], 2, v[2:3]
	v_mov_b32_e32 v16, s13
	v_add_co_u32_e32 v4, vcc, s12, v4
	s_waitcnt lgkmcnt(0)
	v_add_u32_e32 v15, 1, v15
	v_addc_co_u32_e32 v5, vcc, v16, v5, vcc
	ds_write_b32 v1, v15 offset:16
	global_store_dword v[4:5], v10, off
.LBB165_19:                             ;   in Loop: Header=BB165_3 Depth=1
	s_or_b64 exec, exec, s[0:1]
.LBB165_20:                             ;   in Loop: Header=BB165_3 Depth=1
	s_andn2_saveexec_b64 s[0:1], s[26:27]
	s_cbranch_execz .LBB165_22
; %bb.21:                               ;   in Loop: Header=BB165_3 Depth=1
	ds_read_b32 v15, v1 offset:12
	v_lshlrev_b64 v[4:5], 2, v[2:3]
	v_mov_b32_e32 v16, s13
	v_add_co_u32_e32 v4, vcc, s12, v4
	s_waitcnt lgkmcnt(0)
	v_add_u32_e32 v15, 1, v15
	v_addc_co_u32_e32 v5, vcc, v16, v5, vcc
	ds_write_b32 v1, v15 offset:12
	global_store_dword v[4:5], v11, off
.LBB165_22:                             ;   in Loop: Header=BB165_3 Depth=1
	s_or_b64 exec, exec, s[0:1]
.LBB165_23:                             ;   in Loop: Header=BB165_3 Depth=1
	s_andn2_saveexec_b64 s[0:1], s[24:25]
	s_cbranch_execz .LBB165_25
; %bb.24:                               ;   in Loop: Header=BB165_3 Depth=1
	ds_read_b32 v15, v1 offset:8
	v_lshlrev_b64 v[4:5], 2, v[2:3]
	v_mov_b32_e32 v16, s13
	v_add_co_u32_e32 v4, vcc, s12, v4
	s_waitcnt lgkmcnt(0)
	v_add_u32_e32 v15, 1, v15
	v_addc_co_u32_e32 v5, vcc, v16, v5, vcc
	ds_write_b32 v1, v15 offset:8
	global_store_dword v[4:5], v12, off
.LBB165_25:                             ;   in Loop: Header=BB165_3 Depth=1
	s_or_b64 exec, exec, s[0:1]
.LBB165_26:                             ;   in Loop: Header=BB165_3 Depth=1
	s_andn2_saveexec_b64 s[0:1], s[22:23]
	s_cbranch_execz .LBB165_28
; %bb.27:                               ;   in Loop: Header=BB165_3 Depth=1
	ds_read_b32 v15, v1 offset:4
	v_lshlrev_b64 v[4:5], 2, v[2:3]
	v_mov_b32_e32 v16, s13
	v_add_co_u32_e32 v4, vcc, s12, v4
	s_waitcnt lgkmcnt(0)
	v_add_u32_e32 v15, 1, v15
	v_addc_co_u32_e32 v5, vcc, v16, v5, vcc
	ds_write_b32 v1, v15 offset:4
	global_store_dword v[4:5], v13, off
.LBB165_28:                             ;   in Loop: Header=BB165_3 Depth=1
	s_or_b64 exec, exec, s[0:1]
.LBB165_29:                             ;   in Loop: Header=BB165_3 Depth=1
	s_andn2_saveexec_b64 s[0:1], s[20:21]
	s_cbranch_execz .LBB165_2
; %bb.30:                               ;   in Loop: Header=BB165_3 Depth=1
	ds_read_b32 v15, v1
	v_lshlrev_b64 v[4:5], 2, v[2:3]
	v_mov_b32_e32 v3, s13
	v_add_co_u32_e32 v4, vcc, s12, v4
	s_waitcnt lgkmcnt(0)
	v_add_u32_e32 v15, 1, v15
	v_addc_co_u32_e32 v5, vcc, v3, v5, vcc
	ds_write_b32 v1, v15
	global_store_dword v[4:5], v14, off
	s_branch .LBB165_2
.LBB165_31:
	s_or_b64 exec, exec, s[8:9]
	s_movk_i32 s0, 0x80
	v_cmp_gt_u32_e32 vcc, s0, v0
	s_waitcnt lgkmcnt(0)
	s_barrier
	s_barrier
	;; [unrolled: 1-line block ×3, first 2 shown]
	s_and_saveexec_b64 s[0:1], vcc
	s_cbranch_execz .LBB165_33
; %bb.32:
	ds_read_b128 v[2:5], v1 offset:4096
	ds_read_b128 v[6:9], v1
	ds_read_b128 v[10:13], v1 offset:16
	ds_read_b128 v[14:17], v1 offset:4112
	s_waitcnt lgkmcnt(2)
	v_add_u32_e32 v3, v7, v3
	v_add_u32_e32 v2, v6, v2
	v_add_u32_e32 v5, v9, v5
	v_add_u32_e32 v4, v8, v4
	ds_write_b128 v1, v[2:5]
	s_waitcnt lgkmcnt(1)
	v_add_u32_e32 v3, v11, v15
	v_add_u32_e32 v2, v10, v14
	v_add_u32_e32 v5, v13, v17
	v_add_u32_e32 v4, v12, v16
	ds_write_b128 v1, v[2:5] offset:16
.LBB165_33:
	s_or_b64 exec, exec, s[0:1]
	v_cmp_gt_u32_e32 vcc, 64, v0
	s_waitcnt lgkmcnt(0)
	s_barrier
	s_and_saveexec_b64 s[0:1], vcc
	s_cbranch_execz .LBB165_35
; %bb.34:
	ds_read_b128 v[2:5], v1 offset:2048
	ds_read_b128 v[6:9], v1
	ds_read_b128 v[10:13], v1 offset:16
	ds_read_b128 v[14:17], v1 offset:2064
	s_waitcnt lgkmcnt(2)
	v_add_u32_e32 v3, v7, v3
	v_add_u32_e32 v2, v6, v2
	v_add_u32_e32 v5, v9, v5
	v_add_u32_e32 v4, v8, v4
	ds_write_b128 v1, v[2:5]
	s_waitcnt lgkmcnt(1)
	v_add_u32_e32 v3, v11, v15
	v_add_u32_e32 v2, v10, v14
	v_add_u32_e32 v5, v13, v17
	v_add_u32_e32 v4, v12, v16
	ds_write_b128 v1, v[2:5] offset:16
.LBB165_35:
	s_or_b64 exec, exec, s[0:1]
	v_cmp_gt_u32_e32 vcc, 32, v0
	s_waitcnt lgkmcnt(0)
	s_barrier
	;; [unrolled: 24-line block ×4, first 2 shown]
	s_and_saveexec_b64 s[0:1], vcc
	s_cbranch_execz .LBB165_41
; %bb.40:
	ds_read_b128 v[2:5], v1 offset:256
	ds_read_b128 v[6:9], v1
	ds_read_b128 v[10:13], v1 offset:16
	ds_read_b128 v[14:17], v1 offset:272
	s_waitcnt lgkmcnt(2)
	v_add_u32_e32 v3, v7, v3
	v_add_u32_e32 v2, v6, v2
	;; [unrolled: 1-line block ×4, first 2 shown]
	ds_write_b128 v1, v[2:5]
	s_waitcnt lgkmcnt(1)
	v_add_u32_e32 v3, v11, v15
	v_add_u32_e32 v2, v10, v14
	;; [unrolled: 1-line block ×4, first 2 shown]
	ds_write_b128 v1, v[2:5] offset:16
.LBB165_41:
	s_or_b64 exec, exec, s[0:1]
	v_cmp_gt_u32_e64 s[0:1], 4, v0
	s_waitcnt lgkmcnt(0)
	s_barrier
	s_and_saveexec_b64 s[4:5], s[0:1]
	s_cbranch_execz .LBB165_43
; %bb.42:
	ds_read_b128 v[2:5], v1 offset:128
	ds_read_b128 v[6:9], v1
	ds_read_b128 v[10:13], v1 offset:16
	ds_read_b128 v[14:17], v1 offset:144
	s_waitcnt lgkmcnt(2)
	v_add_u32_e32 v3, v7, v3
	v_add_u32_e32 v2, v6, v2
	;; [unrolled: 1-line block ×4, first 2 shown]
	ds_write_b128 v1, v[2:5]
	s_waitcnt lgkmcnt(1)
	v_add_u32_e32 v3, v11, v15
	v_add_u32_e32 v2, v10, v14
	;; [unrolled: 1-line block ×4, first 2 shown]
	ds_write_b128 v1, v[2:5] offset:16
.LBB165_43:
	s_or_b64 exec, exec, s[4:5]
	v_cmp_gt_u32_e64 s[0:1], 2, v0
	s_waitcnt lgkmcnt(0)
	s_barrier
	s_and_saveexec_b64 s[4:5], s[0:1]
	s_cbranch_execz .LBB165_45
; %bb.44:
	ds_read_b128 v[2:5], v1 offset:64
	ds_read_b128 v[6:9], v1
	ds_read_b128 v[10:13], v1 offset:16
	ds_read_b128 v[14:17], v1 offset:80
	s_waitcnt lgkmcnt(2)
	v_add_u32_e32 v3, v7, v3
	v_add_u32_e32 v2, v6, v2
	;; [unrolled: 1-line block ×4, first 2 shown]
	ds_write_b128 v1, v[2:5]
	s_waitcnt lgkmcnt(1)
	v_add_u32_e32 v3, v11, v15
	v_add_u32_e32 v2, v10, v14
	;; [unrolled: 1-line block ×4, first 2 shown]
	ds_write_b128 v1, v[2:5] offset:16
.LBB165_45:
	s_or_b64 exec, exec, s[4:5]
	v_cmp_eq_u32_e64 s[0:1], 0, v0
	s_waitcnt lgkmcnt(0)
	s_barrier
	s_and_saveexec_b64 s[4:5], s[0:1]
	s_cbranch_execz .LBB165_47
; %bb.46:
	v_mov_b32_e32 v1, 0
	ds_read_b128 v[2:5], v1 offset:32
	ds_read_b128 v[6:9], v1
	ds_read_b128 v[10:13], v1 offset:16
	ds_read_b128 v[14:17], v1 offset:48
	s_waitcnt lgkmcnt(2)
	v_add_u32_e32 v3, v7, v3
	v_add_u32_e32 v2, v6, v2
	;; [unrolled: 1-line block ×4, first 2 shown]
	ds_write_b128 v1, v[2:5]
	s_waitcnt lgkmcnt(1)
	v_add_u32_e32 v3, v11, v15
	v_add_u32_e32 v2, v10, v14
	;; [unrolled: 1-line block ×4, first 2 shown]
	ds_write_b128 v1, v[2:5] offset:16
.LBB165_47:
	s_or_b64 exec, exec, s[4:5]
	s_waitcnt lgkmcnt(0)
	s_barrier
	s_and_saveexec_b64 s[0:1], vcc
	s_cbranch_execz .LBB165_49
; %bb.48:
	v_lshl_or_b32 v2, s6, 3, v0
	v_lshlrev_b32_e32 v0, 2, v0
	ds_read_b32 v4, v0
	v_mov_b32_e32 v3, 0
	v_lshlrev_b64 v[2:3], 2, v[2:3]
	v_mov_b32_e32 v1, s3
	v_add_co_u32_e32 v0, vcc, s2, v2
	v_addc_co_u32_e32 v1, vcc, v1, v3, vcc
	s_waitcnt lgkmcnt(0)
	global_store_dword v[0:1], v4, off
.LBB165_49:
	s_endpgm
	.section	.rodata,"a",@progbits
	.p2align	6, 0x0
	.amdhsa_kernel _ZN9rocsparseL26bsrgemm_group_reduce_part2ILj256ELj8ELj2EfliEEvT4_PKT3_PS1_Pi
		.amdhsa_group_segment_fixed_size 8192
		.amdhsa_private_segment_fixed_size 0
		.amdhsa_kernarg_size 288
		.amdhsa_user_sgpr_count 6
		.amdhsa_user_sgpr_private_segment_buffer 1
		.amdhsa_user_sgpr_dispatch_ptr 0
		.amdhsa_user_sgpr_queue_ptr 0
		.amdhsa_user_sgpr_kernarg_segment_ptr 1
		.amdhsa_user_sgpr_dispatch_id 0
		.amdhsa_user_sgpr_flat_scratch_init 0
		.amdhsa_user_sgpr_kernarg_preload_length 0
		.amdhsa_user_sgpr_kernarg_preload_offset 0
		.amdhsa_user_sgpr_private_segment_size 0
		.amdhsa_uses_dynamic_stack 0
		.amdhsa_system_sgpr_private_segment_wavefront_offset 0
		.amdhsa_system_sgpr_workgroup_id_x 1
		.amdhsa_system_sgpr_workgroup_id_y 0
		.amdhsa_system_sgpr_workgroup_id_z 0
		.amdhsa_system_sgpr_workgroup_info 0
		.amdhsa_system_vgpr_workitem_id 0
		.amdhsa_next_free_vgpr 20
		.amdhsa_next_free_sgpr 34
		.amdhsa_accum_offset 20
		.amdhsa_reserve_vcc 1
		.amdhsa_reserve_flat_scratch 0
		.amdhsa_float_round_mode_32 0
		.amdhsa_float_round_mode_16_64 0
		.amdhsa_float_denorm_mode_32 3
		.amdhsa_float_denorm_mode_16_64 3
		.amdhsa_dx10_clamp 1
		.amdhsa_ieee_mode 1
		.amdhsa_fp16_overflow 0
		.amdhsa_tg_split 0
		.amdhsa_exception_fp_ieee_invalid_op 0
		.amdhsa_exception_fp_denorm_src 0
		.amdhsa_exception_fp_ieee_div_zero 0
		.amdhsa_exception_fp_ieee_overflow 0
		.amdhsa_exception_fp_ieee_underflow 0
		.amdhsa_exception_fp_ieee_inexact 0
		.amdhsa_exception_int_div_zero 0
	.end_amdhsa_kernel
	.section	.text._ZN9rocsparseL26bsrgemm_group_reduce_part2ILj256ELj8ELj2EfliEEvT4_PKT3_PS1_Pi,"axG",@progbits,_ZN9rocsparseL26bsrgemm_group_reduce_part2ILj256ELj8ELj2EfliEEvT4_PKT3_PS1_Pi,comdat
.Lfunc_end165:
	.size	_ZN9rocsparseL26bsrgemm_group_reduce_part2ILj256ELj8ELj2EfliEEvT4_PKT3_PS1_Pi, .Lfunc_end165-_ZN9rocsparseL26bsrgemm_group_reduce_part2ILj256ELj8ELj2EfliEEvT4_PKT3_PS1_Pi
                                        ; -- End function
	.section	.AMDGPU.csdata,"",@progbits
; Kernel info:
; codeLenInByte = 1860
; NumSgprs: 38
; NumVgprs: 20
; NumAgprs: 0
; TotalNumVgprs: 20
; ScratchSize: 0
; MemoryBound: 0
; FloatMode: 240
; IeeeMode: 1
; LDSByteSize: 8192 bytes/workgroup (compile time only)
; SGPRBlocks: 4
; VGPRBlocks: 2
; NumSGPRsForWavesPerEU: 38
; NumVGPRsForWavesPerEU: 20
; AccumOffset: 20
; Occupancy: 8
; WaveLimiterHint : 0
; COMPUTE_PGM_RSRC2:SCRATCH_EN: 0
; COMPUTE_PGM_RSRC2:USER_SGPR: 6
; COMPUTE_PGM_RSRC2:TRAP_HANDLER: 0
; COMPUTE_PGM_RSRC2:TGID_X_EN: 1
; COMPUTE_PGM_RSRC2:TGID_Y_EN: 0
; COMPUTE_PGM_RSRC2:TGID_Z_EN: 0
; COMPUTE_PGM_RSRC2:TIDIG_COMP_CNT: 0
; COMPUTE_PGM_RSRC3_GFX90A:ACCUM_OFFSET: 4
; COMPUTE_PGM_RSRC3_GFX90A:TG_SPLIT: 0
	.section	.text._ZN9rocsparseL26bsrgemm_group_reduce_part2ILj256ELj8ELj8EfliEEvT4_PKT3_PS1_Pi,"axG",@progbits,_ZN9rocsparseL26bsrgemm_group_reduce_part2ILj256ELj8ELj8EfliEEvT4_PKT3_PS1_Pi,comdat
	.globl	_ZN9rocsparseL26bsrgemm_group_reduce_part2ILj256ELj8ELj8EfliEEvT4_PKT3_PS1_Pi ; -- Begin function _ZN9rocsparseL26bsrgemm_group_reduce_part2ILj256ELj8ELj8EfliEEvT4_PKT3_PS1_Pi
	.p2align	8
	.type	_ZN9rocsparseL26bsrgemm_group_reduce_part2ILj256ELj8ELj8EfliEEvT4_PKT3_PS1_Pi,@function
_ZN9rocsparseL26bsrgemm_group_reduce_part2ILj256ELj8ELj8EfliEEvT4_PKT3_PS1_Pi: ; @_ZN9rocsparseL26bsrgemm_group_reduce_part2ILj256ELj8ELj8EfliEEvT4_PKT3_PS1_Pi
; %bb.0:
	s_mov_b32 s8, 0
	s_load_dword s7, s[4:5], 0x0
	s_load_dwordx2 s[2:3], s[4:5], 0x10
	s_mov_b32 s9, s8
	s_mov_b32 s10, s8
	;; [unrolled: 1-line block ×3, first 2 shown]
	v_pk_mov_b32 v[2:3], s[8:9], s[8:9] op_sel:[0,1]
	v_lshlrev_b32_e32 v1, 5, v0
	v_pk_mov_b32 v[4:5], s[10:11], s[10:11] op_sel:[0,1]
	ds_write_b128 v1, v[2:5]
	ds_write_b128 v1, v[2:5] offset:16
	v_lshl_or_b32 v2, s6, 8, v0
	s_waitcnt lgkmcnt(0)
	v_cmp_gt_i32_e32 vcc, s7, v2
	s_and_saveexec_b64 s[8:9], vcc
	s_cbranch_execz .LBB166_31
; %bb.1:
	s_load_dword s0, s[4:5], 0x20
	s_load_dwordx2 s[10:11], s[4:5], 0x8
	s_load_dwordx2 s[12:13], s[4:5], 0x18
	s_mov_b64 s[4:5], 0
	s_mov_b64 s[14:15], 0x80
	s_waitcnt lgkmcnt(0)
	s_lshl_b32 s33, s0, 8
	v_mov_b32_e32 v6, s11
	s_mov_b64 s[16:17], 0x100
	s_mov_b64 s[18:19], 0x200
	v_mov_b32_e32 v7, 7
	v_mov_b32_e32 v8, 6
	v_mov_b32_e32 v9, 5
	v_mov_b32_e32 v10, 4
	v_mov_b32_e32 v11, 3
	v_mov_b32_e32 v12, 2
	v_mov_b32_e32 v13, 1
	v_mov_b32_e32 v14, 0
	s_branch .LBB166_3
.LBB166_2:                              ;   in Loop: Header=BB166_3 Depth=1
	s_or_b64 exec, exec, s[0:1]
	v_add_u32_e32 v2, s33, v2
	v_cmp_le_i32_e32 vcc, s7, v2
	s_or_b64 s[4:5], vcc, s[4:5]
	s_andn2_b64 exec, exec, s[4:5]
	s_cbranch_execz .LBB166_31
.LBB166_3:                              ; =>This Inner Loop Header: Depth=1
	v_ashrrev_i32_e32 v3, 31, v2
	v_lshlrev_b64 v[4:5], 3, v[2:3]
	v_add_co_u32_e32 v4, vcc, s10, v4
	v_addc_co_u32_e32 v5, vcc, v6, v5, vcc
	global_load_dwordx4 v[16:19], v[4:5], off
	s_waitcnt vmcnt(0)
	v_sub_co_u32_e32 v4, vcc, v18, v16
	v_subb_co_u32_e32 v5, vcc, v19, v17, vcc
	v_cmp_lt_i64_e32 vcc, 8, v[4:5]
	s_and_saveexec_b64 s[0:1], vcc
	s_xor_b64 s[20:21], exec, s[0:1]
	s_cbranch_execz .LBB166_29
; %bb.4:                                ;   in Loop: Header=BB166_3 Depth=1
	v_cmp_lt_u64_e32 vcc, 16, v[4:5]
	s_and_saveexec_b64 s[0:1], vcc
	s_xor_b64 s[22:23], exec, s[0:1]
	s_cbranch_execz .LBB166_26
; %bb.5:                                ;   in Loop: Header=BB166_3 Depth=1
	v_cmp_lt_u64_e32 vcc, 32, v[4:5]
	;; [unrolled: 5-line block ×6, first 2 shown]
	v_lshlrev_b64 v[4:5], 2, v[2:3]
	v_mov_b32_e32 v15, s13
	v_add_co_u32_e64 v4, s[0:1], s12, v4
	v_addc_co_u32_e64 v5, s[0:1], v15, v5, s[0:1]
	s_and_saveexec_b64 s[0:1], vcc
	s_xor_b64 s[0:1], exec, s[0:1]
	s_cbranch_execz .LBB166_11
; %bb.10:                               ;   in Loop: Header=BB166_3 Depth=1
	ds_read_b32 v15, v1 offset:28
	global_store_dword v[4:5], v7, off
                                        ; implicit-def: $vgpr4_vgpr5
	s_waitcnt lgkmcnt(0)
	v_add_u32_e32 v15, 1, v15
	ds_write_b32 v1, v15 offset:28
.LBB166_11:                             ;   in Loop: Header=BB166_3 Depth=1
	s_andn2_saveexec_b64 s[0:1], s[0:1]
	s_cbranch_execz .LBB166_13
; %bb.12:                               ;   in Loop: Header=BB166_3 Depth=1
	ds_read_b32 v15, v1 offset:24
	global_store_dword v[4:5], v8, off
	s_waitcnt lgkmcnt(0)
	v_add_u32_e32 v15, 1, v15
	ds_write_b32 v1, v15 offset:24
.LBB166_13:                             ;   in Loop: Header=BB166_3 Depth=1
	s_or_b64 exec, exec, s[0:1]
.LBB166_14:                             ;   in Loop: Header=BB166_3 Depth=1
	s_andn2_saveexec_b64 s[0:1], s[30:31]
	s_cbranch_execz .LBB166_16
; %bb.15:                               ;   in Loop: Header=BB166_3 Depth=1
	ds_read_b32 v15, v1 offset:20
	v_lshlrev_b64 v[4:5], 2, v[2:3]
	v_mov_b32_e32 v16, s13
	v_add_co_u32_e32 v4, vcc, s12, v4
	s_waitcnt lgkmcnt(0)
	v_add_u32_e32 v15, 1, v15
	v_addc_co_u32_e32 v5, vcc, v16, v5, vcc
	ds_write_b32 v1, v15 offset:20
	global_store_dword v[4:5], v9, off
.LBB166_16:                             ;   in Loop: Header=BB166_3 Depth=1
	s_or_b64 exec, exec, s[0:1]
.LBB166_17:                             ;   in Loop: Header=BB166_3 Depth=1
	s_andn2_saveexec_b64 s[0:1], s[28:29]
	s_cbranch_execz .LBB166_19
; %bb.18:                               ;   in Loop: Header=BB166_3 Depth=1
	ds_read_b32 v15, v1 offset:16
	v_lshlrev_b64 v[4:5], 2, v[2:3]
	v_mov_b32_e32 v16, s13
	v_add_co_u32_e32 v4, vcc, s12, v4
	s_waitcnt lgkmcnt(0)
	v_add_u32_e32 v15, 1, v15
	v_addc_co_u32_e32 v5, vcc, v16, v5, vcc
	ds_write_b32 v1, v15 offset:16
	global_store_dword v[4:5], v10, off
.LBB166_19:                             ;   in Loop: Header=BB166_3 Depth=1
	s_or_b64 exec, exec, s[0:1]
.LBB166_20:                             ;   in Loop: Header=BB166_3 Depth=1
	s_andn2_saveexec_b64 s[0:1], s[26:27]
	s_cbranch_execz .LBB166_22
; %bb.21:                               ;   in Loop: Header=BB166_3 Depth=1
	ds_read_b32 v15, v1 offset:12
	v_lshlrev_b64 v[4:5], 2, v[2:3]
	v_mov_b32_e32 v16, s13
	v_add_co_u32_e32 v4, vcc, s12, v4
	s_waitcnt lgkmcnt(0)
	v_add_u32_e32 v15, 1, v15
	v_addc_co_u32_e32 v5, vcc, v16, v5, vcc
	ds_write_b32 v1, v15 offset:12
	global_store_dword v[4:5], v11, off
.LBB166_22:                             ;   in Loop: Header=BB166_3 Depth=1
	s_or_b64 exec, exec, s[0:1]
.LBB166_23:                             ;   in Loop: Header=BB166_3 Depth=1
	s_andn2_saveexec_b64 s[0:1], s[24:25]
	s_cbranch_execz .LBB166_25
; %bb.24:                               ;   in Loop: Header=BB166_3 Depth=1
	ds_read_b32 v15, v1 offset:8
	v_lshlrev_b64 v[4:5], 2, v[2:3]
	v_mov_b32_e32 v16, s13
	v_add_co_u32_e32 v4, vcc, s12, v4
	s_waitcnt lgkmcnt(0)
	v_add_u32_e32 v15, 1, v15
	v_addc_co_u32_e32 v5, vcc, v16, v5, vcc
	ds_write_b32 v1, v15 offset:8
	global_store_dword v[4:5], v12, off
.LBB166_25:                             ;   in Loop: Header=BB166_3 Depth=1
	s_or_b64 exec, exec, s[0:1]
.LBB166_26:                             ;   in Loop: Header=BB166_3 Depth=1
	s_andn2_saveexec_b64 s[0:1], s[22:23]
	s_cbranch_execz .LBB166_28
; %bb.27:                               ;   in Loop: Header=BB166_3 Depth=1
	ds_read_b32 v15, v1 offset:4
	v_lshlrev_b64 v[4:5], 2, v[2:3]
	v_mov_b32_e32 v16, s13
	v_add_co_u32_e32 v4, vcc, s12, v4
	s_waitcnt lgkmcnt(0)
	v_add_u32_e32 v15, 1, v15
	v_addc_co_u32_e32 v5, vcc, v16, v5, vcc
	ds_write_b32 v1, v15 offset:4
	global_store_dword v[4:5], v13, off
.LBB166_28:                             ;   in Loop: Header=BB166_3 Depth=1
	s_or_b64 exec, exec, s[0:1]
.LBB166_29:                             ;   in Loop: Header=BB166_3 Depth=1
	s_andn2_saveexec_b64 s[0:1], s[20:21]
	s_cbranch_execz .LBB166_2
; %bb.30:                               ;   in Loop: Header=BB166_3 Depth=1
	ds_read_b32 v15, v1
	v_lshlrev_b64 v[4:5], 2, v[2:3]
	v_mov_b32_e32 v3, s13
	v_add_co_u32_e32 v4, vcc, s12, v4
	s_waitcnt lgkmcnt(0)
	v_add_u32_e32 v15, 1, v15
	v_addc_co_u32_e32 v5, vcc, v3, v5, vcc
	ds_write_b32 v1, v15
	global_store_dword v[4:5], v14, off
	s_branch .LBB166_2
.LBB166_31:
	s_or_b64 exec, exec, s[8:9]
	s_movk_i32 s0, 0x80
	v_cmp_gt_u32_e32 vcc, s0, v0
	s_waitcnt lgkmcnt(0)
	s_barrier
	s_barrier
	;; [unrolled: 1-line block ×3, first 2 shown]
	s_and_saveexec_b64 s[0:1], vcc
	s_cbranch_execz .LBB166_33
; %bb.32:
	ds_read_b128 v[2:5], v1 offset:4096
	ds_read_b128 v[6:9], v1
	ds_read_b128 v[10:13], v1 offset:16
	ds_read_b128 v[14:17], v1 offset:4112
	s_waitcnt lgkmcnt(2)
	v_add_u32_e32 v3, v7, v3
	v_add_u32_e32 v2, v6, v2
	v_add_u32_e32 v5, v9, v5
	v_add_u32_e32 v4, v8, v4
	ds_write_b128 v1, v[2:5]
	s_waitcnt lgkmcnt(1)
	v_add_u32_e32 v3, v11, v15
	v_add_u32_e32 v2, v10, v14
	v_add_u32_e32 v5, v13, v17
	v_add_u32_e32 v4, v12, v16
	ds_write_b128 v1, v[2:5] offset:16
.LBB166_33:
	s_or_b64 exec, exec, s[0:1]
	v_cmp_gt_u32_e32 vcc, 64, v0
	s_waitcnt lgkmcnt(0)
	s_barrier
	s_and_saveexec_b64 s[0:1], vcc
	s_cbranch_execz .LBB166_35
; %bb.34:
	ds_read_b128 v[2:5], v1 offset:2048
	ds_read_b128 v[6:9], v1
	ds_read_b128 v[10:13], v1 offset:16
	ds_read_b128 v[14:17], v1 offset:2064
	s_waitcnt lgkmcnt(2)
	v_add_u32_e32 v3, v7, v3
	v_add_u32_e32 v2, v6, v2
	v_add_u32_e32 v5, v9, v5
	v_add_u32_e32 v4, v8, v4
	ds_write_b128 v1, v[2:5]
	s_waitcnt lgkmcnt(1)
	v_add_u32_e32 v3, v11, v15
	v_add_u32_e32 v2, v10, v14
	v_add_u32_e32 v5, v13, v17
	v_add_u32_e32 v4, v12, v16
	ds_write_b128 v1, v[2:5] offset:16
.LBB166_35:
	s_or_b64 exec, exec, s[0:1]
	v_cmp_gt_u32_e32 vcc, 32, v0
	s_waitcnt lgkmcnt(0)
	s_barrier
	;; [unrolled: 24-line block ×4, first 2 shown]
	s_and_saveexec_b64 s[0:1], vcc
	s_cbranch_execz .LBB166_41
; %bb.40:
	ds_read_b128 v[2:5], v1 offset:256
	ds_read_b128 v[6:9], v1
	ds_read_b128 v[10:13], v1 offset:16
	ds_read_b128 v[14:17], v1 offset:272
	s_waitcnt lgkmcnt(2)
	v_add_u32_e32 v3, v7, v3
	v_add_u32_e32 v2, v6, v2
	;; [unrolled: 1-line block ×4, first 2 shown]
	ds_write_b128 v1, v[2:5]
	s_waitcnt lgkmcnt(1)
	v_add_u32_e32 v3, v11, v15
	v_add_u32_e32 v2, v10, v14
	;; [unrolled: 1-line block ×4, first 2 shown]
	ds_write_b128 v1, v[2:5] offset:16
.LBB166_41:
	s_or_b64 exec, exec, s[0:1]
	v_cmp_gt_u32_e64 s[0:1], 4, v0
	s_waitcnt lgkmcnt(0)
	s_barrier
	s_and_saveexec_b64 s[4:5], s[0:1]
	s_cbranch_execz .LBB166_43
; %bb.42:
	ds_read_b128 v[2:5], v1 offset:128
	ds_read_b128 v[6:9], v1
	ds_read_b128 v[10:13], v1 offset:16
	ds_read_b128 v[14:17], v1 offset:144
	s_waitcnt lgkmcnt(2)
	v_add_u32_e32 v3, v7, v3
	v_add_u32_e32 v2, v6, v2
	;; [unrolled: 1-line block ×4, first 2 shown]
	ds_write_b128 v1, v[2:5]
	s_waitcnt lgkmcnt(1)
	v_add_u32_e32 v3, v11, v15
	v_add_u32_e32 v2, v10, v14
	;; [unrolled: 1-line block ×4, first 2 shown]
	ds_write_b128 v1, v[2:5] offset:16
.LBB166_43:
	s_or_b64 exec, exec, s[4:5]
	v_cmp_gt_u32_e64 s[0:1], 2, v0
	s_waitcnt lgkmcnt(0)
	s_barrier
	s_and_saveexec_b64 s[4:5], s[0:1]
	s_cbranch_execz .LBB166_45
; %bb.44:
	ds_read_b128 v[2:5], v1 offset:64
	ds_read_b128 v[6:9], v1
	ds_read_b128 v[10:13], v1 offset:16
	ds_read_b128 v[14:17], v1 offset:80
	s_waitcnt lgkmcnt(2)
	v_add_u32_e32 v3, v7, v3
	v_add_u32_e32 v2, v6, v2
	v_add_u32_e32 v5, v9, v5
	v_add_u32_e32 v4, v8, v4
	ds_write_b128 v1, v[2:5]
	s_waitcnt lgkmcnt(1)
	v_add_u32_e32 v3, v11, v15
	v_add_u32_e32 v2, v10, v14
	;; [unrolled: 1-line block ×4, first 2 shown]
	ds_write_b128 v1, v[2:5] offset:16
.LBB166_45:
	s_or_b64 exec, exec, s[4:5]
	v_cmp_eq_u32_e64 s[0:1], 0, v0
	s_waitcnt lgkmcnt(0)
	s_barrier
	s_and_saveexec_b64 s[4:5], s[0:1]
	s_cbranch_execz .LBB166_47
; %bb.46:
	v_mov_b32_e32 v1, 0
	ds_read_b128 v[2:5], v1 offset:32
	ds_read_b128 v[6:9], v1
	ds_read_b128 v[10:13], v1 offset:16
	ds_read_b128 v[14:17], v1 offset:48
	s_waitcnt lgkmcnt(2)
	v_add_u32_e32 v3, v7, v3
	v_add_u32_e32 v2, v6, v2
	;; [unrolled: 1-line block ×4, first 2 shown]
	ds_write_b128 v1, v[2:5]
	s_waitcnt lgkmcnt(1)
	v_add_u32_e32 v3, v11, v15
	v_add_u32_e32 v2, v10, v14
	;; [unrolled: 1-line block ×4, first 2 shown]
	ds_write_b128 v1, v[2:5] offset:16
.LBB166_47:
	s_or_b64 exec, exec, s[4:5]
	s_waitcnt lgkmcnt(0)
	s_barrier
	s_and_saveexec_b64 s[0:1], vcc
	s_cbranch_execz .LBB166_49
; %bb.48:
	v_lshl_or_b32 v2, s6, 3, v0
	v_lshlrev_b32_e32 v0, 2, v0
	ds_read_b32 v4, v0
	v_mov_b32_e32 v3, 0
	v_lshlrev_b64 v[2:3], 2, v[2:3]
	v_mov_b32_e32 v1, s3
	v_add_co_u32_e32 v0, vcc, s2, v2
	v_addc_co_u32_e32 v1, vcc, v1, v3, vcc
	s_waitcnt lgkmcnt(0)
	global_store_dword v[0:1], v4, off
.LBB166_49:
	s_endpgm
	.section	.rodata,"a",@progbits
	.p2align	6, 0x0
	.amdhsa_kernel _ZN9rocsparseL26bsrgemm_group_reduce_part2ILj256ELj8ELj8EfliEEvT4_PKT3_PS1_Pi
		.amdhsa_group_segment_fixed_size 8192
		.amdhsa_private_segment_fixed_size 0
		.amdhsa_kernarg_size 288
		.amdhsa_user_sgpr_count 6
		.amdhsa_user_sgpr_private_segment_buffer 1
		.amdhsa_user_sgpr_dispatch_ptr 0
		.amdhsa_user_sgpr_queue_ptr 0
		.amdhsa_user_sgpr_kernarg_segment_ptr 1
		.amdhsa_user_sgpr_dispatch_id 0
		.amdhsa_user_sgpr_flat_scratch_init 0
		.amdhsa_user_sgpr_kernarg_preload_length 0
		.amdhsa_user_sgpr_kernarg_preload_offset 0
		.amdhsa_user_sgpr_private_segment_size 0
		.amdhsa_uses_dynamic_stack 0
		.amdhsa_system_sgpr_private_segment_wavefront_offset 0
		.amdhsa_system_sgpr_workgroup_id_x 1
		.amdhsa_system_sgpr_workgroup_id_y 0
		.amdhsa_system_sgpr_workgroup_id_z 0
		.amdhsa_system_sgpr_workgroup_info 0
		.amdhsa_system_vgpr_workitem_id 0
		.amdhsa_next_free_vgpr 20
		.amdhsa_next_free_sgpr 34
		.amdhsa_accum_offset 20
		.amdhsa_reserve_vcc 1
		.amdhsa_reserve_flat_scratch 0
		.amdhsa_float_round_mode_32 0
		.amdhsa_float_round_mode_16_64 0
		.amdhsa_float_denorm_mode_32 3
		.amdhsa_float_denorm_mode_16_64 3
		.amdhsa_dx10_clamp 1
		.amdhsa_ieee_mode 1
		.amdhsa_fp16_overflow 0
		.amdhsa_tg_split 0
		.amdhsa_exception_fp_ieee_invalid_op 0
		.amdhsa_exception_fp_denorm_src 0
		.amdhsa_exception_fp_ieee_div_zero 0
		.amdhsa_exception_fp_ieee_overflow 0
		.amdhsa_exception_fp_ieee_underflow 0
		.amdhsa_exception_fp_ieee_inexact 0
		.amdhsa_exception_int_div_zero 0
	.end_amdhsa_kernel
	.section	.text._ZN9rocsparseL26bsrgemm_group_reduce_part2ILj256ELj8ELj8EfliEEvT4_PKT3_PS1_Pi,"axG",@progbits,_ZN9rocsparseL26bsrgemm_group_reduce_part2ILj256ELj8ELj8EfliEEvT4_PKT3_PS1_Pi,comdat
.Lfunc_end166:
	.size	_ZN9rocsparseL26bsrgemm_group_reduce_part2ILj256ELj8ELj8EfliEEvT4_PKT3_PS1_Pi, .Lfunc_end166-_ZN9rocsparseL26bsrgemm_group_reduce_part2ILj256ELj8ELj8EfliEEvT4_PKT3_PS1_Pi
                                        ; -- End function
	.section	.AMDGPU.csdata,"",@progbits
; Kernel info:
; codeLenInByte = 1860
; NumSgprs: 38
; NumVgprs: 20
; NumAgprs: 0
; TotalNumVgprs: 20
; ScratchSize: 0
; MemoryBound: 0
; FloatMode: 240
; IeeeMode: 1
; LDSByteSize: 8192 bytes/workgroup (compile time only)
; SGPRBlocks: 4
; VGPRBlocks: 2
; NumSGPRsForWavesPerEU: 38
; NumVGPRsForWavesPerEU: 20
; AccumOffset: 20
; Occupancy: 8
; WaveLimiterHint : 0
; COMPUTE_PGM_RSRC2:SCRATCH_EN: 0
; COMPUTE_PGM_RSRC2:USER_SGPR: 6
; COMPUTE_PGM_RSRC2:TRAP_HANDLER: 0
; COMPUTE_PGM_RSRC2:TGID_X_EN: 1
; COMPUTE_PGM_RSRC2:TGID_Y_EN: 0
; COMPUTE_PGM_RSRC2:TGID_Z_EN: 0
; COMPUTE_PGM_RSRC2:TIDIG_COMP_CNT: 0
; COMPUTE_PGM_RSRC3_GFX90A:ACCUM_OFFSET: 4
; COMPUTE_PGM_RSRC3_GFX90A:TG_SPLIT: 0
	.section	.text._ZN9rocsparseL27bsrgemm_fill_wf_per_row_2x2ILj256ELj16ELj8ELj137ElifEEv20rocsparse_direction_T4_S2_PKS2_S4_NS_24const_host_device_scalarIT5_EEPKT3_S4_PKS6_SA_S4_SC_S7_SA_S4_SC_SA_PS2_PS6_21rocsparse_index_base_SF_SF_SF_bbb,"axG",@progbits,_ZN9rocsparseL27bsrgemm_fill_wf_per_row_2x2ILj256ELj16ELj8ELj137ElifEEv20rocsparse_direction_T4_S2_PKS2_S4_NS_24const_host_device_scalarIT5_EEPKT3_S4_PKS6_SA_S4_SC_S7_SA_S4_SC_SA_PS2_PS6_21rocsparse_index_base_SF_SF_SF_bbb,comdat
	.globl	_ZN9rocsparseL27bsrgemm_fill_wf_per_row_2x2ILj256ELj16ELj8ELj137ElifEEv20rocsparse_direction_T4_S2_PKS2_S4_NS_24const_host_device_scalarIT5_EEPKT3_S4_PKS6_SA_S4_SC_S7_SA_S4_SC_SA_PS2_PS6_21rocsparse_index_base_SF_SF_SF_bbb ; -- Begin function _ZN9rocsparseL27bsrgemm_fill_wf_per_row_2x2ILj256ELj16ELj8ELj137ElifEEv20rocsparse_direction_T4_S2_PKS2_S4_NS_24const_host_device_scalarIT5_EEPKT3_S4_PKS6_SA_S4_SC_S7_SA_S4_SC_SA_PS2_PS6_21rocsparse_index_base_SF_SF_SF_bbb
	.p2align	8
	.type	_ZN9rocsparseL27bsrgemm_fill_wf_per_row_2x2ILj256ELj16ELj8ELj137ElifEEv20rocsparse_direction_T4_S2_PKS2_S4_NS_24const_host_device_scalarIT5_EEPKT3_S4_PKS6_SA_S4_SC_S7_SA_S4_SC_SA_PS2_PS6_21rocsparse_index_base_SF_SF_SF_bbb,@function
_ZN9rocsparseL27bsrgemm_fill_wf_per_row_2x2ILj256ELj16ELj8ELj137ElifEEv20rocsparse_direction_T4_S2_PKS2_S4_NS_24const_host_device_scalarIT5_EEPKT3_S4_PKS6_SA_S4_SC_S7_SA_S4_SC_SA_PS2_PS6_21rocsparse_index_base_SF_SF_SF_bbb: ; @_ZN9rocsparseL27bsrgemm_fill_wf_per_row_2x2ILj256ELj16ELj8ELj137ElifEEv20rocsparse_direction_T4_S2_PKS2_S4_NS_24const_host_device_scalarIT5_EEPKT3_S4_PKS6_SA_S4_SC_S7_SA_S4_SC_SA_PS2_PS6_21rocsparse_index_base_SF_SF_SF_bbb
; %bb.0:
	s_load_dword s7, s[4:5], 0xa0
	s_load_dwordx2 s[2:3], s[4:5], 0x20
	s_load_dwordx2 s[0:1], s[4:5], 0x58
	s_waitcnt lgkmcnt(0)
	s_bitcmp1_b32 s7, 0
	s_cselect_b64 s[8:9], -1, 0
	s_bitcmp1_b32 s7, 16
	s_cselect_b64 s[10:11], -1, 0
	s_xor_b64 s[12:13], s[8:9], -1
	s_or_b64 s[12:13], s[12:13], s[10:11]
	s_and_b64 vcc, exec, s[12:13]
	s_cbranch_vccnz .LBB167_2
; %bb.1:
	s_load_dword s2, s[2:3], 0x0
	s_waitcnt lgkmcnt(0)
	v_mov_b32_e32 v16, s2
	s_branch .LBB167_3
.LBB167_2:
	v_mov_b32_e32 v1, s2
	v_cndmask_b32_e64 v16, 0, v1, s[8:9]
.LBB167_3:
	s_bitcmp1_b32 s7, 8
	s_cselect_b64 s[2:3], -1, 0
	s_xor_b64 s[12:13], s[2:3], -1
	s_or_b64 s[10:11], s[12:13], s[10:11]
	s_and_b64 vcc, exec, s[10:11]
	s_cbranch_vccnz .LBB167_5
; %bb.4:
	s_load_dword s0, s[0:1], 0x0
	s_waitcnt lgkmcnt(0)
	v_mov_b32_e32 v15, s0
	s_branch .LBB167_6
.LBB167_5:
	v_mov_b32_e32 v1, s0
	v_cndmask_b32_e64 v15, 0, v1, s[2:3]
.LBB167_6:
	s_load_dwordx4 s[20:23], s[4:5], 0x0
	v_and_b32_e32 v13, 15, v0
	v_lshrrev_b32_e32 v0, 4, v0
	v_mov_b32_e32 v1, 0x800
	v_lshl_or_b32 v14, v0, 5, v1
	v_cmp_gt_u32_e64 s[0:1], 8, v13
	s_and_saveexec_b64 s[10:11], s[0:1]
	s_cbranch_execz .LBB167_8
; %bb.7:
	v_lshl_add_u32 v1, v13, 2, v14
	s_waitcnt lgkmcnt(0)
	v_mov_b32_e32 v2, s22
	ds_write_b32 v1, v2
.LBB167_8:
	s_or_b64 exec, exec, s[10:11]
	v_lshl_or_b32 v4, s6, 4, v0
	v_lshlrev_b32_e32 v12, 7, v0
	v_lshl_or_b32 v0, v13, 2, v12
	v_mov_b32_e32 v1, 0
	s_waitcnt lgkmcnt(0)
	v_cmp_gt_i32_e32 vcc, s21, v4
	ds_write2_b32 v0, v1, v1 offset1:16
	s_waitcnt lgkmcnt(0)
	s_barrier
	s_and_saveexec_b64 s[6:7], vcc
	s_cbranch_execz .LBB167_14
; %bb.9:
	s_load_dwordx2 s[6:7], s[4:5], 0x18
	s_load_dwordx4 s[16:19], s[4:5], 0x90
	s_waitcnt lgkmcnt(0)
	s_cmp_eq_u64 s[6:7], 0
	s_cbranch_scc1 .LBB167_11
; %bb.10:
	s_load_dwordx2 s[10:11], s[4:5], 0x10
	v_mov_b32_e32 v2, s7
	s_waitcnt lgkmcnt(0)
	s_load_dword s10, s[10:11], 0x0
	s_waitcnt lgkmcnt(0)
	v_add_u32_e32 v0, s10, v4
	v_ashrrev_i32_e32 v1, 31, v0
	v_lshlrev_b64 v[0:1], 2, v[0:1]
	v_add_co_u32_e32 v0, vcc, s6, v0
	v_addc_co_u32_e32 v1, vcc, v2, v1, vcc
	global_load_dword v4, v[0:1], off
.LBB167_11:
	s_andn2_b64 vcc, exec, s[8:9]
	s_waitcnt vmcnt(0)
	v_ashrrev_i32_e32 v5, 31, v4
	s_cbranch_vccz .LBB167_15
; %bb.12:
	s_andn2_b64 vcc, exec, s[2:3]
	s_cbranch_vccz .LBB167_70
.LBB167_13:
	s_and_b64 exec, exec, s[0:1]
	s_cbranch_execnz .LBB167_122
.LBB167_14:
	s_endpgm
.LBB167_15:
	s_load_dwordx2 s[6:7], s[4:5], 0x28
	v_lshlrev_b64 v[0:1], 3, v[4:5]
	s_mov_b32 s21, 0
	s_waitcnt lgkmcnt(0)
	v_mov_b32_e32 v2, s7
	v_add_co_u32_e32 v0, vcc, s6, v0
	v_addc_co_u32_e32 v1, vcc, v2, v1, vcc
	global_load_dwordx4 v[0:3], v[0:1], off
	v_subrev_co_u32_e32 v8, vcc, s16, v13
	v_subb_co_u32_e64 v9, s[6:7], 0, 0, vcc
	s_waitcnt vmcnt(0)
	v_subrev_co_u32_e32 v6, vcc, s16, v2
	v_subbrev_co_u32_e32 v7, vcc, 0, v3, vcc
	v_add_co_u32_e32 v8, vcc, v0, v8
	v_addc_co_u32_e32 v9, vcc, v1, v9, vcc
	v_cmp_lt_i64_e32 vcc, v[8:9], v[6:7]
	s_and_saveexec_b64 s[6:7], vcc
	s_cbranch_execz .LBB167_69
; %bb.16:
	s_load_dwordx2 s[24:25], s[4:5], 0x50
	s_load_dwordx8 s[8:15], s[4:5], 0x30
	s_cmp_eq_u32 s20, 0
	s_mov_b32 s23, s17
	s_cselect_b32 s33, 1, 2
	s_cselect_b32 s46, 2, 1
	v_add_u32_e32 v17, 4, v12
	v_add_u32_e32 v18, 8, v12
	;; [unrolled: 1-line block ×3, first 2 shown]
	s_mov_b64 s[26:27], 0
	s_waitcnt lgkmcnt(0)
	v_mov_b32_e32 v20, s9
	v_mov_b32_e32 v21, s13
	s_branch .LBB167_18
.LBB167_17:                             ;   in Loop: Header=BB167_18 Depth=1
	s_or_b64 exec, exec, s[28:29]
	v_add_co_u32_e32 v8, vcc, 16, v8
	v_addc_co_u32_e32 v9, vcc, 0, v9, vcc
	v_cmp_ge_i64_e32 vcc, v[8:9], v[6:7]
	s_or_b64 s[26:27], vcc, s[26:27]
	s_andn2_b64 exec, exec, s[26:27]
	s_cbranch_execz .LBB167_69
.LBB167_18:                             ; =>This Loop Header: Depth=1
                                        ;     Child Loop BB167_21 Depth 2
                                        ;       Child Loop BB167_23 Depth 3
                                        ;       Child Loop BB167_35 Depth 3
	;; [unrolled: 1-line block ×4, first 2 shown]
	v_lshlrev_b64 v[10:11], 2, v[8:9]
	v_add_co_u32_e32 v0, vcc, s8, v10
	v_addc_co_u32_e32 v1, vcc, v20, v11, vcc
	global_load_dword v0, v[0:1], off
	s_waitcnt vmcnt(0)
	v_subrev_u32_e32 v0, s16, v0
	v_ashrrev_i32_e32 v1, 31, v0
	v_lshlrev_b64 v[0:1], 3, v[0:1]
	v_add_co_u32_e32 v0, vcc, s12, v0
	v_addc_co_u32_e32 v1, vcc, v21, v1, vcc
	global_load_dwordx4 v[0:3], v[0:1], off
	s_waitcnt vmcnt(0)
	v_cmp_lt_i64_e32 vcc, v[0:1], v[2:3]
	s_and_saveexec_b64 s[28:29], vcc
	s_cbranch_execz .LBB167_17
; %bb.19:                               ;   in Loop: Header=BB167_18 Depth=1
	v_lshlrev_b64 v[24:25], 4, v[8:9]
	v_or_b32_e32 v23, 0, v11
	v_or_b32_e32 v22, s33, v10
	;; [unrolled: 1-line block ×4, first 2 shown]
	v_mov_b32_e32 v26, s11
	v_add_co_u32_e32 v24, vcc, s10, v24
	v_addc_co_u32_e32 v25, vcc, v26, v25, vcc
	v_lshlrev_b64 v[10:11], 2, v[10:11]
	v_add_co_u32_e32 v10, vcc, s10, v10
	v_addc_co_u32_e32 v11, vcc, v26, v11, vcc
	v_lshlrev_b64 v[22:23], 2, v[22:23]
	v_add_co_u32_e32 v22, vcc, s10, v22
	v_addc_co_u32_e32 v23, vcc, v26, v23, vcc
	global_load_dword v26, v[24:25], off offset:12
	global_load_dword v27, v[10:11], off
	global_load_dword v28, v[22:23], off
	;; [unrolled: 1-line block ×3, first 2 shown]
	v_mov_b32_e32 v10, s21
	v_subrev_co_u32_e32 v2, vcc, s23, v2
	v_subb_co_u32_e32 v3, vcc, v3, v10, vcc
	v_subrev_co_u32_e32 v0, vcc, s23, v0
	v_subb_co_u32_e32 v1, vcc, v1, v10, vcc
	s_mov_b64 s[30:31], 0
	s_waitcnt vmcnt(3)
	v_mul_f32_e32 v10, v16, v26
	s_waitcnt vmcnt(2)
	v_mul_f32_e32 v11, v16, v27
	;; [unrolled: 2-line block ×4, first 2 shown]
	s_branch .LBB167_21
.LBB167_20:                             ;   in Loop: Header=BB167_21 Depth=2
	s_or_b64 exec, exec, s[34:35]
	v_add_co_u32_e32 v0, vcc, 1, v0
	v_addc_co_u32_e32 v1, vcc, 0, v1, vcc
	v_cmp_ge_i64_e32 vcc, v[0:1], v[2:3]
	s_or_b64 s[30:31], vcc, s[30:31]
	s_andn2_b64 exec, exec, s[30:31]
	s_cbranch_execz .LBB167_17
.LBB167_21:                             ;   Parent Loop BB167_18 Depth=1
                                        ; =>  This Loop Header: Depth=2
                                        ;       Child Loop BB167_23 Depth 3
                                        ;       Child Loop BB167_35 Depth 3
	;; [unrolled: 1-line block ×4, first 2 shown]
	v_lshlrev_b64 v[24:25], 2, v[0:1]
	v_mov_b32_e32 v27, s15
	v_add_co_u32_e32 v26, vcc, s14, v24
	v_addc_co_u32_e32 v27, vcc, v27, v25, vcc
	v_lshlrev_b64 v[28:29], 4, v[0:1]
	global_load_dword v32, v[26:27], off
	v_or_b32_e32 v27, 0, v25
	v_or_b32_e32 v26, s33, v24
	;; [unrolled: 1-line block ×4, first 2 shown]
	v_mov_b32_e32 v33, s25
	v_add_co_u32_e32 v30, vcc, s24, v28
	v_addc_co_u32_e32 v31, vcc, v33, v29, vcc
	v_lshlrev_b64 v[24:25], 2, v[24:25]
	v_add_co_u32_e32 v24, vcc, s24, v24
	v_lshlrev_b64 v[26:27], 2, v[26:27]
	v_addc_co_u32_e32 v25, vcc, v33, v25, vcc
	global_load_dword v28, v[30:31], off
	global_load_dword v29, v[24:25], off
	v_add_co_u32_e32 v24, vcc, s24, v26
	v_addc_co_u32_e32 v25, vcc, v33, v27, vcc
	global_load_dword v26, v[24:25], off
	global_load_dword v27, v[30:31], off offset:12
	s_mov_b64 s[34:35], 0
	s_waitcnt vmcnt(4)
	v_subrev_u32_e32 v24, s17, v32
	v_and_b32_e32 v25, 7, v24
	v_mov_b32_e32 v31, v25
	s_waitcnt vmcnt(2)
	v_mul_f32_e32 v30, v23, v29
	v_fmac_f32_e32 v30, v22, v28
	s_branch .LBB167_23
.LBB167_22:                             ;   in Loop: Header=BB167_23 Depth=3
	s_or_b64 exec, exec, s[36:37]
	s_xor_b64 s[36:37], s[38:39], -1
	s_and_b64 s[36:37], exec, s[36:37]
	s_or_b64 s[34:35], s[36:37], s[34:35]
	s_andn2_b64 exec, exec, s[34:35]
	s_cbranch_execz .LBB167_33
.LBB167_23:                             ;   Parent Loop BB167_18 Depth=1
                                        ;     Parent Loop BB167_21 Depth=2
                                        ; =>    This Inner Loop Header: Depth=3
	v_lshl_add_u32 v32, v31, 2, v14
	ds_read_b32 v33, v32
                                        ; implicit-def: $sgpr38_sgpr39
	s_waitcnt lgkmcnt(0)
	v_cmp_ne_u32_e32 vcc, v33, v24
	s_and_saveexec_b64 s[36:37], vcc
	s_xor_b64 s[36:37], exec, s[36:37]
	s_cbranch_execz .LBB167_31
; %bb.24:                               ;   in Loop: Header=BB167_23 Depth=3
	v_cmp_ne_u32_e32 vcc, s22, v33
                                        ; implicit-def: $sgpr38_sgpr39
	s_and_saveexec_b64 s[40:41], vcc
	s_xor_b64 s[40:41], exec, s[40:41]
; %bb.25:                               ;   in Loop: Header=BB167_23 Depth=3
	v_add_u32_e32 v31, 1, v31
	v_and_b32_e32 v31, 7, v31
	s_mov_b64 s[38:39], -1
                                        ; implicit-def: $vgpr32
; %bb.26:                               ;   in Loop: Header=BB167_23 Depth=3
	s_andn2_saveexec_b64 s[40:41], s[40:41]
	s_cbranch_execz .LBB167_30
; %bb.27:                               ;   in Loop: Header=BB167_23 Depth=3
	v_mov_b32_e32 v33, s22
	ds_cmpst_rtn_b32 v32, v32, v33, v24
	s_mov_b64 s[42:43], -1
	s_waitcnt lgkmcnt(0)
	v_cmp_eq_u32_e32 vcc, s22, v32
	s_and_saveexec_b64 s[44:45], vcc
	s_cbranch_execz .LBB167_29
; %bb.28:                               ;   in Loop: Header=BB167_23 Depth=3
	v_lshl_add_u32 v32, v31, 4, v12
	ds_add_f32 v32, v30
	s_xor_b64 s[42:43], exec, -1
.LBB167_29:                             ;   in Loop: Header=BB167_23 Depth=3
	s_or_b64 exec, exec, s[44:45]
	s_andn2_b64 s[38:39], s[38:39], exec
	s_and_b64 s[42:43], s[42:43], exec
	s_or_b64 s[38:39], s[38:39], s[42:43]
.LBB167_30:                             ;   in Loop: Header=BB167_23 Depth=3
	s_or_b64 exec, exec, s[40:41]
	s_and_b64 s[38:39], s[38:39], exec
.LBB167_31:                             ;   in Loop: Header=BB167_23 Depth=3
	s_andn2_saveexec_b64 s[36:37], s[36:37]
	s_cbranch_execz .LBB167_22
; %bb.32:                               ;   in Loop: Header=BB167_23 Depth=3
	v_lshl_add_u32 v32, v31, 4, v12
	ds_add_f32 v32, v30
	s_andn2_b64 s[38:39], s[38:39], exec
	s_branch .LBB167_22
.LBB167_33:                             ;   in Loop: Header=BB167_21 Depth=2
	s_or_b64 exec, exec, s[34:35]
	s_waitcnt vmcnt(0)
	v_mul_f32_e32 v30, v23, v27
	v_fmac_f32_e32 v30, v22, v26
	s_mov_b64 s[34:35], 0
	v_mov_b32_e32 v31, v25
	s_branch .LBB167_35
.LBB167_34:                             ;   in Loop: Header=BB167_35 Depth=3
	s_or_b64 exec, exec, s[36:37]
	s_xor_b64 s[36:37], s[38:39], -1
	s_and_b64 s[36:37], exec, s[36:37]
	s_or_b64 s[34:35], s[36:37], s[34:35]
	s_andn2_b64 exec, exec, s[34:35]
	s_cbranch_execz .LBB167_45
.LBB167_35:                             ;   Parent Loop BB167_18 Depth=1
                                        ;     Parent Loop BB167_21 Depth=2
                                        ; =>    This Inner Loop Header: Depth=3
	v_lshl_add_u32 v32, v31, 2, v14
	ds_read_b32 v33, v32
                                        ; implicit-def: $sgpr38_sgpr39
	s_waitcnt lgkmcnt(0)
	v_cmp_ne_u32_e32 vcc, v33, v24
	s_and_saveexec_b64 s[36:37], vcc
	s_xor_b64 s[36:37], exec, s[36:37]
	s_cbranch_execz .LBB167_43
; %bb.36:                               ;   in Loop: Header=BB167_35 Depth=3
	v_cmp_ne_u32_e32 vcc, s22, v33
                                        ; implicit-def: $sgpr38_sgpr39
	s_and_saveexec_b64 s[40:41], vcc
	s_xor_b64 s[40:41], exec, s[40:41]
; %bb.37:                               ;   in Loop: Header=BB167_35 Depth=3
	v_add_u32_e32 v31, 1, v31
	v_and_b32_e32 v31, 7, v31
	s_mov_b64 s[38:39], -1
                                        ; implicit-def: $vgpr32
; %bb.38:                               ;   in Loop: Header=BB167_35 Depth=3
	s_andn2_saveexec_b64 s[40:41], s[40:41]
	s_cbranch_execz .LBB167_42
; %bb.39:                               ;   in Loop: Header=BB167_35 Depth=3
	v_mov_b32_e32 v33, s22
	ds_cmpst_rtn_b32 v32, v32, v33, v24
	s_mov_b64 s[42:43], -1
	s_waitcnt lgkmcnt(0)
	v_cmp_eq_u32_e32 vcc, s22, v32
	s_and_saveexec_b64 s[44:45], vcc
	s_cbranch_execz .LBB167_41
; %bb.40:                               ;   in Loop: Header=BB167_35 Depth=3
	v_lshl_add_u32 v32, v31, 4, v17
	ds_add_f32 v32, v30
	s_xor_b64 s[42:43], exec, -1
.LBB167_41:                             ;   in Loop: Header=BB167_35 Depth=3
	s_or_b64 exec, exec, s[44:45]
	s_andn2_b64 s[38:39], s[38:39], exec
	s_and_b64 s[42:43], s[42:43], exec
	s_or_b64 s[38:39], s[38:39], s[42:43]
.LBB167_42:                             ;   in Loop: Header=BB167_35 Depth=3
	s_or_b64 exec, exec, s[40:41]
	s_and_b64 s[38:39], s[38:39], exec
.LBB167_43:                             ;   in Loop: Header=BB167_35 Depth=3
	s_andn2_saveexec_b64 s[36:37], s[36:37]
	s_cbranch_execz .LBB167_34
; %bb.44:                               ;   in Loop: Header=BB167_35 Depth=3
	v_lshl_add_u32 v32, v31, 4, v17
	ds_add_f32 v32, v30
	s_andn2_b64 s[38:39], s[38:39], exec
	s_branch .LBB167_34
.LBB167_45:                             ;   in Loop: Header=BB167_21 Depth=2
	s_or_b64 exec, exec, s[34:35]
	v_mul_f32_e32 v29, v10, v29
	v_fmac_f32_e32 v29, v11, v28
	s_mov_b64 s[34:35], 0
	v_mov_b32_e32 v28, v25
	s_branch .LBB167_47
.LBB167_46:                             ;   in Loop: Header=BB167_47 Depth=3
	s_or_b64 exec, exec, s[36:37]
	s_xor_b64 s[36:37], s[38:39], -1
	s_and_b64 s[36:37], exec, s[36:37]
	s_or_b64 s[34:35], s[36:37], s[34:35]
	s_andn2_b64 exec, exec, s[34:35]
	s_cbranch_execz .LBB167_57
.LBB167_47:                             ;   Parent Loop BB167_18 Depth=1
                                        ;     Parent Loop BB167_21 Depth=2
                                        ; =>    This Inner Loop Header: Depth=3
	v_lshl_add_u32 v30, v28, 2, v14
	ds_read_b32 v31, v30
                                        ; implicit-def: $sgpr38_sgpr39
	s_waitcnt lgkmcnt(0)
	v_cmp_ne_u32_e32 vcc, v31, v24
	s_and_saveexec_b64 s[36:37], vcc
	s_xor_b64 s[36:37], exec, s[36:37]
	s_cbranch_execz .LBB167_55
; %bb.48:                               ;   in Loop: Header=BB167_47 Depth=3
	v_cmp_ne_u32_e32 vcc, s22, v31
                                        ; implicit-def: $sgpr38_sgpr39
	s_and_saveexec_b64 s[40:41], vcc
	s_xor_b64 s[40:41], exec, s[40:41]
; %bb.49:                               ;   in Loop: Header=BB167_47 Depth=3
	v_add_u32_e32 v28, 1, v28
	v_and_b32_e32 v28, 7, v28
	s_mov_b64 s[38:39], -1
                                        ; implicit-def: $vgpr30
; %bb.50:                               ;   in Loop: Header=BB167_47 Depth=3
	s_andn2_saveexec_b64 s[40:41], s[40:41]
	s_cbranch_execz .LBB167_54
; %bb.51:                               ;   in Loop: Header=BB167_47 Depth=3
	v_mov_b32_e32 v31, s22
	ds_cmpst_rtn_b32 v30, v30, v31, v24
	s_mov_b64 s[42:43], -1
	s_waitcnt lgkmcnt(0)
	v_cmp_eq_u32_e32 vcc, s22, v30
	s_and_saveexec_b64 s[44:45], vcc
	s_cbranch_execz .LBB167_53
; %bb.52:                               ;   in Loop: Header=BB167_47 Depth=3
	v_lshl_add_u32 v30, v28, 4, v18
	ds_add_f32 v30, v29
	s_xor_b64 s[42:43], exec, -1
.LBB167_53:                             ;   in Loop: Header=BB167_47 Depth=3
	s_or_b64 exec, exec, s[44:45]
	s_andn2_b64 s[38:39], s[38:39], exec
	s_and_b64 s[42:43], s[42:43], exec
	s_or_b64 s[38:39], s[38:39], s[42:43]
.LBB167_54:                             ;   in Loop: Header=BB167_47 Depth=3
	s_or_b64 exec, exec, s[40:41]
	s_and_b64 s[38:39], s[38:39], exec
.LBB167_55:                             ;   in Loop: Header=BB167_47 Depth=3
	s_andn2_saveexec_b64 s[36:37], s[36:37]
	s_cbranch_execz .LBB167_46
; %bb.56:                               ;   in Loop: Header=BB167_47 Depth=3
	v_lshl_add_u32 v30, v28, 4, v18
	ds_add_f32 v30, v29
	s_andn2_b64 s[38:39], s[38:39], exec
	s_branch .LBB167_46
.LBB167_57:                             ;   in Loop: Header=BB167_21 Depth=2
	s_or_b64 exec, exec, s[34:35]
	v_mul_f32_e32 v27, v10, v27
	v_fmac_f32_e32 v27, v11, v26
	s_mov_b64 s[34:35], 0
	s_branch .LBB167_59
.LBB167_58:                             ;   in Loop: Header=BB167_59 Depth=3
	s_or_b64 exec, exec, s[36:37]
	s_xor_b64 s[36:37], s[38:39], -1
	s_and_b64 s[36:37], exec, s[36:37]
	s_or_b64 s[34:35], s[36:37], s[34:35]
	s_andn2_b64 exec, exec, s[34:35]
	s_cbranch_execz .LBB167_20
.LBB167_59:                             ;   Parent Loop BB167_18 Depth=1
                                        ;     Parent Loop BB167_21 Depth=2
                                        ; =>    This Inner Loop Header: Depth=3
	v_lshl_add_u32 v26, v25, 2, v14
	ds_read_b32 v28, v26
                                        ; implicit-def: $sgpr38_sgpr39
	s_waitcnt lgkmcnt(0)
	v_cmp_ne_u32_e32 vcc, v28, v24
	s_and_saveexec_b64 s[36:37], vcc
	s_xor_b64 s[36:37], exec, s[36:37]
	s_cbranch_execz .LBB167_67
; %bb.60:                               ;   in Loop: Header=BB167_59 Depth=3
	v_cmp_ne_u32_e32 vcc, s22, v28
                                        ; implicit-def: $sgpr38_sgpr39
	s_and_saveexec_b64 s[40:41], vcc
	s_xor_b64 s[40:41], exec, s[40:41]
; %bb.61:                               ;   in Loop: Header=BB167_59 Depth=3
	v_add_u32_e32 v25, 1, v25
	v_and_b32_e32 v25, 7, v25
	s_mov_b64 s[38:39], -1
                                        ; implicit-def: $vgpr26
; %bb.62:                               ;   in Loop: Header=BB167_59 Depth=3
	s_andn2_saveexec_b64 s[40:41], s[40:41]
	s_cbranch_execz .LBB167_66
; %bb.63:                               ;   in Loop: Header=BB167_59 Depth=3
	v_mov_b32_e32 v28, s22
	ds_cmpst_rtn_b32 v26, v26, v28, v24
	s_mov_b64 s[42:43], -1
	s_waitcnt lgkmcnt(0)
	v_cmp_eq_u32_e32 vcc, s22, v26
	s_and_saveexec_b64 s[44:45], vcc
	s_cbranch_execz .LBB167_65
; %bb.64:                               ;   in Loop: Header=BB167_59 Depth=3
	v_lshl_add_u32 v26, v25, 4, v19
	ds_add_f32 v26, v27
	s_xor_b64 s[42:43], exec, -1
.LBB167_65:                             ;   in Loop: Header=BB167_59 Depth=3
	s_or_b64 exec, exec, s[44:45]
	s_andn2_b64 s[38:39], s[38:39], exec
	s_and_b64 s[42:43], s[42:43], exec
	s_or_b64 s[38:39], s[38:39], s[42:43]
.LBB167_66:                             ;   in Loop: Header=BB167_59 Depth=3
	s_or_b64 exec, exec, s[40:41]
	s_and_b64 s[38:39], s[38:39], exec
.LBB167_67:                             ;   in Loop: Header=BB167_59 Depth=3
	s_andn2_saveexec_b64 s[36:37], s[36:37]
	s_cbranch_execz .LBB167_58
; %bb.68:                               ;   in Loop: Header=BB167_59 Depth=3
	v_lshl_add_u32 v26, v25, 4, v19
	ds_add_f32 v26, v27
	s_andn2_b64 s[38:39], s[38:39], exec
	s_branch .LBB167_58
.LBB167_69:
	s_or_b64 exec, exec, s[6:7]
	s_andn2_b64 vcc, exec, s[2:3]
	s_waitcnt lgkmcnt(0)
	s_cbranch_vccnz .LBB167_13
.LBB167_70:
	s_load_dwordx2 s[2:3], s[4:5], 0x60
	v_lshlrev_b64 v[0:1], 3, v[4:5]
	s_waitcnt lgkmcnt(0)
	v_mov_b32_e32 v2, s3
	v_add_co_u32_e32 v0, vcc, s2, v0
	v_addc_co_u32_e32 v1, vcc, v2, v1, vcc
	global_load_dwordx4 v[6:9], v[0:1], off
	v_subrev_co_u32_e32 v2, vcc, s19, v13
	v_subb_co_u32_e64 v3, s[2:3], 0, 0, vcc
	s_waitcnt vmcnt(0)
	v_subrev_co_u32_e32 v0, vcc, s19, v8
	v_subbrev_co_u32_e32 v1, vcc, 0, v9, vcc
	v_add_co_u32_e32 v2, vcc, v6, v2
	v_addc_co_u32_e32 v3, vcc, v7, v3, vcc
	v_cmp_lt_i64_e32 vcc, v[2:3], v[0:1]
	s_and_saveexec_b64 s[2:3], vcc
	s_cbranch_execz .LBB167_121
; %bb.71:
	s_load_dwordx4 s[8:11], s[4:5], 0x68
	s_cmp_eq_u32 s20, 0
	s_cselect_b32 s21, 1, 2
	s_cselect_b32 s23, 2, 1
	v_add_u32_e32 v6, 4, v12
	v_add_u32_e32 v7, 8, v12
	;; [unrolled: 1-line block ×3, first 2 shown]
	s_mov_b64 s[6:7], 0
	s_waitcnt lgkmcnt(0)
	v_mov_b32_e32 v9, s11
	v_mov_b32_e32 v10, s9
	s_branch .LBB167_73
.LBB167_72:                             ;   in Loop: Header=BB167_73 Depth=1
	s_or_b64 exec, exec, s[12:13]
	v_add_co_u32_e32 v2, vcc, 16, v2
	v_addc_co_u32_e32 v3, vcc, 0, v3, vcc
	v_cmp_ge_i64_e32 vcc, v[2:3], v[0:1]
	s_or_b64 s[6:7], vcc, s[6:7]
	s_andn2_b64 exec, exec, s[6:7]
	s_cbranch_execz .LBB167_121
.LBB167_73:                             ; =>This Loop Header: Depth=1
                                        ;     Child Loop BB167_75 Depth 2
                                        ;     Child Loop BB167_87 Depth 2
	;; [unrolled: 1-line block ×4, first 2 shown]
	v_lshlrev_b64 v[16:17], 2, v[2:3]
	v_lshlrev_b64 v[22:23], 4, v[2:3]
	v_or_b32_e32 v19, 0, v17
	v_or_b32_e32 v18, s21, v16
	v_add_co_u32_e32 v22, vcc, s10, v22
	v_addc_co_u32_e32 v23, vcc, v9, v23, vcc
	v_lshlrev_b64 v[18:19], 2, v[18:19]
	v_add_co_u32_e32 v24, vcc, s10, v18
	v_addc_co_u32_e32 v25, vcc, v9, v19, vcc
	v_or_b32_e32 v21, 0, v17
	v_or_b32_e32 v20, s23, v16
	v_add_co_u32_e32 v16, vcc, s8, v16
	v_lshlrev_b64 v[18:19], 2, v[20:21]
	v_addc_co_u32_e32 v17, vcc, v10, v17, vcc
	global_load_dword v11, v[22:23], off
	v_add_co_u32_e32 v20, vcc, s10, v18
	global_load_dword v16, v[16:17], off
	v_addc_co_u32_e32 v21, vcc, v9, v19, vcc
	global_load_dword v18, v[20:21], off
	global_load_dword v19, v[24:25], off
	global_load_dword v17, v[22:23], off offset:12
	s_mov_b64 s[12:13], 0
	s_waitcnt vmcnt(4)
	v_mul_f32_e32 v20, v15, v11
	s_waitcnt vmcnt(3)
	v_subrev_u32_e32 v11, s19, v16
	v_and_b32_e32 v16, 7, v11
	v_mov_b32_e32 v21, v16
	s_branch .LBB167_75
.LBB167_74:                             ;   in Loop: Header=BB167_75 Depth=2
	s_or_b64 exec, exec, s[14:15]
	s_xor_b64 s[14:15], s[16:17], -1
	s_and_b64 s[14:15], exec, s[14:15]
	s_or_b64 s[12:13], s[14:15], s[12:13]
	s_andn2_b64 exec, exec, s[12:13]
	s_cbranch_execz .LBB167_85
.LBB167_75:                             ;   Parent Loop BB167_73 Depth=1
                                        ; =>  This Inner Loop Header: Depth=2
	v_lshl_add_u32 v22, v21, 2, v14
	ds_read_b32 v23, v22
                                        ; implicit-def: $sgpr16_sgpr17
	s_waitcnt lgkmcnt(0)
	v_cmp_ne_u32_e32 vcc, v23, v11
	s_and_saveexec_b64 s[14:15], vcc
	s_xor_b64 s[14:15], exec, s[14:15]
	s_cbranch_execz .LBB167_83
; %bb.76:                               ;   in Loop: Header=BB167_75 Depth=2
	v_cmp_ne_u32_e32 vcc, s22, v23
                                        ; implicit-def: $sgpr16_sgpr17
	s_and_saveexec_b64 s[24:25], vcc
	s_xor_b64 s[24:25], exec, s[24:25]
; %bb.77:                               ;   in Loop: Header=BB167_75 Depth=2
	v_add_u32_e32 v21, 1, v21
	v_and_b32_e32 v21, 7, v21
	s_mov_b64 s[16:17], -1
                                        ; implicit-def: $vgpr22
; %bb.78:                               ;   in Loop: Header=BB167_75 Depth=2
	s_andn2_saveexec_b64 s[24:25], s[24:25]
	s_cbranch_execz .LBB167_82
; %bb.79:                               ;   in Loop: Header=BB167_75 Depth=2
	v_mov_b32_e32 v23, s22
	ds_cmpst_rtn_b32 v22, v22, v23, v11
	s_mov_b64 s[26:27], -1
	s_waitcnt lgkmcnt(0)
	v_cmp_eq_u32_e32 vcc, s22, v22
	s_and_saveexec_b64 s[28:29], vcc
	s_cbranch_execz .LBB167_81
; %bb.80:                               ;   in Loop: Header=BB167_75 Depth=2
	v_lshl_add_u32 v22, v21, 4, v12
	ds_add_f32 v22, v20
	s_xor_b64 s[26:27], exec, -1
.LBB167_81:                             ;   in Loop: Header=BB167_75 Depth=2
	s_or_b64 exec, exec, s[28:29]
	s_andn2_b64 s[16:17], s[16:17], exec
	s_and_b64 s[26:27], s[26:27], exec
	s_or_b64 s[16:17], s[16:17], s[26:27]
.LBB167_82:                             ;   in Loop: Header=BB167_75 Depth=2
	s_or_b64 exec, exec, s[24:25]
	s_and_b64 s[16:17], s[16:17], exec
.LBB167_83:                             ;   in Loop: Header=BB167_75 Depth=2
	s_andn2_saveexec_b64 s[14:15], s[14:15]
	s_cbranch_execz .LBB167_74
; %bb.84:                               ;   in Loop: Header=BB167_75 Depth=2
	v_lshl_add_u32 v22, v21, 4, v12
	ds_add_f32 v22, v20
	s_andn2_b64 s[16:17], s[16:17], exec
	s_branch .LBB167_74
.LBB167_85:                             ;   in Loop: Header=BB167_73 Depth=1
	s_or_b64 exec, exec, s[12:13]
	s_waitcnt vmcnt(1)
	v_mul_f32_e32 v19, v15, v19
	s_mov_b64 s[12:13], 0
	v_mov_b32_e32 v20, v16
	s_branch .LBB167_87
.LBB167_86:                             ;   in Loop: Header=BB167_87 Depth=2
	s_or_b64 exec, exec, s[14:15]
	s_xor_b64 s[14:15], s[16:17], -1
	s_and_b64 s[14:15], exec, s[14:15]
	s_or_b64 s[12:13], s[14:15], s[12:13]
	s_andn2_b64 exec, exec, s[12:13]
	s_cbranch_execz .LBB167_97
.LBB167_87:                             ;   Parent Loop BB167_73 Depth=1
                                        ; =>  This Inner Loop Header: Depth=2
	v_lshl_add_u32 v21, v20, 2, v14
	ds_read_b32 v22, v21
                                        ; implicit-def: $sgpr16_sgpr17
	s_waitcnt lgkmcnt(0)
	v_cmp_ne_u32_e32 vcc, v22, v11
	s_and_saveexec_b64 s[14:15], vcc
	s_xor_b64 s[14:15], exec, s[14:15]
	s_cbranch_execz .LBB167_95
; %bb.88:                               ;   in Loop: Header=BB167_87 Depth=2
	v_cmp_ne_u32_e32 vcc, s22, v22
                                        ; implicit-def: $sgpr16_sgpr17
	s_and_saveexec_b64 s[24:25], vcc
	s_xor_b64 s[24:25], exec, s[24:25]
; %bb.89:                               ;   in Loop: Header=BB167_87 Depth=2
	v_add_u32_e32 v20, 1, v20
	v_and_b32_e32 v20, 7, v20
	s_mov_b64 s[16:17], -1
                                        ; implicit-def: $vgpr21
; %bb.90:                               ;   in Loop: Header=BB167_87 Depth=2
	s_andn2_saveexec_b64 s[24:25], s[24:25]
	s_cbranch_execz .LBB167_94
; %bb.91:                               ;   in Loop: Header=BB167_87 Depth=2
	v_mov_b32_e32 v22, s22
	ds_cmpst_rtn_b32 v21, v21, v22, v11
	s_mov_b64 s[26:27], -1
	s_waitcnt lgkmcnt(0)
	v_cmp_eq_u32_e32 vcc, s22, v21
	s_and_saveexec_b64 s[28:29], vcc
	s_cbranch_execz .LBB167_93
; %bb.92:                               ;   in Loop: Header=BB167_87 Depth=2
	v_lshl_add_u32 v21, v20, 4, v6
	ds_add_f32 v21, v19
	s_xor_b64 s[26:27], exec, -1
.LBB167_93:                             ;   in Loop: Header=BB167_87 Depth=2
	s_or_b64 exec, exec, s[28:29]
	s_andn2_b64 s[16:17], s[16:17], exec
	s_and_b64 s[26:27], s[26:27], exec
	s_or_b64 s[16:17], s[16:17], s[26:27]
.LBB167_94:                             ;   in Loop: Header=BB167_87 Depth=2
	s_or_b64 exec, exec, s[24:25]
	s_and_b64 s[16:17], s[16:17], exec
.LBB167_95:                             ;   in Loop: Header=BB167_87 Depth=2
	s_andn2_saveexec_b64 s[14:15], s[14:15]
	s_cbranch_execz .LBB167_86
; %bb.96:                               ;   in Loop: Header=BB167_87 Depth=2
	v_lshl_add_u32 v21, v20, 4, v6
	ds_add_f32 v21, v19
	s_andn2_b64 s[16:17], s[16:17], exec
	s_branch .LBB167_86
.LBB167_97:                             ;   in Loop: Header=BB167_73 Depth=1
	s_or_b64 exec, exec, s[12:13]
	v_mul_f32_e32 v18, v15, v18
	s_mov_b64 s[12:13], 0
	v_mov_b32_e32 v19, v16
	s_branch .LBB167_99
.LBB167_98:                             ;   in Loop: Header=BB167_99 Depth=2
	s_or_b64 exec, exec, s[14:15]
	s_xor_b64 s[14:15], s[16:17], -1
	s_and_b64 s[14:15], exec, s[14:15]
	s_or_b64 s[12:13], s[14:15], s[12:13]
	s_andn2_b64 exec, exec, s[12:13]
	s_cbranch_execz .LBB167_109
.LBB167_99:                             ;   Parent Loop BB167_73 Depth=1
                                        ; =>  This Inner Loop Header: Depth=2
	v_lshl_add_u32 v20, v19, 2, v14
	ds_read_b32 v21, v20
                                        ; implicit-def: $sgpr16_sgpr17
	s_waitcnt lgkmcnt(0)
	v_cmp_ne_u32_e32 vcc, v21, v11
	s_and_saveexec_b64 s[14:15], vcc
	s_xor_b64 s[14:15], exec, s[14:15]
	s_cbranch_execz .LBB167_107
; %bb.100:                              ;   in Loop: Header=BB167_99 Depth=2
	v_cmp_ne_u32_e32 vcc, s22, v21
                                        ; implicit-def: $sgpr16_sgpr17
	s_and_saveexec_b64 s[24:25], vcc
	s_xor_b64 s[24:25], exec, s[24:25]
; %bb.101:                              ;   in Loop: Header=BB167_99 Depth=2
	v_add_u32_e32 v19, 1, v19
	v_and_b32_e32 v19, 7, v19
	s_mov_b64 s[16:17], -1
                                        ; implicit-def: $vgpr20
; %bb.102:                              ;   in Loop: Header=BB167_99 Depth=2
	s_andn2_saveexec_b64 s[24:25], s[24:25]
	s_cbranch_execz .LBB167_106
; %bb.103:                              ;   in Loop: Header=BB167_99 Depth=2
	v_mov_b32_e32 v21, s22
	ds_cmpst_rtn_b32 v20, v20, v21, v11
	s_mov_b64 s[26:27], -1
	s_waitcnt lgkmcnt(0)
	v_cmp_eq_u32_e32 vcc, s22, v20
	s_and_saveexec_b64 s[28:29], vcc
	s_cbranch_execz .LBB167_105
; %bb.104:                              ;   in Loop: Header=BB167_99 Depth=2
	v_lshl_add_u32 v20, v19, 4, v7
	ds_add_f32 v20, v18
	s_xor_b64 s[26:27], exec, -1
.LBB167_105:                            ;   in Loop: Header=BB167_99 Depth=2
	s_or_b64 exec, exec, s[28:29]
	s_andn2_b64 s[16:17], s[16:17], exec
	s_and_b64 s[26:27], s[26:27], exec
	s_or_b64 s[16:17], s[16:17], s[26:27]
.LBB167_106:                            ;   in Loop: Header=BB167_99 Depth=2
	s_or_b64 exec, exec, s[24:25]
	s_and_b64 s[16:17], s[16:17], exec
.LBB167_107:                            ;   in Loop: Header=BB167_99 Depth=2
	s_andn2_saveexec_b64 s[14:15], s[14:15]
	s_cbranch_execz .LBB167_98
; %bb.108:                              ;   in Loop: Header=BB167_99 Depth=2
	v_lshl_add_u32 v20, v19, 4, v7
	ds_add_f32 v20, v18
	s_andn2_b64 s[16:17], s[16:17], exec
	s_branch .LBB167_98
.LBB167_109:                            ;   in Loop: Header=BB167_73 Depth=1
	s_or_b64 exec, exec, s[12:13]
	s_waitcnt vmcnt(0)
	v_mul_f32_e32 v17, v15, v17
	s_mov_b64 s[12:13], 0
	s_branch .LBB167_111
.LBB167_110:                            ;   in Loop: Header=BB167_111 Depth=2
	s_or_b64 exec, exec, s[14:15]
	s_xor_b64 s[14:15], s[16:17], -1
	s_and_b64 s[14:15], exec, s[14:15]
	s_or_b64 s[12:13], s[14:15], s[12:13]
	s_andn2_b64 exec, exec, s[12:13]
	s_cbranch_execz .LBB167_72
.LBB167_111:                            ;   Parent Loop BB167_73 Depth=1
                                        ; =>  This Inner Loop Header: Depth=2
	v_lshl_add_u32 v18, v16, 2, v14
	ds_read_b32 v19, v18
                                        ; implicit-def: $sgpr16_sgpr17
	s_waitcnt lgkmcnt(0)
	v_cmp_ne_u32_e32 vcc, v19, v11
	s_and_saveexec_b64 s[14:15], vcc
	s_xor_b64 s[14:15], exec, s[14:15]
	s_cbranch_execz .LBB167_119
; %bb.112:                              ;   in Loop: Header=BB167_111 Depth=2
	v_cmp_ne_u32_e32 vcc, s22, v19
                                        ; implicit-def: $sgpr16_sgpr17
	s_and_saveexec_b64 s[24:25], vcc
	s_xor_b64 s[24:25], exec, s[24:25]
; %bb.113:                              ;   in Loop: Header=BB167_111 Depth=2
	v_add_u32_e32 v16, 1, v16
	v_and_b32_e32 v16, 7, v16
	s_mov_b64 s[16:17], -1
                                        ; implicit-def: $vgpr18
; %bb.114:                              ;   in Loop: Header=BB167_111 Depth=2
	s_andn2_saveexec_b64 s[24:25], s[24:25]
	s_cbranch_execz .LBB167_118
; %bb.115:                              ;   in Loop: Header=BB167_111 Depth=2
	v_mov_b32_e32 v19, s22
	ds_cmpst_rtn_b32 v18, v18, v19, v11
	s_mov_b64 s[26:27], -1
	s_waitcnt lgkmcnt(0)
	v_cmp_eq_u32_e32 vcc, s22, v18
	s_and_saveexec_b64 s[28:29], vcc
	s_cbranch_execz .LBB167_117
; %bb.116:                              ;   in Loop: Header=BB167_111 Depth=2
	v_lshl_add_u32 v18, v16, 4, v8
	ds_add_f32 v18, v17
	s_xor_b64 s[26:27], exec, -1
.LBB167_117:                            ;   in Loop: Header=BB167_111 Depth=2
	s_or_b64 exec, exec, s[28:29]
	s_andn2_b64 s[16:17], s[16:17], exec
	s_and_b64 s[26:27], s[26:27], exec
	s_or_b64 s[16:17], s[16:17], s[26:27]
.LBB167_118:                            ;   in Loop: Header=BB167_111 Depth=2
	s_or_b64 exec, exec, s[24:25]
	s_and_b64 s[16:17], s[16:17], exec
.LBB167_119:                            ;   in Loop: Header=BB167_111 Depth=2
	s_andn2_saveexec_b64 s[14:15], s[14:15]
	s_cbranch_execz .LBB167_110
; %bb.120:                              ;   in Loop: Header=BB167_111 Depth=2
	v_lshl_add_u32 v18, v16, 4, v8
	ds_add_f32 v18, v17
	s_andn2_b64 s[16:17], s[16:17], exec
	s_branch .LBB167_110
.LBB167_121:
	s_or_b64 exec, exec, s[2:3]
	s_waitcnt lgkmcnt(0)
	s_and_b64 exec, exec, s[0:1]
	s_cbranch_execz .LBB167_14
.LBB167_122:
	v_lshl_add_u32 v0, v13, 2, v14
	ds_read_b32 v0, v0
	s_waitcnt lgkmcnt(0)
	v_cmp_gt_i32_e32 vcc, s22, v0
	s_and_b64 exec, exec, vcc
	s_cbranch_execz .LBB167_14
; %bb.123:
	s_load_dwordx4 s[0:3], s[4:5], 0x78
	v_lshlrev_b64 v[2:3], 3, v[4:5]
	s_cmp_eq_u32 s20, 0
	v_lshl_add_u32 v10, v13, 4, v12
	v_add_u32_e32 v18, s18, v0
	s_waitcnt lgkmcnt(0)
	v_mov_b32_e32 v1, s1
	v_add_co_u32_e32 v2, vcc, s0, v2
	v_addc_co_u32_e32 v3, vcc, v1, v3, vcc
	global_load_dwordx2 v[16:17], v[2:3], off
	ds_read_b128 v[2:5], v14
	ds_read_b128 v[6:9], v14 offset:16
	s_load_dwordx2 s[0:1], s[4:5], 0x88
	v_lshlrev_b32_e32 v1, 2, v13
	s_cselect_b32 s4, 1, 2
	s_cselect_b32 s5, 2, 1
	ds_read2_b32 v[14:15], v10 offset1:3
	v_or_b32_e32 v10, s4, v1
	v_or_b32_e32 v1, s5, v1
	v_lshl_add_u32 v10, v10, 2, v12
	v_lshl_add_u32 v1, v1, 2, v12
	s_waitcnt lgkmcnt(0)
	v_cmp_gt_i32_e32 vcc, v0, v2
	ds_read_b32 v11, v10
	ds_read_b32 v12, v1
	v_cndmask_b32_e64 v1, 0, 1, vcc
	v_cmp_gt_i32_e32 vcc, v0, v3
	v_cndmask_b32_e64 v2, 0, 1, vcc
	v_cmp_gt_i32_e32 vcc, v0, v4
	v_cndmask_b32_e64 v3, 0, 1, vcc
	v_cmp_gt_i32_e32 vcc, v0, v5
	v_cndmask_b32_e64 v4, 0, 1, vcc
	v_cmp_gt_i32_e32 vcc, v0, v6
	v_cndmask_b32_e64 v5, 0, 1, vcc
	v_cmp_gt_i32_e32 vcc, v0, v7
	v_cndmask_b32_e64 v6, 0, 1, vcc
	v_cmp_gt_i32_e32 vcc, v0, v8
	v_cndmask_b32_e64 v7, 0, 1, vcc
	v_cmp_gt_i32_e32 vcc, v0, v9
	v_cndmask_b32_e64 v0, 0, 1, vcc
	v_mov_b32_e32 v10, v14
	v_mov_b32_e32 v13, v15
	;; [unrolled: 1-line block ×4, first 2 shown]
	s_waitcnt vmcnt(0)
	v_subrev_co_u32_e32 v14, vcc, s18, v16
	v_subbrev_co_u32_e32 v15, vcc, 0, v17, vcc
	v_add_co_u32_e32 v1, vcc, v14, v1
	v_addc_co_u32_e32 v14, vcc, 0, v15, vcc
	v_add_co_u32_e32 v1, vcc, v1, v2
	v_addc_co_u32_e32 v2, vcc, 0, v14, vcc
	;; [unrolled: 2-line block ×8, first 2 shown]
	v_lshlrev_b64 v[2:3], 2, v[0:1]
	v_add_co_u32_e32 v2, vcc, s2, v2
	v_lshlrev_b64 v[0:1], 4, v[0:1]
	v_addc_co_u32_e32 v3, vcc, v8, v3, vcc
	v_add_co_u32_e32 v0, vcc, s0, v0
	v_addc_co_u32_e32 v1, vcc, v9, v1, vcc
	global_store_dword v[2:3], v18, off
	s_waitcnt lgkmcnt(0)
	global_store_dwordx4 v[0:1], v[10:13], off
	s_endpgm
	.section	.rodata,"a",@progbits
	.p2align	6, 0x0
	.amdhsa_kernel _ZN9rocsparseL27bsrgemm_fill_wf_per_row_2x2ILj256ELj16ELj8ELj137ElifEEv20rocsparse_direction_T4_S2_PKS2_S4_NS_24const_host_device_scalarIT5_EEPKT3_S4_PKS6_SA_S4_SC_S7_SA_S4_SC_SA_PS2_PS6_21rocsparse_index_base_SF_SF_SF_bbb
		.amdhsa_group_segment_fixed_size 2560
		.amdhsa_private_segment_fixed_size 0
		.amdhsa_kernarg_size 164
		.amdhsa_user_sgpr_count 6
		.amdhsa_user_sgpr_private_segment_buffer 1
		.amdhsa_user_sgpr_dispatch_ptr 0
		.amdhsa_user_sgpr_queue_ptr 0
		.amdhsa_user_sgpr_kernarg_segment_ptr 1
		.amdhsa_user_sgpr_dispatch_id 0
		.amdhsa_user_sgpr_flat_scratch_init 0
		.amdhsa_user_sgpr_kernarg_preload_length 0
		.amdhsa_user_sgpr_kernarg_preload_offset 0
		.amdhsa_user_sgpr_private_segment_size 0
		.amdhsa_uses_dynamic_stack 0
		.amdhsa_system_sgpr_private_segment_wavefront_offset 0
		.amdhsa_system_sgpr_workgroup_id_x 1
		.amdhsa_system_sgpr_workgroup_id_y 0
		.amdhsa_system_sgpr_workgroup_id_z 0
		.amdhsa_system_sgpr_workgroup_info 0
		.amdhsa_system_vgpr_workitem_id 0
		.amdhsa_next_free_vgpr 34
		.amdhsa_next_free_sgpr 47
		.amdhsa_accum_offset 36
		.amdhsa_reserve_vcc 1
		.amdhsa_reserve_flat_scratch 0
		.amdhsa_float_round_mode_32 0
		.amdhsa_float_round_mode_16_64 0
		.amdhsa_float_denorm_mode_32 3
		.amdhsa_float_denorm_mode_16_64 3
		.amdhsa_dx10_clamp 1
		.amdhsa_ieee_mode 1
		.amdhsa_fp16_overflow 0
		.amdhsa_tg_split 0
		.amdhsa_exception_fp_ieee_invalid_op 0
		.amdhsa_exception_fp_denorm_src 0
		.amdhsa_exception_fp_ieee_div_zero 0
		.amdhsa_exception_fp_ieee_overflow 0
		.amdhsa_exception_fp_ieee_underflow 0
		.amdhsa_exception_fp_ieee_inexact 0
		.amdhsa_exception_int_div_zero 0
	.end_amdhsa_kernel
	.section	.text._ZN9rocsparseL27bsrgemm_fill_wf_per_row_2x2ILj256ELj16ELj8ELj137ElifEEv20rocsparse_direction_T4_S2_PKS2_S4_NS_24const_host_device_scalarIT5_EEPKT3_S4_PKS6_SA_S4_SC_S7_SA_S4_SC_SA_PS2_PS6_21rocsparse_index_base_SF_SF_SF_bbb,"axG",@progbits,_ZN9rocsparseL27bsrgemm_fill_wf_per_row_2x2ILj256ELj16ELj8ELj137ElifEEv20rocsparse_direction_T4_S2_PKS2_S4_NS_24const_host_device_scalarIT5_EEPKT3_S4_PKS6_SA_S4_SC_S7_SA_S4_SC_SA_PS2_PS6_21rocsparse_index_base_SF_SF_SF_bbb,comdat
.Lfunc_end167:
	.size	_ZN9rocsparseL27bsrgemm_fill_wf_per_row_2x2ILj256ELj16ELj8ELj137ElifEEv20rocsparse_direction_T4_S2_PKS2_S4_NS_24const_host_device_scalarIT5_EEPKT3_S4_PKS6_SA_S4_SC_S7_SA_S4_SC_SA_PS2_PS6_21rocsparse_index_base_SF_SF_SF_bbb, .Lfunc_end167-_ZN9rocsparseL27bsrgemm_fill_wf_per_row_2x2ILj256ELj16ELj8ELj137ElifEEv20rocsparse_direction_T4_S2_PKS2_S4_NS_24const_host_device_scalarIT5_EEPKT3_S4_PKS6_SA_S4_SC_S7_SA_S4_SC_SA_PS2_PS6_21rocsparse_index_base_SF_SF_SF_bbb
                                        ; -- End function
	.section	.AMDGPU.csdata,"",@progbits
; Kernel info:
; codeLenInByte = 3516
; NumSgprs: 51
; NumVgprs: 34
; NumAgprs: 0
; TotalNumVgprs: 34
; ScratchSize: 0
; MemoryBound: 0
; FloatMode: 240
; IeeeMode: 1
; LDSByteSize: 2560 bytes/workgroup (compile time only)
; SGPRBlocks: 6
; VGPRBlocks: 4
; NumSGPRsForWavesPerEU: 51
; NumVGPRsForWavesPerEU: 34
; AccumOffset: 36
; Occupancy: 8
; WaveLimiterHint : 1
; COMPUTE_PGM_RSRC2:SCRATCH_EN: 0
; COMPUTE_PGM_RSRC2:USER_SGPR: 6
; COMPUTE_PGM_RSRC2:TRAP_HANDLER: 0
; COMPUTE_PGM_RSRC2:TGID_X_EN: 1
; COMPUTE_PGM_RSRC2:TGID_Y_EN: 0
; COMPUTE_PGM_RSRC2:TGID_Z_EN: 0
; COMPUTE_PGM_RSRC2:TIDIG_COMP_CNT: 0
; COMPUTE_PGM_RSRC3_GFX90A:ACCUM_OFFSET: 8
; COMPUTE_PGM_RSRC3_GFX90A:TG_SPLIT: 0
	.section	.text._ZN9rocsparseL27bsrgemm_fill_wf_per_row_2x2ILj256ELj16ELj16ELj137ElifEEv20rocsparse_direction_T4_S2_PKS2_S4_NS_24const_host_device_scalarIT5_EEPKT3_S4_PKS6_SA_S4_SC_S7_SA_S4_SC_SA_PS2_PS6_21rocsparse_index_base_SF_SF_SF_bbb,"axG",@progbits,_ZN9rocsparseL27bsrgemm_fill_wf_per_row_2x2ILj256ELj16ELj16ELj137ElifEEv20rocsparse_direction_T4_S2_PKS2_S4_NS_24const_host_device_scalarIT5_EEPKT3_S4_PKS6_SA_S4_SC_S7_SA_S4_SC_SA_PS2_PS6_21rocsparse_index_base_SF_SF_SF_bbb,comdat
	.globl	_ZN9rocsparseL27bsrgemm_fill_wf_per_row_2x2ILj256ELj16ELj16ELj137ElifEEv20rocsparse_direction_T4_S2_PKS2_S4_NS_24const_host_device_scalarIT5_EEPKT3_S4_PKS6_SA_S4_SC_S7_SA_S4_SC_SA_PS2_PS6_21rocsparse_index_base_SF_SF_SF_bbb ; -- Begin function _ZN9rocsparseL27bsrgemm_fill_wf_per_row_2x2ILj256ELj16ELj16ELj137ElifEEv20rocsparse_direction_T4_S2_PKS2_S4_NS_24const_host_device_scalarIT5_EEPKT3_S4_PKS6_SA_S4_SC_S7_SA_S4_SC_SA_PS2_PS6_21rocsparse_index_base_SF_SF_SF_bbb
	.p2align	8
	.type	_ZN9rocsparseL27bsrgemm_fill_wf_per_row_2x2ILj256ELj16ELj16ELj137ElifEEv20rocsparse_direction_T4_S2_PKS2_S4_NS_24const_host_device_scalarIT5_EEPKT3_S4_PKS6_SA_S4_SC_S7_SA_S4_SC_SA_PS2_PS6_21rocsparse_index_base_SF_SF_SF_bbb,@function
_ZN9rocsparseL27bsrgemm_fill_wf_per_row_2x2ILj256ELj16ELj16ELj137ElifEEv20rocsparse_direction_T4_S2_PKS2_S4_NS_24const_host_device_scalarIT5_EEPKT3_S4_PKS6_SA_S4_SC_S7_SA_S4_SC_SA_PS2_PS6_21rocsparse_index_base_SF_SF_SF_bbb: ; @_ZN9rocsparseL27bsrgemm_fill_wf_per_row_2x2ILj256ELj16ELj16ELj137ElifEEv20rocsparse_direction_T4_S2_PKS2_S4_NS_24const_host_device_scalarIT5_EEPKT3_S4_PKS6_SA_S4_SC_S7_SA_S4_SC_SA_PS2_PS6_21rocsparse_index_base_SF_SF_SF_bbb
; %bb.0:
	s_load_dword s7, s[4:5], 0xa0
	s_load_dwordx2 s[0:1], s[4:5], 0x20
	s_load_dwordx2 s[8:9], s[4:5], 0x58
	s_waitcnt lgkmcnt(0)
	s_bitcmp1_b32 s7, 0
	s_cselect_b64 s[2:3], -1, 0
	s_bitcmp1_b32 s7, 16
	s_cselect_b64 s[10:11], -1, 0
	s_xor_b64 s[12:13], s[2:3], -1
	s_or_b64 s[12:13], s[12:13], s[10:11]
	s_and_b64 vcc, exec, s[12:13]
	s_cbranch_vccnz .LBB168_2
; %bb.1:
	s_load_dword s0, s[0:1], 0x0
	s_waitcnt lgkmcnt(0)
	v_mov_b32_e32 v18, s0
	s_branch .LBB168_3
.LBB168_2:
	v_mov_b32_e32 v1, s0
	v_cndmask_b32_e64 v18, 0, v1, s[2:3]
.LBB168_3:
	s_bitcmp1_b32 s7, 8
	s_cselect_b64 s[0:1], -1, 0
	s_xor_b64 s[12:13], s[0:1], -1
	s_or_b64 s[10:11], s[12:13], s[10:11]
	s_and_b64 vcc, exec, s[10:11]
	s_cbranch_vccnz .LBB168_5
; %bb.4:
	s_load_dword s7, s[8:9], 0x0
	s_waitcnt lgkmcnt(0)
	v_mov_b32_e32 v16, s7
	s_branch .LBB168_6
.LBB168_5:
	v_mov_b32_e32 v1, s8
	v_cndmask_b32_e64 v16, 0, v1, s[0:1]
.LBB168_6:
	s_load_dwordx4 s[20:23], s[4:5], 0x0
	v_and_b32_e32 v14, 15, v0
	v_lshrrev_b32_e32 v1, 4, v0
	v_and_b32_e32 v0, 0xf0, v0
	v_mov_b32_e32 v2, 0x1000
	v_lshl_or_b32 v15, v0, 2, v2
	v_lshlrev_b32_e32 v12, 2, v14
	v_or_b32_e32 v17, v15, v12
	s_waitcnt lgkmcnt(0)
	v_mov_b32_e32 v0, s22
	v_lshlrev_b32_e32 v13, 8, v1
	ds_write_b32 v17, v0
	v_or_b32_e32 v0, v13, v12
	v_mov_b32_e32 v2, 0
	ds_write2_b32 v0, v2, v2 offset1:16
	ds_write2_b32 v0, v2, v2 offset0:32 offset1:48
	v_lshl_or_b32 v0, s6, 4, v1
	v_cmp_gt_i32_e32 vcc, s21, v0
	s_waitcnt lgkmcnt(0)
	s_barrier
	s_and_saveexec_b64 s[6:7], vcc
	s_cbranch_execz .LBB168_120
; %bb.7:
	s_load_dwordx2 s[6:7], s[4:5], 0x18
	s_load_dwordx4 s[16:19], s[4:5], 0x90
	s_waitcnt lgkmcnt(0)
	s_cmp_eq_u64 s[6:7], 0
	s_cbranch_scc1 .LBB168_9
; %bb.8:
	s_load_dwordx2 s[8:9], s[4:5], 0x10
	v_mov_b32_e32 v2, s7
	s_waitcnt lgkmcnt(0)
	s_load_dword s8, s[8:9], 0x0
	s_waitcnt lgkmcnt(0)
	v_add_u32_e32 v0, s8, v0
	v_ashrrev_i32_e32 v1, 31, v0
	v_lshlrev_b64 v[0:1], 2, v[0:1]
	v_add_co_u32_e32 v0, vcc, s6, v0
	v_addc_co_u32_e32 v1, vcc, v2, v1, vcc
	global_load_dword v0, v[0:1], off
.LBB168_9:
	s_waitcnt vmcnt(0)
	v_ashrrev_i32_e32 v1, 31, v0
	s_andn2_b64 vcc, exec, s[2:3]
	v_lshlrev_b64 v[4:5], 3, v[0:1]
	s_cbranch_vccnz .LBB168_65
; %bb.10:
	s_load_dwordx2 s[2:3], s[4:5], 0x28
	s_mov_b32 s21, 0
	s_waitcnt lgkmcnt(0)
	v_mov_b32_e32 v1, s3
	v_add_co_u32_e32 v0, vcc, s2, v4
	v_addc_co_u32_e32 v1, vcc, v1, v5, vcc
	global_load_dwordx4 v[0:3], v[0:1], off
	v_subrev_co_u32_e32 v8, vcc, s16, v14
	v_subb_co_u32_e64 v9, s[2:3], 0, 0, vcc
	s_waitcnt vmcnt(0)
	v_subrev_co_u32_e32 v6, vcc, s16, v2
	v_subbrev_co_u32_e32 v7, vcc, 0, v3, vcc
	v_add_co_u32_e32 v8, vcc, v0, v8
	v_addc_co_u32_e32 v9, vcc, v1, v9, vcc
	v_cmp_lt_i64_e32 vcc, v[8:9], v[6:7]
	s_and_saveexec_b64 s[2:3], vcc
	s_cbranch_execz .LBB168_64
; %bb.11:
	s_load_dwordx2 s[6:7], s[4:5], 0x50
	s_load_dwordx8 s[8:15], s[4:5], 0x30
	s_cmp_eq_u32 s20, 0
	s_mov_b32 s23, s17
	s_cselect_b32 s33, 1, 2
	s_cselect_b32 s44, 2, 1
	v_add_u32_e32 v19, 4, v13
	v_add_u32_e32 v20, 8, v13
	;; [unrolled: 1-line block ×3, first 2 shown]
	s_mov_b64 s[24:25], 0
	s_waitcnt lgkmcnt(0)
	v_mov_b32_e32 v22, s9
	v_mov_b32_e32 v23, s13
	s_branch .LBB168_13
.LBB168_12:                             ;   in Loop: Header=BB168_13 Depth=1
	s_or_b64 exec, exec, s[26:27]
	v_add_co_u32_e32 v8, vcc, 16, v8
	v_addc_co_u32_e32 v9, vcc, 0, v9, vcc
	v_cmp_ge_i64_e32 vcc, v[8:9], v[6:7]
	s_or_b64 s[24:25], vcc, s[24:25]
	s_andn2_b64 exec, exec, s[24:25]
	s_cbranch_execz .LBB168_64
.LBB168_13:                             ; =>This Loop Header: Depth=1
                                        ;     Child Loop BB168_16 Depth 2
                                        ;       Child Loop BB168_18 Depth 3
                                        ;       Child Loop BB168_30 Depth 3
	;; [unrolled: 1-line block ×4, first 2 shown]
	v_lshlrev_b64 v[10:11], 2, v[8:9]
	v_add_co_u32_e32 v0, vcc, s8, v10
	v_addc_co_u32_e32 v1, vcc, v22, v11, vcc
	global_load_dword v0, v[0:1], off
	s_waitcnt vmcnt(0)
	v_subrev_u32_e32 v0, s16, v0
	v_ashrrev_i32_e32 v1, 31, v0
	v_lshlrev_b64 v[0:1], 3, v[0:1]
	v_add_co_u32_e32 v0, vcc, s12, v0
	v_addc_co_u32_e32 v1, vcc, v23, v1, vcc
	global_load_dwordx4 v[0:3], v[0:1], off
	s_waitcnt vmcnt(0)
	v_cmp_lt_i64_e32 vcc, v[0:1], v[2:3]
	s_and_saveexec_b64 s[26:27], vcc
	s_cbranch_execz .LBB168_12
; %bb.14:                               ;   in Loop: Header=BB168_13 Depth=1
	v_lshlrev_b64 v[26:27], 4, v[8:9]
	v_or_b32_e32 v25, 0, v11
	v_or_b32_e32 v24, s33, v10
	;; [unrolled: 1-line block ×4, first 2 shown]
	v_mov_b32_e32 v28, s11
	v_add_co_u32_e32 v26, vcc, s10, v26
	v_addc_co_u32_e32 v27, vcc, v28, v27, vcc
	v_lshlrev_b64 v[10:11], 2, v[10:11]
	v_add_co_u32_e32 v10, vcc, s10, v10
	v_addc_co_u32_e32 v11, vcc, v28, v11, vcc
	v_lshlrev_b64 v[24:25], 2, v[24:25]
	v_add_co_u32_e32 v24, vcc, s10, v24
	v_addc_co_u32_e32 v25, vcc, v28, v25, vcc
	global_load_dword v28, v[26:27], off offset:12
	global_load_dword v29, v[10:11], off
	global_load_dword v30, v[24:25], off
	;; [unrolled: 1-line block ×3, first 2 shown]
	v_mov_b32_e32 v10, s21
	v_subrev_co_u32_e32 v2, vcc, s23, v2
	v_subb_co_u32_e32 v3, vcc, v3, v10, vcc
	v_subrev_co_u32_e32 v0, vcc, s23, v0
	v_subb_co_u32_e32 v1, vcc, v1, v10, vcc
	s_mov_b64 s[28:29], 0
	s_waitcnt vmcnt(3)
	v_mul_f32_e32 v10, v18, v28
	s_waitcnt vmcnt(2)
	v_mul_f32_e32 v11, v18, v29
	;; [unrolled: 2-line block ×4, first 2 shown]
	s_branch .LBB168_16
.LBB168_15:                             ;   in Loop: Header=BB168_16 Depth=2
	s_or_b64 exec, exec, s[30:31]
	v_add_co_u32_e32 v0, vcc, 1, v0
	v_addc_co_u32_e32 v1, vcc, 0, v1, vcc
	v_cmp_ge_i64_e32 vcc, v[0:1], v[2:3]
	s_or_b64 s[28:29], vcc, s[28:29]
	s_andn2_b64 exec, exec, s[28:29]
	s_cbranch_execz .LBB168_12
.LBB168_16:                             ;   Parent Loop BB168_13 Depth=1
                                        ; =>  This Loop Header: Depth=2
                                        ;       Child Loop BB168_18 Depth 3
                                        ;       Child Loop BB168_30 Depth 3
	;; [unrolled: 1-line block ×4, first 2 shown]
	v_lshlrev_b64 v[26:27], 2, v[0:1]
	v_mov_b32_e32 v29, s15
	v_add_co_u32_e32 v28, vcc, s14, v26
	v_addc_co_u32_e32 v29, vcc, v29, v27, vcc
	v_lshlrev_b64 v[30:31], 4, v[0:1]
	global_load_dword v34, v[28:29], off
	v_or_b32_e32 v29, 0, v27
	v_or_b32_e32 v28, s33, v26
	;; [unrolled: 1-line block ×4, first 2 shown]
	v_mov_b32_e32 v35, s7
	v_add_co_u32_e32 v32, vcc, s6, v30
	v_addc_co_u32_e32 v33, vcc, v35, v31, vcc
	v_lshlrev_b64 v[26:27], 2, v[26:27]
	v_add_co_u32_e32 v26, vcc, s6, v26
	v_lshlrev_b64 v[28:29], 2, v[28:29]
	v_addc_co_u32_e32 v27, vcc, v35, v27, vcc
	global_load_dword v30, v[32:33], off
	global_load_dword v31, v[26:27], off
	v_add_co_u32_e32 v26, vcc, s6, v28
	v_addc_co_u32_e32 v27, vcc, v35, v29, vcc
	global_load_dword v28, v[26:27], off
	global_load_dword v29, v[32:33], off offset:12
	s_mov_b64 s[30:31], 0
	s_waitcnt vmcnt(4)
	v_subrev_u32_e32 v26, s17, v34
	v_lshl_add_u32 v27, v26, 3, v26
	v_and_b32_e32 v27, 15, v27
	v_mov_b32_e32 v33, v27
	s_waitcnt vmcnt(2)
	v_mul_f32_e32 v32, v25, v31
	v_fmac_f32_e32 v32, v24, v30
	s_branch .LBB168_18
.LBB168_17:                             ;   in Loop: Header=BB168_18 Depth=3
	s_or_b64 exec, exec, s[34:35]
	s_xor_b64 s[34:35], s[36:37], -1
	s_and_b64 s[34:35], exec, s[34:35]
	s_or_b64 s[30:31], s[34:35], s[30:31]
	s_andn2_b64 exec, exec, s[30:31]
	s_cbranch_execz .LBB168_28
.LBB168_18:                             ;   Parent Loop BB168_13 Depth=1
                                        ;     Parent Loop BB168_16 Depth=2
                                        ; =>    This Inner Loop Header: Depth=3
	v_lshl_add_u32 v34, v33, 2, v15
	ds_read_b32 v35, v34
                                        ; implicit-def: $sgpr36_sgpr37
	s_waitcnt lgkmcnt(0)
	v_cmp_ne_u32_e32 vcc, v35, v26
	s_and_saveexec_b64 s[34:35], vcc
	s_xor_b64 s[34:35], exec, s[34:35]
	s_cbranch_execz .LBB168_26
; %bb.19:                               ;   in Loop: Header=BB168_18 Depth=3
	v_cmp_ne_u32_e32 vcc, s22, v35
                                        ; implicit-def: $sgpr36_sgpr37
	s_and_saveexec_b64 s[38:39], vcc
	s_xor_b64 s[38:39], exec, s[38:39]
; %bb.20:                               ;   in Loop: Header=BB168_18 Depth=3
	v_add_u32_e32 v33, 1, v33
	v_and_b32_e32 v33, 15, v33
	s_mov_b64 s[36:37], -1
                                        ; implicit-def: $vgpr34
; %bb.21:                               ;   in Loop: Header=BB168_18 Depth=3
	s_andn2_saveexec_b64 s[38:39], s[38:39]
	s_cbranch_execz .LBB168_25
; %bb.22:                               ;   in Loop: Header=BB168_18 Depth=3
	v_mov_b32_e32 v35, s22
	ds_cmpst_rtn_b32 v34, v34, v35, v26
	s_mov_b64 s[40:41], -1
	s_waitcnt lgkmcnt(0)
	v_cmp_eq_u32_e32 vcc, s22, v34
	s_and_saveexec_b64 s[42:43], vcc
	s_cbranch_execz .LBB168_24
; %bb.23:                               ;   in Loop: Header=BB168_18 Depth=3
	v_lshl_add_u32 v34, v33, 4, v13
	ds_add_f32 v34, v32
	s_xor_b64 s[40:41], exec, -1
.LBB168_24:                             ;   in Loop: Header=BB168_18 Depth=3
	s_or_b64 exec, exec, s[42:43]
	s_andn2_b64 s[36:37], s[36:37], exec
	s_and_b64 s[40:41], s[40:41], exec
	s_or_b64 s[36:37], s[36:37], s[40:41]
.LBB168_25:                             ;   in Loop: Header=BB168_18 Depth=3
	s_or_b64 exec, exec, s[38:39]
	s_and_b64 s[36:37], s[36:37], exec
.LBB168_26:                             ;   in Loop: Header=BB168_18 Depth=3
	s_andn2_saveexec_b64 s[34:35], s[34:35]
	s_cbranch_execz .LBB168_17
; %bb.27:                               ;   in Loop: Header=BB168_18 Depth=3
	v_lshl_add_u32 v34, v33, 4, v13
	ds_add_f32 v34, v32
	s_andn2_b64 s[36:37], s[36:37], exec
	s_branch .LBB168_17
.LBB168_28:                             ;   in Loop: Header=BB168_16 Depth=2
	s_or_b64 exec, exec, s[30:31]
	s_waitcnt vmcnt(0)
	v_mul_f32_e32 v32, v25, v29
	v_fmac_f32_e32 v32, v24, v28
	s_mov_b64 s[30:31], 0
	v_mov_b32_e32 v33, v27
	s_branch .LBB168_30
.LBB168_29:                             ;   in Loop: Header=BB168_30 Depth=3
	s_or_b64 exec, exec, s[34:35]
	s_xor_b64 s[34:35], s[36:37], -1
	s_and_b64 s[34:35], exec, s[34:35]
	s_or_b64 s[30:31], s[34:35], s[30:31]
	s_andn2_b64 exec, exec, s[30:31]
	s_cbranch_execz .LBB168_40
.LBB168_30:                             ;   Parent Loop BB168_13 Depth=1
                                        ;     Parent Loop BB168_16 Depth=2
                                        ; =>    This Inner Loop Header: Depth=3
	v_lshl_add_u32 v34, v33, 2, v15
	ds_read_b32 v35, v34
                                        ; implicit-def: $sgpr36_sgpr37
	s_waitcnt lgkmcnt(0)
	v_cmp_ne_u32_e32 vcc, v35, v26
	s_and_saveexec_b64 s[34:35], vcc
	s_xor_b64 s[34:35], exec, s[34:35]
	s_cbranch_execz .LBB168_38
; %bb.31:                               ;   in Loop: Header=BB168_30 Depth=3
	v_cmp_ne_u32_e32 vcc, s22, v35
                                        ; implicit-def: $sgpr36_sgpr37
	s_and_saveexec_b64 s[38:39], vcc
	s_xor_b64 s[38:39], exec, s[38:39]
; %bb.32:                               ;   in Loop: Header=BB168_30 Depth=3
	v_add_u32_e32 v33, 1, v33
	v_and_b32_e32 v33, 15, v33
	s_mov_b64 s[36:37], -1
                                        ; implicit-def: $vgpr34
; %bb.33:                               ;   in Loop: Header=BB168_30 Depth=3
	s_andn2_saveexec_b64 s[38:39], s[38:39]
	s_cbranch_execz .LBB168_37
; %bb.34:                               ;   in Loop: Header=BB168_30 Depth=3
	v_mov_b32_e32 v35, s22
	ds_cmpst_rtn_b32 v34, v34, v35, v26
	s_mov_b64 s[40:41], -1
	s_waitcnt lgkmcnt(0)
	v_cmp_eq_u32_e32 vcc, s22, v34
	s_and_saveexec_b64 s[42:43], vcc
	s_cbranch_execz .LBB168_36
; %bb.35:                               ;   in Loop: Header=BB168_30 Depth=3
	v_lshl_add_u32 v34, v33, 4, v19
	ds_add_f32 v34, v32
	s_xor_b64 s[40:41], exec, -1
.LBB168_36:                             ;   in Loop: Header=BB168_30 Depth=3
	s_or_b64 exec, exec, s[42:43]
	s_andn2_b64 s[36:37], s[36:37], exec
	s_and_b64 s[40:41], s[40:41], exec
	s_or_b64 s[36:37], s[36:37], s[40:41]
.LBB168_37:                             ;   in Loop: Header=BB168_30 Depth=3
	s_or_b64 exec, exec, s[38:39]
	s_and_b64 s[36:37], s[36:37], exec
.LBB168_38:                             ;   in Loop: Header=BB168_30 Depth=3
	s_andn2_saveexec_b64 s[34:35], s[34:35]
	s_cbranch_execz .LBB168_29
; %bb.39:                               ;   in Loop: Header=BB168_30 Depth=3
	v_lshl_add_u32 v34, v33, 4, v19
	ds_add_f32 v34, v32
	s_andn2_b64 s[36:37], s[36:37], exec
	s_branch .LBB168_29
.LBB168_40:                             ;   in Loop: Header=BB168_16 Depth=2
	s_or_b64 exec, exec, s[30:31]
	v_mul_f32_e32 v31, v10, v31
	v_fmac_f32_e32 v31, v11, v30
	s_mov_b64 s[30:31], 0
	v_mov_b32_e32 v30, v27
	s_branch .LBB168_42
.LBB168_41:                             ;   in Loop: Header=BB168_42 Depth=3
	s_or_b64 exec, exec, s[34:35]
	s_xor_b64 s[34:35], s[36:37], -1
	s_and_b64 s[34:35], exec, s[34:35]
	s_or_b64 s[30:31], s[34:35], s[30:31]
	s_andn2_b64 exec, exec, s[30:31]
	s_cbranch_execz .LBB168_52
.LBB168_42:                             ;   Parent Loop BB168_13 Depth=1
                                        ;     Parent Loop BB168_16 Depth=2
                                        ; =>    This Inner Loop Header: Depth=3
	v_lshl_add_u32 v32, v30, 2, v15
	ds_read_b32 v33, v32
                                        ; implicit-def: $sgpr36_sgpr37
	s_waitcnt lgkmcnt(0)
	v_cmp_ne_u32_e32 vcc, v33, v26
	s_and_saveexec_b64 s[34:35], vcc
	s_xor_b64 s[34:35], exec, s[34:35]
	s_cbranch_execz .LBB168_50
; %bb.43:                               ;   in Loop: Header=BB168_42 Depth=3
	v_cmp_ne_u32_e32 vcc, s22, v33
                                        ; implicit-def: $sgpr36_sgpr37
	s_and_saveexec_b64 s[38:39], vcc
	s_xor_b64 s[38:39], exec, s[38:39]
; %bb.44:                               ;   in Loop: Header=BB168_42 Depth=3
	v_add_u32_e32 v30, 1, v30
	v_and_b32_e32 v30, 15, v30
	s_mov_b64 s[36:37], -1
                                        ; implicit-def: $vgpr32
; %bb.45:                               ;   in Loop: Header=BB168_42 Depth=3
	s_andn2_saveexec_b64 s[38:39], s[38:39]
	s_cbranch_execz .LBB168_49
; %bb.46:                               ;   in Loop: Header=BB168_42 Depth=3
	v_mov_b32_e32 v33, s22
	ds_cmpst_rtn_b32 v32, v32, v33, v26
	s_mov_b64 s[40:41], -1
	s_waitcnt lgkmcnt(0)
	v_cmp_eq_u32_e32 vcc, s22, v32
	s_and_saveexec_b64 s[42:43], vcc
	s_cbranch_execz .LBB168_48
; %bb.47:                               ;   in Loop: Header=BB168_42 Depth=3
	v_lshl_add_u32 v32, v30, 4, v20
	ds_add_f32 v32, v31
	s_xor_b64 s[40:41], exec, -1
.LBB168_48:                             ;   in Loop: Header=BB168_42 Depth=3
	s_or_b64 exec, exec, s[42:43]
	s_andn2_b64 s[36:37], s[36:37], exec
	s_and_b64 s[40:41], s[40:41], exec
	s_or_b64 s[36:37], s[36:37], s[40:41]
.LBB168_49:                             ;   in Loop: Header=BB168_42 Depth=3
	s_or_b64 exec, exec, s[38:39]
	s_and_b64 s[36:37], s[36:37], exec
.LBB168_50:                             ;   in Loop: Header=BB168_42 Depth=3
	s_andn2_saveexec_b64 s[34:35], s[34:35]
	s_cbranch_execz .LBB168_41
; %bb.51:                               ;   in Loop: Header=BB168_42 Depth=3
	v_lshl_add_u32 v32, v30, 4, v20
	ds_add_f32 v32, v31
	s_andn2_b64 s[36:37], s[36:37], exec
	s_branch .LBB168_41
.LBB168_52:                             ;   in Loop: Header=BB168_16 Depth=2
	s_or_b64 exec, exec, s[30:31]
	v_mul_f32_e32 v29, v10, v29
	v_fmac_f32_e32 v29, v11, v28
	s_mov_b64 s[30:31], 0
	s_branch .LBB168_54
.LBB168_53:                             ;   in Loop: Header=BB168_54 Depth=3
	s_or_b64 exec, exec, s[34:35]
	s_xor_b64 s[34:35], s[36:37], -1
	s_and_b64 s[34:35], exec, s[34:35]
	s_or_b64 s[30:31], s[34:35], s[30:31]
	s_andn2_b64 exec, exec, s[30:31]
	s_cbranch_execz .LBB168_15
.LBB168_54:                             ;   Parent Loop BB168_13 Depth=1
                                        ;     Parent Loop BB168_16 Depth=2
                                        ; =>    This Inner Loop Header: Depth=3
	v_lshl_add_u32 v28, v27, 2, v15
	ds_read_b32 v30, v28
                                        ; implicit-def: $sgpr36_sgpr37
	s_waitcnt lgkmcnt(0)
	v_cmp_ne_u32_e32 vcc, v30, v26
	s_and_saveexec_b64 s[34:35], vcc
	s_xor_b64 s[34:35], exec, s[34:35]
	s_cbranch_execz .LBB168_62
; %bb.55:                               ;   in Loop: Header=BB168_54 Depth=3
	v_cmp_ne_u32_e32 vcc, s22, v30
                                        ; implicit-def: $sgpr36_sgpr37
	s_and_saveexec_b64 s[38:39], vcc
	s_xor_b64 s[38:39], exec, s[38:39]
; %bb.56:                               ;   in Loop: Header=BB168_54 Depth=3
	v_add_u32_e32 v27, 1, v27
	v_and_b32_e32 v27, 15, v27
	s_mov_b64 s[36:37], -1
                                        ; implicit-def: $vgpr28
; %bb.57:                               ;   in Loop: Header=BB168_54 Depth=3
	s_andn2_saveexec_b64 s[38:39], s[38:39]
	s_cbranch_execz .LBB168_61
; %bb.58:                               ;   in Loop: Header=BB168_54 Depth=3
	v_mov_b32_e32 v30, s22
	ds_cmpst_rtn_b32 v28, v28, v30, v26
	s_mov_b64 s[40:41], -1
	s_waitcnt lgkmcnt(0)
	v_cmp_eq_u32_e32 vcc, s22, v28
	s_and_saveexec_b64 s[42:43], vcc
	s_cbranch_execz .LBB168_60
; %bb.59:                               ;   in Loop: Header=BB168_54 Depth=3
	v_lshl_add_u32 v28, v27, 4, v21
	ds_add_f32 v28, v29
	s_xor_b64 s[40:41], exec, -1
.LBB168_60:                             ;   in Loop: Header=BB168_54 Depth=3
	s_or_b64 exec, exec, s[42:43]
	s_andn2_b64 s[36:37], s[36:37], exec
	s_and_b64 s[40:41], s[40:41], exec
	s_or_b64 s[36:37], s[36:37], s[40:41]
.LBB168_61:                             ;   in Loop: Header=BB168_54 Depth=3
	s_or_b64 exec, exec, s[38:39]
	s_and_b64 s[36:37], s[36:37], exec
.LBB168_62:                             ;   in Loop: Header=BB168_54 Depth=3
	s_andn2_saveexec_b64 s[34:35], s[34:35]
	s_cbranch_execz .LBB168_53
; %bb.63:                               ;   in Loop: Header=BB168_54 Depth=3
	v_lshl_add_u32 v28, v27, 4, v21
	ds_add_f32 v28, v29
	s_andn2_b64 s[36:37], s[36:37], exec
	s_branch .LBB168_53
.LBB168_64:
	s_or_b64 exec, exec, s[2:3]
.LBB168_65:
	s_andn2_b64 vcc, exec, s[0:1]
	s_waitcnt lgkmcnt(0)
	s_cbranch_vccnz .LBB168_118
; %bb.66:
	s_load_dwordx2 s[0:1], s[4:5], 0x60
	s_waitcnt lgkmcnt(0)
	v_mov_b32_e32 v1, s1
	v_add_co_u32_e32 v0, vcc, s0, v4
	v_addc_co_u32_e32 v1, vcc, v1, v5, vcc
	global_load_dwordx4 v[6:9], v[0:1], off
	v_subrev_co_u32_e32 v2, vcc, s19, v14
	v_subb_co_u32_e64 v3, s[0:1], 0, 0, vcc
	s_waitcnt vmcnt(0)
	v_subrev_co_u32_e32 v0, vcc, s19, v8
	v_subbrev_co_u32_e32 v1, vcc, 0, v9, vcc
	v_add_co_u32_e32 v2, vcc, v6, v2
	v_addc_co_u32_e32 v3, vcc, v7, v3, vcc
	v_cmp_lt_i64_e32 vcc, v[2:3], v[0:1]
	s_and_saveexec_b64 s[6:7], vcc
	s_cbranch_execz .LBB168_117
; %bb.67:
	s_load_dwordx4 s[0:3], s[4:5], 0x68
	s_cmp_eq_u32 s20, 0
	s_cselect_b32 s21, 1, 2
	s_cselect_b32 s23, 2, 1
	v_add_u32_e32 v6, 4, v13
	v_add_u32_e32 v7, 8, v13
	;; [unrolled: 1-line block ×3, first 2 shown]
	s_mov_b64 s[8:9], 0
	s_waitcnt lgkmcnt(0)
	v_mov_b32_e32 v9, s3
	v_mov_b32_e32 v10, s1
	s_branch .LBB168_69
.LBB168_68:                             ;   in Loop: Header=BB168_69 Depth=1
	s_or_b64 exec, exec, s[10:11]
	v_add_co_u32_e32 v2, vcc, 16, v2
	v_addc_co_u32_e32 v3, vcc, 0, v3, vcc
	v_cmp_ge_i64_e32 vcc, v[2:3], v[0:1]
	s_or_b64 s[8:9], vcc, s[8:9]
	s_andn2_b64 exec, exec, s[8:9]
	s_cbranch_execz .LBB168_117
.LBB168_69:                             ; =>This Loop Header: Depth=1
                                        ;     Child Loop BB168_71 Depth 2
                                        ;     Child Loop BB168_83 Depth 2
	;; [unrolled: 1-line block ×4, first 2 shown]
	v_lshlrev_b64 v[18:19], 2, v[2:3]
	v_lshlrev_b64 v[24:25], 4, v[2:3]
	v_or_b32_e32 v21, 0, v19
	v_or_b32_e32 v20, s21, v18
	v_add_co_u32_e32 v24, vcc, s2, v24
	v_addc_co_u32_e32 v25, vcc, v9, v25, vcc
	v_lshlrev_b64 v[20:21], 2, v[20:21]
	v_add_co_u32_e32 v26, vcc, s2, v20
	v_addc_co_u32_e32 v27, vcc, v9, v21, vcc
	v_or_b32_e32 v22, s23, v18
	v_add_co_u32_e32 v18, vcc, s0, v18
	v_or_b32_e32 v23, 0, v19
	v_addc_co_u32_e32 v19, vcc, v10, v19, vcc
	global_load_dword v11, v[24:25], off
	v_lshlrev_b64 v[20:21], 2, v[22:23]
	global_load_dword v18, v[18:19], off
	v_add_co_u32_e32 v22, vcc, s2, v20
	v_addc_co_u32_e32 v23, vcc, v9, v21, vcc
	global_load_dword v20, v[22:23], off
	global_load_dword v21, v[26:27], off
	global_load_dword v19, v[24:25], off offset:12
	s_mov_b64 s[10:11], 0
	s_waitcnt vmcnt(4)
	v_mul_f32_e32 v22, v16, v11
	s_waitcnt vmcnt(3)
	v_subrev_u32_e32 v11, s19, v18
	v_lshl_add_u32 v18, v11, 3, v11
	v_and_b32_e32 v18, 15, v18
	v_mov_b32_e32 v23, v18
	s_branch .LBB168_71
.LBB168_70:                             ;   in Loop: Header=BB168_71 Depth=2
	s_or_b64 exec, exec, s[12:13]
	s_xor_b64 s[12:13], s[14:15], -1
	s_and_b64 s[12:13], exec, s[12:13]
	s_or_b64 s[10:11], s[12:13], s[10:11]
	s_andn2_b64 exec, exec, s[10:11]
	s_cbranch_execz .LBB168_81
.LBB168_71:                             ;   Parent Loop BB168_69 Depth=1
                                        ; =>  This Inner Loop Header: Depth=2
	v_lshl_add_u32 v24, v23, 2, v15
	ds_read_b32 v25, v24
                                        ; implicit-def: $sgpr14_sgpr15
	s_waitcnt lgkmcnt(0)
	v_cmp_ne_u32_e32 vcc, v25, v11
	s_and_saveexec_b64 s[12:13], vcc
	s_xor_b64 s[12:13], exec, s[12:13]
	s_cbranch_execz .LBB168_79
; %bb.72:                               ;   in Loop: Header=BB168_71 Depth=2
	v_cmp_ne_u32_e32 vcc, s22, v25
                                        ; implicit-def: $sgpr14_sgpr15
	s_and_saveexec_b64 s[16:17], vcc
	s_xor_b64 s[16:17], exec, s[16:17]
; %bb.73:                               ;   in Loop: Header=BB168_71 Depth=2
	v_add_u32_e32 v23, 1, v23
	v_and_b32_e32 v23, 15, v23
	s_mov_b64 s[14:15], -1
                                        ; implicit-def: $vgpr24
; %bb.74:                               ;   in Loop: Header=BB168_71 Depth=2
	s_andn2_saveexec_b64 s[16:17], s[16:17]
	s_cbranch_execz .LBB168_78
; %bb.75:                               ;   in Loop: Header=BB168_71 Depth=2
	v_mov_b32_e32 v25, s22
	ds_cmpst_rtn_b32 v24, v24, v25, v11
	s_mov_b64 s[24:25], -1
	s_waitcnt lgkmcnt(0)
	v_cmp_eq_u32_e32 vcc, s22, v24
	s_and_saveexec_b64 s[26:27], vcc
	s_cbranch_execz .LBB168_77
; %bb.76:                               ;   in Loop: Header=BB168_71 Depth=2
	v_lshl_add_u32 v24, v23, 4, v13
	ds_add_f32 v24, v22
	s_xor_b64 s[24:25], exec, -1
.LBB168_77:                             ;   in Loop: Header=BB168_71 Depth=2
	s_or_b64 exec, exec, s[26:27]
	s_andn2_b64 s[14:15], s[14:15], exec
	s_and_b64 s[24:25], s[24:25], exec
	s_or_b64 s[14:15], s[14:15], s[24:25]
.LBB168_78:                             ;   in Loop: Header=BB168_71 Depth=2
	s_or_b64 exec, exec, s[16:17]
	s_and_b64 s[14:15], s[14:15], exec
.LBB168_79:                             ;   in Loop: Header=BB168_71 Depth=2
	s_andn2_saveexec_b64 s[12:13], s[12:13]
	s_cbranch_execz .LBB168_70
; %bb.80:                               ;   in Loop: Header=BB168_71 Depth=2
	v_lshl_add_u32 v24, v23, 4, v13
	ds_add_f32 v24, v22
	s_andn2_b64 s[14:15], s[14:15], exec
	s_branch .LBB168_70
.LBB168_81:                             ;   in Loop: Header=BB168_69 Depth=1
	s_or_b64 exec, exec, s[10:11]
	s_waitcnt vmcnt(1)
	v_mul_f32_e32 v21, v16, v21
	s_mov_b64 s[10:11], 0
	v_mov_b32_e32 v22, v18
	s_branch .LBB168_83
.LBB168_82:                             ;   in Loop: Header=BB168_83 Depth=2
	s_or_b64 exec, exec, s[12:13]
	s_xor_b64 s[12:13], s[14:15], -1
	s_and_b64 s[12:13], exec, s[12:13]
	s_or_b64 s[10:11], s[12:13], s[10:11]
	s_andn2_b64 exec, exec, s[10:11]
	s_cbranch_execz .LBB168_93
.LBB168_83:                             ;   Parent Loop BB168_69 Depth=1
                                        ; =>  This Inner Loop Header: Depth=2
	v_lshl_add_u32 v23, v22, 2, v15
	ds_read_b32 v24, v23
                                        ; implicit-def: $sgpr14_sgpr15
	s_waitcnt lgkmcnt(0)
	v_cmp_ne_u32_e32 vcc, v24, v11
	s_and_saveexec_b64 s[12:13], vcc
	s_xor_b64 s[12:13], exec, s[12:13]
	s_cbranch_execz .LBB168_91
; %bb.84:                               ;   in Loop: Header=BB168_83 Depth=2
	v_cmp_ne_u32_e32 vcc, s22, v24
                                        ; implicit-def: $sgpr14_sgpr15
	s_and_saveexec_b64 s[16:17], vcc
	s_xor_b64 s[16:17], exec, s[16:17]
; %bb.85:                               ;   in Loop: Header=BB168_83 Depth=2
	v_add_u32_e32 v22, 1, v22
	v_and_b32_e32 v22, 15, v22
	s_mov_b64 s[14:15], -1
                                        ; implicit-def: $vgpr23
; %bb.86:                               ;   in Loop: Header=BB168_83 Depth=2
	s_andn2_saveexec_b64 s[16:17], s[16:17]
	s_cbranch_execz .LBB168_90
; %bb.87:                               ;   in Loop: Header=BB168_83 Depth=2
	v_mov_b32_e32 v24, s22
	ds_cmpst_rtn_b32 v23, v23, v24, v11
	s_mov_b64 s[24:25], -1
	s_waitcnt lgkmcnt(0)
	v_cmp_eq_u32_e32 vcc, s22, v23
	s_and_saveexec_b64 s[26:27], vcc
	s_cbranch_execz .LBB168_89
; %bb.88:                               ;   in Loop: Header=BB168_83 Depth=2
	v_lshl_add_u32 v23, v22, 4, v6
	ds_add_f32 v23, v21
	s_xor_b64 s[24:25], exec, -1
.LBB168_89:                             ;   in Loop: Header=BB168_83 Depth=2
	s_or_b64 exec, exec, s[26:27]
	s_andn2_b64 s[14:15], s[14:15], exec
	s_and_b64 s[24:25], s[24:25], exec
	s_or_b64 s[14:15], s[14:15], s[24:25]
.LBB168_90:                             ;   in Loop: Header=BB168_83 Depth=2
	s_or_b64 exec, exec, s[16:17]
	s_and_b64 s[14:15], s[14:15], exec
.LBB168_91:                             ;   in Loop: Header=BB168_83 Depth=2
	s_andn2_saveexec_b64 s[12:13], s[12:13]
	s_cbranch_execz .LBB168_82
; %bb.92:                               ;   in Loop: Header=BB168_83 Depth=2
	v_lshl_add_u32 v23, v22, 4, v6
	ds_add_f32 v23, v21
	s_andn2_b64 s[14:15], s[14:15], exec
	s_branch .LBB168_82
.LBB168_93:                             ;   in Loop: Header=BB168_69 Depth=1
	s_or_b64 exec, exec, s[10:11]
	v_mul_f32_e32 v20, v16, v20
	s_mov_b64 s[10:11], 0
	v_mov_b32_e32 v21, v18
	s_branch .LBB168_95
.LBB168_94:                             ;   in Loop: Header=BB168_95 Depth=2
	s_or_b64 exec, exec, s[12:13]
	s_xor_b64 s[12:13], s[14:15], -1
	s_and_b64 s[12:13], exec, s[12:13]
	s_or_b64 s[10:11], s[12:13], s[10:11]
	s_andn2_b64 exec, exec, s[10:11]
	s_cbranch_execz .LBB168_105
.LBB168_95:                             ;   Parent Loop BB168_69 Depth=1
                                        ; =>  This Inner Loop Header: Depth=2
	v_lshl_add_u32 v22, v21, 2, v15
	ds_read_b32 v23, v22
                                        ; implicit-def: $sgpr14_sgpr15
	s_waitcnt lgkmcnt(0)
	v_cmp_ne_u32_e32 vcc, v23, v11
	s_and_saveexec_b64 s[12:13], vcc
	s_xor_b64 s[12:13], exec, s[12:13]
	s_cbranch_execz .LBB168_103
; %bb.96:                               ;   in Loop: Header=BB168_95 Depth=2
	v_cmp_ne_u32_e32 vcc, s22, v23
                                        ; implicit-def: $sgpr14_sgpr15
	s_and_saveexec_b64 s[16:17], vcc
	s_xor_b64 s[16:17], exec, s[16:17]
; %bb.97:                               ;   in Loop: Header=BB168_95 Depth=2
	v_add_u32_e32 v21, 1, v21
	v_and_b32_e32 v21, 15, v21
	s_mov_b64 s[14:15], -1
                                        ; implicit-def: $vgpr22
; %bb.98:                               ;   in Loop: Header=BB168_95 Depth=2
	s_andn2_saveexec_b64 s[16:17], s[16:17]
	s_cbranch_execz .LBB168_102
; %bb.99:                               ;   in Loop: Header=BB168_95 Depth=2
	v_mov_b32_e32 v23, s22
	ds_cmpst_rtn_b32 v22, v22, v23, v11
	s_mov_b64 s[24:25], -1
	s_waitcnt lgkmcnt(0)
	v_cmp_eq_u32_e32 vcc, s22, v22
	s_and_saveexec_b64 s[26:27], vcc
	s_cbranch_execz .LBB168_101
; %bb.100:                              ;   in Loop: Header=BB168_95 Depth=2
	v_lshl_add_u32 v22, v21, 4, v7
	ds_add_f32 v22, v20
	s_xor_b64 s[24:25], exec, -1
.LBB168_101:                            ;   in Loop: Header=BB168_95 Depth=2
	s_or_b64 exec, exec, s[26:27]
	s_andn2_b64 s[14:15], s[14:15], exec
	s_and_b64 s[24:25], s[24:25], exec
	s_or_b64 s[14:15], s[14:15], s[24:25]
.LBB168_102:                            ;   in Loop: Header=BB168_95 Depth=2
	s_or_b64 exec, exec, s[16:17]
	s_and_b64 s[14:15], s[14:15], exec
.LBB168_103:                            ;   in Loop: Header=BB168_95 Depth=2
	s_andn2_saveexec_b64 s[12:13], s[12:13]
	s_cbranch_execz .LBB168_94
; %bb.104:                              ;   in Loop: Header=BB168_95 Depth=2
	v_lshl_add_u32 v22, v21, 4, v7
	ds_add_f32 v22, v20
	s_andn2_b64 s[14:15], s[14:15], exec
	s_branch .LBB168_94
.LBB168_105:                            ;   in Loop: Header=BB168_69 Depth=1
	s_or_b64 exec, exec, s[10:11]
	s_waitcnt vmcnt(0)
	v_mul_f32_e32 v19, v16, v19
	s_mov_b64 s[10:11], 0
	s_branch .LBB168_107
.LBB168_106:                            ;   in Loop: Header=BB168_107 Depth=2
	s_or_b64 exec, exec, s[12:13]
	s_xor_b64 s[12:13], s[14:15], -1
	s_and_b64 s[12:13], exec, s[12:13]
	s_or_b64 s[10:11], s[12:13], s[10:11]
	s_andn2_b64 exec, exec, s[10:11]
	s_cbranch_execz .LBB168_68
.LBB168_107:                            ;   Parent Loop BB168_69 Depth=1
                                        ; =>  This Inner Loop Header: Depth=2
	v_lshl_add_u32 v20, v18, 2, v15
	ds_read_b32 v21, v20
                                        ; implicit-def: $sgpr14_sgpr15
	s_waitcnt lgkmcnt(0)
	v_cmp_ne_u32_e32 vcc, v21, v11
	s_and_saveexec_b64 s[12:13], vcc
	s_xor_b64 s[12:13], exec, s[12:13]
	s_cbranch_execz .LBB168_115
; %bb.108:                              ;   in Loop: Header=BB168_107 Depth=2
	v_cmp_ne_u32_e32 vcc, s22, v21
                                        ; implicit-def: $sgpr14_sgpr15
	s_and_saveexec_b64 s[16:17], vcc
	s_xor_b64 s[16:17], exec, s[16:17]
; %bb.109:                              ;   in Loop: Header=BB168_107 Depth=2
	v_add_u32_e32 v18, 1, v18
	v_and_b32_e32 v18, 15, v18
	s_mov_b64 s[14:15], -1
                                        ; implicit-def: $vgpr20
; %bb.110:                              ;   in Loop: Header=BB168_107 Depth=2
	s_andn2_saveexec_b64 s[16:17], s[16:17]
	s_cbranch_execz .LBB168_114
; %bb.111:                              ;   in Loop: Header=BB168_107 Depth=2
	v_mov_b32_e32 v21, s22
	ds_cmpst_rtn_b32 v20, v20, v21, v11
	s_mov_b64 s[24:25], -1
	s_waitcnt lgkmcnt(0)
	v_cmp_eq_u32_e32 vcc, s22, v20
	s_and_saveexec_b64 s[26:27], vcc
	s_cbranch_execz .LBB168_113
; %bb.112:                              ;   in Loop: Header=BB168_107 Depth=2
	v_lshl_add_u32 v20, v18, 4, v8
	ds_add_f32 v20, v19
	s_xor_b64 s[24:25], exec, -1
.LBB168_113:                            ;   in Loop: Header=BB168_107 Depth=2
	s_or_b64 exec, exec, s[26:27]
	s_andn2_b64 s[14:15], s[14:15], exec
	s_and_b64 s[24:25], s[24:25], exec
	s_or_b64 s[14:15], s[14:15], s[24:25]
.LBB168_114:                            ;   in Loop: Header=BB168_107 Depth=2
	s_or_b64 exec, exec, s[16:17]
	s_and_b64 s[14:15], s[14:15], exec
.LBB168_115:                            ;   in Loop: Header=BB168_107 Depth=2
	s_andn2_saveexec_b64 s[12:13], s[12:13]
	s_cbranch_execz .LBB168_106
; %bb.116:                              ;   in Loop: Header=BB168_107 Depth=2
	v_lshl_add_u32 v20, v18, 4, v8
	ds_add_f32 v20, v19
	s_andn2_b64 s[14:15], s[14:15], exec
	s_branch .LBB168_106
.LBB168_117:
	s_or_b64 exec, exec, s[6:7]
.LBB168_118:
	s_waitcnt lgkmcnt(0)
	ds_read_b32 v0, v17
	s_waitcnt lgkmcnt(0)
	v_cmp_gt_i32_e32 vcc, s22, v0
	s_and_b64 exec, exec, vcc
	s_cbranch_execz .LBB168_120
; %bb.119:
	s_load_dwordx4 s[0:3], s[4:5], 0x78
	s_cmp_eq_u32 s20, 0
	s_waitcnt lgkmcnt(0)
	v_mov_b32_e32 v1, s1
	v_add_co_u32_e32 v2, vcc, s0, v4
	v_addc_co_u32_e32 v3, vcc, v1, v5, vcc
	global_load_dwordx2 v[10:11], v[2:3], off
	ds_read_b128 v[2:5], v15
	ds_read_b128 v[6:9], v15 offset:16
	ds_read_b128 v[16:19], v15 offset:32
	ds_read_b128 v[20:23], v15 offset:48
	s_load_dwordx2 s[0:1], s[4:5], 0x88
	s_waitcnt lgkmcnt(0)
	v_cmp_gt_i32_e32 vcc, v0, v2
	v_cndmask_b32_e64 v1, 0, 1, vcc
	v_cmp_gt_i32_e32 vcc, v0, v3
	v_cndmask_b32_e64 v2, 0, 1, vcc
	;; [unrolled: 2-line block ×14, first 2 shown]
	s_waitcnt vmcnt(0)
	v_subrev_co_u32_e32 v10, vcc, s18, v10
	v_subbrev_co_u32_e32 v11, vcc, 0, v11, vcc
	v_add_co_u32_e32 v1, vcc, v10, v1
	v_addc_co_u32_e32 v10, vcc, 0, v11, vcc
	v_add_co_u32_e32 v1, vcc, v1, v2
	v_addc_co_u32_e32 v2, vcc, 0, v10, vcc
	;; [unrolled: 2-line block ×14, first 2 shown]
	v_cmp_gt_i32_e32 vcc, v0, v22
	v_cndmask_b32_e64 v3, 0, 1, vcc
	v_add_co_u32_e32 v1, vcc, v1, v3
	v_addc_co_u32_e32 v3, vcc, 0, v2, vcc
	v_cmp_gt_i32_e32 vcc, v0, v23
	v_cndmask_b32_e64 v2, 0, 1, vcc
	v_add_co_u32_e32 v2, vcc, v1, v2
	v_addc_co_u32_e32 v3, vcc, 0, v3, vcc
	v_add_u32_e32 v4, s18, v0
	v_lshlrev_b64 v[0:1], 2, v[2:3]
	v_mov_b32_e32 v5, s3
	v_add_co_u32_e32 v0, vcc, s2, v0
	v_addc_co_u32_e32 v1, vcc, v5, v1, vcc
	global_store_dword v[0:1], v4, off
	v_lshlrev_b64 v[4:5], 4, v[2:3]
	v_mov_b32_e32 v3, s1
	s_cselect_b32 s1, 1, 2
	s_cselect_b32 s2, 2, 1
	v_or_b32_e32 v1, s1, v12
	v_or_b32_e32 v2, s2, v12
	v_lshl_add_u32 v1, v1, 2, v13
	v_lshl_add_u32 v2, v2, 2, v13
	;; [unrolled: 1-line block ×3, first 2 shown]
	ds_read_b32 v1, v1
	ds_read_b32 v2, v2
	ds_read2_b32 v[6:7], v0 offset1:3
	v_add_co_u32_e32 v4, vcc, s0, v4
	v_addc_co_u32_e32 v5, vcc, v3, v5, vcc
	s_waitcnt lgkmcnt(0)
	v_mov_b32_e32 v0, v6
	v_mov_b32_e32 v3, v7
	global_store_dwordx4 v[4:5], v[0:3], off
.LBB168_120:
	s_endpgm
	.section	.rodata,"a",@progbits
	.p2align	6, 0x0
	.amdhsa_kernel _ZN9rocsparseL27bsrgemm_fill_wf_per_row_2x2ILj256ELj16ELj16ELj137ElifEEv20rocsparse_direction_T4_S2_PKS2_S4_NS_24const_host_device_scalarIT5_EEPKT3_S4_PKS6_SA_S4_SC_S7_SA_S4_SC_SA_PS2_PS6_21rocsparse_index_base_SF_SF_SF_bbb
		.amdhsa_group_segment_fixed_size 5120
		.amdhsa_private_segment_fixed_size 0
		.amdhsa_kernarg_size 164
		.amdhsa_user_sgpr_count 6
		.amdhsa_user_sgpr_private_segment_buffer 1
		.amdhsa_user_sgpr_dispatch_ptr 0
		.amdhsa_user_sgpr_queue_ptr 0
		.amdhsa_user_sgpr_kernarg_segment_ptr 1
		.amdhsa_user_sgpr_dispatch_id 0
		.amdhsa_user_sgpr_flat_scratch_init 0
		.amdhsa_user_sgpr_kernarg_preload_length 0
		.amdhsa_user_sgpr_kernarg_preload_offset 0
		.amdhsa_user_sgpr_private_segment_size 0
		.amdhsa_uses_dynamic_stack 0
		.amdhsa_system_sgpr_private_segment_wavefront_offset 0
		.amdhsa_system_sgpr_workgroup_id_x 1
		.amdhsa_system_sgpr_workgroup_id_y 0
		.amdhsa_system_sgpr_workgroup_id_z 0
		.amdhsa_system_sgpr_workgroup_info 0
		.amdhsa_system_vgpr_workitem_id 0
		.amdhsa_next_free_vgpr 36
		.amdhsa_next_free_sgpr 45
		.amdhsa_accum_offset 36
		.amdhsa_reserve_vcc 1
		.amdhsa_reserve_flat_scratch 0
		.amdhsa_float_round_mode_32 0
		.amdhsa_float_round_mode_16_64 0
		.amdhsa_float_denorm_mode_32 3
		.amdhsa_float_denorm_mode_16_64 3
		.amdhsa_dx10_clamp 1
		.amdhsa_ieee_mode 1
		.amdhsa_fp16_overflow 0
		.amdhsa_tg_split 0
		.amdhsa_exception_fp_ieee_invalid_op 0
		.amdhsa_exception_fp_denorm_src 0
		.amdhsa_exception_fp_ieee_div_zero 0
		.amdhsa_exception_fp_ieee_overflow 0
		.amdhsa_exception_fp_ieee_underflow 0
		.amdhsa_exception_fp_ieee_inexact 0
		.amdhsa_exception_int_div_zero 0
	.end_amdhsa_kernel
	.section	.text._ZN9rocsparseL27bsrgemm_fill_wf_per_row_2x2ILj256ELj16ELj16ELj137ElifEEv20rocsparse_direction_T4_S2_PKS2_S4_NS_24const_host_device_scalarIT5_EEPKT3_S4_PKS6_SA_S4_SC_S7_SA_S4_SC_SA_PS2_PS6_21rocsparse_index_base_SF_SF_SF_bbb,"axG",@progbits,_ZN9rocsparseL27bsrgemm_fill_wf_per_row_2x2ILj256ELj16ELj16ELj137ElifEEv20rocsparse_direction_T4_S2_PKS2_S4_NS_24const_host_device_scalarIT5_EEPKT3_S4_PKS6_SA_S4_SC_S7_SA_S4_SC_SA_PS2_PS6_21rocsparse_index_base_SF_SF_SF_bbb,comdat
.Lfunc_end168:
	.size	_ZN9rocsparseL27bsrgemm_fill_wf_per_row_2x2ILj256ELj16ELj16ELj137ElifEEv20rocsparse_direction_T4_S2_PKS2_S4_NS_24const_host_device_scalarIT5_EEPKT3_S4_PKS6_SA_S4_SC_S7_SA_S4_SC_SA_PS2_PS6_21rocsparse_index_base_SF_SF_SF_bbb, .Lfunc_end168-_ZN9rocsparseL27bsrgemm_fill_wf_per_row_2x2ILj256ELj16ELj16ELj137ElifEEv20rocsparse_direction_T4_S2_PKS2_S4_NS_24const_host_device_scalarIT5_EEPKT3_S4_PKS6_SA_S4_SC_S7_SA_S4_SC_SA_PS2_PS6_21rocsparse_index_base_SF_SF_SF_bbb
                                        ; -- End function
	.section	.AMDGPU.csdata,"",@progbits
; Kernel info:
; codeLenInByte = 3640
; NumSgprs: 49
; NumVgprs: 36
; NumAgprs: 0
; TotalNumVgprs: 36
; ScratchSize: 0
; MemoryBound: 0
; FloatMode: 240
; IeeeMode: 1
; LDSByteSize: 5120 bytes/workgroup (compile time only)
; SGPRBlocks: 6
; VGPRBlocks: 4
; NumSGPRsForWavesPerEU: 49
; NumVGPRsForWavesPerEU: 36
; AccumOffset: 36
; Occupancy: 8
; WaveLimiterHint : 1
; COMPUTE_PGM_RSRC2:SCRATCH_EN: 0
; COMPUTE_PGM_RSRC2:USER_SGPR: 6
; COMPUTE_PGM_RSRC2:TRAP_HANDLER: 0
; COMPUTE_PGM_RSRC2:TGID_X_EN: 1
; COMPUTE_PGM_RSRC2:TGID_Y_EN: 0
; COMPUTE_PGM_RSRC2:TGID_Z_EN: 0
; COMPUTE_PGM_RSRC2:TIDIG_COMP_CNT: 0
; COMPUTE_PGM_RSRC3_GFX90A:ACCUM_OFFSET: 8
; COMPUTE_PGM_RSRC3_GFX90A:TG_SPLIT: 0
	.section	.text._ZN9rocsparseL27bsrgemm_fill_wf_per_row_2x2ILj256ELj16ELj32ELj137ElifEEv20rocsparse_direction_T4_S2_PKS2_S4_NS_24const_host_device_scalarIT5_EEPKT3_S4_PKS6_SA_S4_SC_S7_SA_S4_SC_SA_PS2_PS6_21rocsparse_index_base_SF_SF_SF_bbb,"axG",@progbits,_ZN9rocsparseL27bsrgemm_fill_wf_per_row_2x2ILj256ELj16ELj32ELj137ElifEEv20rocsparse_direction_T4_S2_PKS2_S4_NS_24const_host_device_scalarIT5_EEPKT3_S4_PKS6_SA_S4_SC_S7_SA_S4_SC_SA_PS2_PS6_21rocsparse_index_base_SF_SF_SF_bbb,comdat
	.globl	_ZN9rocsparseL27bsrgemm_fill_wf_per_row_2x2ILj256ELj16ELj32ELj137ElifEEv20rocsparse_direction_T4_S2_PKS2_S4_NS_24const_host_device_scalarIT5_EEPKT3_S4_PKS6_SA_S4_SC_S7_SA_S4_SC_SA_PS2_PS6_21rocsparse_index_base_SF_SF_SF_bbb ; -- Begin function _ZN9rocsparseL27bsrgemm_fill_wf_per_row_2x2ILj256ELj16ELj32ELj137ElifEEv20rocsparse_direction_T4_S2_PKS2_S4_NS_24const_host_device_scalarIT5_EEPKT3_S4_PKS6_SA_S4_SC_S7_SA_S4_SC_SA_PS2_PS6_21rocsparse_index_base_SF_SF_SF_bbb
	.p2align	8
	.type	_ZN9rocsparseL27bsrgemm_fill_wf_per_row_2x2ILj256ELj16ELj32ELj137ElifEEv20rocsparse_direction_T4_S2_PKS2_S4_NS_24const_host_device_scalarIT5_EEPKT3_S4_PKS6_SA_S4_SC_S7_SA_S4_SC_SA_PS2_PS6_21rocsparse_index_base_SF_SF_SF_bbb,@function
_ZN9rocsparseL27bsrgemm_fill_wf_per_row_2x2ILj256ELj16ELj32ELj137ElifEEv20rocsparse_direction_T4_S2_PKS2_S4_NS_24const_host_device_scalarIT5_EEPKT3_S4_PKS6_SA_S4_SC_S7_SA_S4_SC_SA_PS2_PS6_21rocsparse_index_base_SF_SF_SF_bbb: ; @_ZN9rocsparseL27bsrgemm_fill_wf_per_row_2x2ILj256ELj16ELj32ELj137ElifEEv20rocsparse_direction_T4_S2_PKS2_S4_NS_24const_host_device_scalarIT5_EEPKT3_S4_PKS6_SA_S4_SC_S7_SA_S4_SC_SA_PS2_PS6_21rocsparse_index_base_SF_SF_SF_bbb
; %bb.0:
	s_load_dword s7, s[4:5], 0xa0
	s_load_dwordx2 s[0:1], s[4:5], 0x20
	s_load_dwordx2 s[8:9], s[4:5], 0x58
	s_waitcnt lgkmcnt(0)
	s_bitcmp1_b32 s7, 0
	s_cselect_b64 s[2:3], -1, 0
	s_bitcmp1_b32 s7, 16
	s_cselect_b64 s[10:11], -1, 0
	s_xor_b64 s[12:13], s[2:3], -1
	s_or_b64 s[12:13], s[12:13], s[10:11]
	s_and_b64 vcc, exec, s[12:13]
	s_cbranch_vccnz .LBB169_2
; %bb.1:
	s_load_dword s0, s[0:1], 0x0
	s_waitcnt lgkmcnt(0)
	v_mov_b32_e32 v18, s0
	s_branch .LBB169_3
.LBB169_2:
	v_mov_b32_e32 v1, s0
	v_cndmask_b32_e64 v18, 0, v1, s[2:3]
.LBB169_3:
	s_bitcmp1_b32 s7, 8
	s_cselect_b64 s[0:1], -1, 0
	s_xor_b64 s[12:13], s[0:1], -1
	s_or_b64 s[10:11], s[12:13], s[10:11]
	s_and_b64 vcc, exec, s[10:11]
	s_cbranch_vccnz .LBB169_5
; %bb.4:
	s_load_dword s7, s[8:9], 0x0
	s_waitcnt lgkmcnt(0)
	v_mov_b32_e32 v16, s7
	s_branch .LBB169_6
.LBB169_5:
	v_mov_b32_e32 v1, s8
	v_cndmask_b32_e64 v16, 0, v1, s[0:1]
.LBB169_6:
	s_load_dwordx4 s[16:19], s[4:5], 0x0
	v_lshrrev_b32_e32 v13, 4, v0
	v_and_b32_e32 v14, 15, v0
	v_lshlrev_b32_e32 v15, 7, v13
	v_or_b32_e32 v12, 0x2000, v15
	v_lshlrev_b32_e32 v0, 2, v14
	v_or_b32_e32 v1, v12, v0
	s_waitcnt lgkmcnt(0)
	v_mov_b32_e32 v2, s18
	v_lshlrev_b32_e32 v17, 9, v13
	ds_write2_b32 v1, v2, v2 offset1:16
	v_or_b32_e32 v0, v17, v0
	v_mov_b32_e32 v1, 0
	ds_write2_b32 v0, v1, v1 offset1:16
	ds_write2_b32 v0, v1, v1 offset0:32 offset1:48
	ds_write2_b32 v0, v1, v1 offset0:64 offset1:80
	;; [unrolled: 1-line block ×3, first 2 shown]
	v_lshl_or_b32 v0, s6, 4, v13
	v_cmp_gt_i32_e32 vcc, s17, v0
	s_waitcnt lgkmcnt(0)
	s_barrier
	s_and_saveexec_b64 s[6:7], vcc
	s_cbranch_execz .LBB169_122
; %bb.7:
	s_load_dwordx2 s[6:7], s[4:5], 0x18
	s_load_dwordx4 s[20:23], s[4:5], 0x90
	s_waitcnt lgkmcnt(0)
	s_cmp_eq_u64 s[6:7], 0
	s_cbranch_scc1 .LBB169_9
; %bb.8:
	s_load_dwordx2 s[8:9], s[4:5], 0x10
	v_mov_b32_e32 v2, s7
	s_waitcnt lgkmcnt(0)
	s_load_dword s8, s[8:9], 0x0
	s_waitcnt lgkmcnt(0)
	v_add_u32_e32 v0, s8, v0
	v_ashrrev_i32_e32 v1, 31, v0
	v_lshlrev_b64 v[0:1], 2, v[0:1]
	v_add_co_u32_e32 v0, vcc, s6, v0
	v_addc_co_u32_e32 v1, vcc, v2, v1, vcc
	global_load_dword v0, v[0:1], off
.LBB169_9:
	s_load_dwordx2 s[6:7], s[4:5], 0x78
	s_waitcnt vmcnt(0)
	v_ashrrev_i32_e32 v1, 31, v0
	s_andn2_b64 vcc, exec, s[2:3]
	v_lshlrev_b64 v[4:5], 3, v[0:1]
	s_cbranch_vccnz .LBB169_65
; %bb.10:
	s_load_dwordx2 s[2:3], s[4:5], 0x28
	s_mov_b32 s17, 0
	s_waitcnt lgkmcnt(0)
	v_mov_b32_e32 v1, s3
	v_add_co_u32_e32 v0, vcc, s2, v4
	v_addc_co_u32_e32 v1, vcc, v1, v5, vcc
	global_load_dwordx4 v[0:3], v[0:1], off
	v_subrev_co_u32_e32 v8, vcc, s20, v14
	v_subb_co_u32_e64 v9, s[2:3], 0, 0, vcc
	s_waitcnt vmcnt(0)
	v_subrev_co_u32_e32 v6, vcc, s20, v2
	v_subbrev_co_u32_e32 v7, vcc, 0, v3, vcc
	v_add_co_u32_e32 v8, vcc, v0, v8
	v_addc_co_u32_e32 v9, vcc, v1, v9, vcc
	v_cmp_lt_i64_e32 vcc, v[8:9], v[6:7]
	s_and_saveexec_b64 s[2:3], vcc
	s_cbranch_execz .LBB169_64
; %bb.11:
	s_load_dwordx2 s[24:25], s[4:5], 0x50
	s_load_dwordx8 s[8:15], s[4:5], 0x30
	s_cmp_eq_u32 s16, 0
	s_mov_b32 s19, s21
	s_cselect_b32 s33, 1, 2
	s_cselect_b32 s46, 2, 1
	v_add_u32_e32 v19, 4, v17
	v_add_u32_e32 v20, 8, v17
	;; [unrolled: 1-line block ×3, first 2 shown]
	s_mov_b64 s[26:27], 0
	s_waitcnt lgkmcnt(0)
	v_mov_b32_e32 v22, s9
	v_mov_b32_e32 v23, s13
	s_branch .LBB169_13
.LBB169_12:                             ;   in Loop: Header=BB169_13 Depth=1
	s_or_b64 exec, exec, s[28:29]
	v_add_co_u32_e32 v8, vcc, 16, v8
	v_addc_co_u32_e32 v9, vcc, 0, v9, vcc
	v_cmp_ge_i64_e32 vcc, v[8:9], v[6:7]
	s_or_b64 s[26:27], vcc, s[26:27]
	s_andn2_b64 exec, exec, s[26:27]
	s_cbranch_execz .LBB169_64
.LBB169_13:                             ; =>This Loop Header: Depth=1
                                        ;     Child Loop BB169_16 Depth 2
                                        ;       Child Loop BB169_18 Depth 3
                                        ;       Child Loop BB169_30 Depth 3
                                        ;       Child Loop BB169_42 Depth 3
                                        ;       Child Loop BB169_54 Depth 3
	v_lshlrev_b64 v[10:11], 2, v[8:9]
	v_add_co_u32_e32 v0, vcc, s8, v10
	v_addc_co_u32_e32 v1, vcc, v22, v11, vcc
	global_load_dword v0, v[0:1], off
	s_waitcnt vmcnt(0)
	v_subrev_u32_e32 v0, s20, v0
	v_ashrrev_i32_e32 v1, 31, v0
	v_lshlrev_b64 v[0:1], 3, v[0:1]
	v_add_co_u32_e32 v0, vcc, s12, v0
	v_addc_co_u32_e32 v1, vcc, v23, v1, vcc
	global_load_dwordx4 v[0:3], v[0:1], off
	s_waitcnt vmcnt(0)
	v_cmp_lt_i64_e32 vcc, v[0:1], v[2:3]
	s_and_saveexec_b64 s[28:29], vcc
	s_cbranch_execz .LBB169_12
; %bb.14:                               ;   in Loop: Header=BB169_13 Depth=1
	v_lshlrev_b64 v[26:27], 4, v[8:9]
	v_or_b32_e32 v25, 0, v11
	v_or_b32_e32 v24, s33, v10
	v_or_b32_e32 v11, 0, v11
	v_or_b32_e32 v10, s46, v10
	v_mov_b32_e32 v28, s11
	v_add_co_u32_e32 v26, vcc, s10, v26
	v_addc_co_u32_e32 v27, vcc, v28, v27, vcc
	v_lshlrev_b64 v[10:11], 2, v[10:11]
	v_add_co_u32_e32 v10, vcc, s10, v10
	v_addc_co_u32_e32 v11, vcc, v28, v11, vcc
	v_lshlrev_b64 v[24:25], 2, v[24:25]
	v_add_co_u32_e32 v24, vcc, s10, v24
	v_addc_co_u32_e32 v25, vcc, v28, v25, vcc
	global_load_dword v28, v[26:27], off offset:12
	global_load_dword v29, v[10:11], off
	global_load_dword v30, v[24:25], off
	;; [unrolled: 1-line block ×3, first 2 shown]
	v_mov_b32_e32 v10, s17
	v_subrev_co_u32_e32 v2, vcc, s19, v2
	v_subb_co_u32_e32 v3, vcc, v3, v10, vcc
	v_subrev_co_u32_e32 v0, vcc, s19, v0
	v_subb_co_u32_e32 v1, vcc, v1, v10, vcc
	s_mov_b64 s[30:31], 0
	s_waitcnt vmcnt(3)
	v_mul_f32_e32 v10, v18, v28
	s_waitcnt vmcnt(2)
	v_mul_f32_e32 v11, v18, v29
	;; [unrolled: 2-line block ×4, first 2 shown]
	s_branch .LBB169_16
.LBB169_15:                             ;   in Loop: Header=BB169_16 Depth=2
	s_or_b64 exec, exec, s[34:35]
	v_add_co_u32_e32 v0, vcc, 1, v0
	v_addc_co_u32_e32 v1, vcc, 0, v1, vcc
	v_cmp_ge_i64_e32 vcc, v[0:1], v[2:3]
	s_or_b64 s[30:31], vcc, s[30:31]
	s_andn2_b64 exec, exec, s[30:31]
	s_cbranch_execz .LBB169_12
.LBB169_16:                             ;   Parent Loop BB169_13 Depth=1
                                        ; =>  This Loop Header: Depth=2
                                        ;       Child Loop BB169_18 Depth 3
                                        ;       Child Loop BB169_30 Depth 3
	;; [unrolled: 1-line block ×4, first 2 shown]
	v_lshlrev_b64 v[26:27], 2, v[0:1]
	v_mov_b32_e32 v29, s15
	v_add_co_u32_e32 v28, vcc, s14, v26
	v_addc_co_u32_e32 v29, vcc, v29, v27, vcc
	v_lshlrev_b64 v[30:31], 4, v[0:1]
	global_load_dword v34, v[28:29], off
	v_or_b32_e32 v29, 0, v27
	v_or_b32_e32 v28, s33, v26
	;; [unrolled: 1-line block ×4, first 2 shown]
	v_mov_b32_e32 v35, s25
	v_add_co_u32_e32 v32, vcc, s24, v30
	v_addc_co_u32_e32 v33, vcc, v35, v31, vcc
	v_lshlrev_b64 v[26:27], 2, v[26:27]
	v_add_co_u32_e32 v26, vcc, s24, v26
	v_lshlrev_b64 v[28:29], 2, v[28:29]
	v_addc_co_u32_e32 v27, vcc, v35, v27, vcc
	global_load_dword v30, v[32:33], off
	global_load_dword v31, v[26:27], off
	v_add_co_u32_e32 v26, vcc, s24, v28
	v_addc_co_u32_e32 v27, vcc, v35, v29, vcc
	global_load_dword v28, v[26:27], off
	global_load_dword v29, v[32:33], off offset:12
	s_mov_b64 s[34:35], 0
	s_waitcnt vmcnt(4)
	v_subrev_u32_e32 v26, s21, v34
	v_lshl_add_u32 v27, v26, 3, v26
	v_and_b32_e32 v27, 31, v27
	v_mov_b32_e32 v33, v27
	s_waitcnt vmcnt(2)
	v_mul_f32_e32 v32, v25, v31
	v_fmac_f32_e32 v32, v24, v30
	s_branch .LBB169_18
.LBB169_17:                             ;   in Loop: Header=BB169_18 Depth=3
	s_or_b64 exec, exec, s[36:37]
	s_xor_b64 s[36:37], s[38:39], -1
	s_and_b64 s[36:37], exec, s[36:37]
	s_or_b64 s[34:35], s[36:37], s[34:35]
	s_andn2_b64 exec, exec, s[34:35]
	s_cbranch_execz .LBB169_28
.LBB169_18:                             ;   Parent Loop BB169_13 Depth=1
                                        ;     Parent Loop BB169_16 Depth=2
                                        ; =>    This Inner Loop Header: Depth=3
	v_lshl_add_u32 v34, v33, 2, v12
	ds_read_b32 v35, v34
                                        ; implicit-def: $sgpr38_sgpr39
	s_waitcnt lgkmcnt(0)
	v_cmp_ne_u32_e32 vcc, v35, v26
	s_and_saveexec_b64 s[36:37], vcc
	s_xor_b64 s[36:37], exec, s[36:37]
	s_cbranch_execz .LBB169_26
; %bb.19:                               ;   in Loop: Header=BB169_18 Depth=3
	v_cmp_ne_u32_e32 vcc, s18, v35
                                        ; implicit-def: $sgpr38_sgpr39
	s_and_saveexec_b64 s[40:41], vcc
	s_xor_b64 s[40:41], exec, s[40:41]
; %bb.20:                               ;   in Loop: Header=BB169_18 Depth=3
	v_add_u32_e32 v33, 1, v33
	v_and_b32_e32 v33, 31, v33
	s_mov_b64 s[38:39], -1
                                        ; implicit-def: $vgpr34
; %bb.21:                               ;   in Loop: Header=BB169_18 Depth=3
	s_andn2_saveexec_b64 s[40:41], s[40:41]
	s_cbranch_execz .LBB169_25
; %bb.22:                               ;   in Loop: Header=BB169_18 Depth=3
	v_mov_b32_e32 v35, s18
	ds_cmpst_rtn_b32 v34, v34, v35, v26
	s_mov_b64 s[42:43], -1
	s_waitcnt lgkmcnt(0)
	v_cmp_eq_u32_e32 vcc, s18, v34
	s_and_saveexec_b64 s[44:45], vcc
	s_cbranch_execz .LBB169_24
; %bb.23:                               ;   in Loop: Header=BB169_18 Depth=3
	v_lshl_add_u32 v34, v33, 4, v17
	ds_add_f32 v34, v32
	s_xor_b64 s[42:43], exec, -1
.LBB169_24:                             ;   in Loop: Header=BB169_18 Depth=3
	s_or_b64 exec, exec, s[44:45]
	s_andn2_b64 s[38:39], s[38:39], exec
	s_and_b64 s[42:43], s[42:43], exec
	s_or_b64 s[38:39], s[38:39], s[42:43]
.LBB169_25:                             ;   in Loop: Header=BB169_18 Depth=3
	s_or_b64 exec, exec, s[40:41]
	s_and_b64 s[38:39], s[38:39], exec
.LBB169_26:                             ;   in Loop: Header=BB169_18 Depth=3
	s_andn2_saveexec_b64 s[36:37], s[36:37]
	s_cbranch_execz .LBB169_17
; %bb.27:                               ;   in Loop: Header=BB169_18 Depth=3
	v_lshl_add_u32 v34, v33, 4, v17
	ds_add_f32 v34, v32
	s_andn2_b64 s[38:39], s[38:39], exec
	s_branch .LBB169_17
.LBB169_28:                             ;   in Loop: Header=BB169_16 Depth=2
	s_or_b64 exec, exec, s[34:35]
	s_waitcnt vmcnt(0)
	v_mul_f32_e32 v32, v25, v29
	v_fmac_f32_e32 v32, v24, v28
	s_mov_b64 s[34:35], 0
	v_mov_b32_e32 v33, v27
	s_branch .LBB169_30
.LBB169_29:                             ;   in Loop: Header=BB169_30 Depth=3
	s_or_b64 exec, exec, s[36:37]
	s_xor_b64 s[36:37], s[38:39], -1
	s_and_b64 s[36:37], exec, s[36:37]
	s_or_b64 s[34:35], s[36:37], s[34:35]
	s_andn2_b64 exec, exec, s[34:35]
	s_cbranch_execz .LBB169_40
.LBB169_30:                             ;   Parent Loop BB169_13 Depth=1
                                        ;     Parent Loop BB169_16 Depth=2
                                        ; =>    This Inner Loop Header: Depth=3
	v_lshl_add_u32 v34, v33, 2, v12
	ds_read_b32 v35, v34
                                        ; implicit-def: $sgpr38_sgpr39
	s_waitcnt lgkmcnt(0)
	v_cmp_ne_u32_e32 vcc, v35, v26
	s_and_saveexec_b64 s[36:37], vcc
	s_xor_b64 s[36:37], exec, s[36:37]
	s_cbranch_execz .LBB169_38
; %bb.31:                               ;   in Loop: Header=BB169_30 Depth=3
	v_cmp_ne_u32_e32 vcc, s18, v35
                                        ; implicit-def: $sgpr38_sgpr39
	s_and_saveexec_b64 s[40:41], vcc
	s_xor_b64 s[40:41], exec, s[40:41]
; %bb.32:                               ;   in Loop: Header=BB169_30 Depth=3
	v_add_u32_e32 v33, 1, v33
	v_and_b32_e32 v33, 31, v33
	s_mov_b64 s[38:39], -1
                                        ; implicit-def: $vgpr34
; %bb.33:                               ;   in Loop: Header=BB169_30 Depth=3
	s_andn2_saveexec_b64 s[40:41], s[40:41]
	s_cbranch_execz .LBB169_37
; %bb.34:                               ;   in Loop: Header=BB169_30 Depth=3
	v_mov_b32_e32 v35, s18
	ds_cmpst_rtn_b32 v34, v34, v35, v26
	s_mov_b64 s[42:43], -1
	s_waitcnt lgkmcnt(0)
	v_cmp_eq_u32_e32 vcc, s18, v34
	s_and_saveexec_b64 s[44:45], vcc
	s_cbranch_execz .LBB169_36
; %bb.35:                               ;   in Loop: Header=BB169_30 Depth=3
	v_lshl_add_u32 v34, v33, 4, v19
	ds_add_f32 v34, v32
	s_xor_b64 s[42:43], exec, -1
.LBB169_36:                             ;   in Loop: Header=BB169_30 Depth=3
	s_or_b64 exec, exec, s[44:45]
	s_andn2_b64 s[38:39], s[38:39], exec
	s_and_b64 s[42:43], s[42:43], exec
	s_or_b64 s[38:39], s[38:39], s[42:43]
.LBB169_37:                             ;   in Loop: Header=BB169_30 Depth=3
	s_or_b64 exec, exec, s[40:41]
	s_and_b64 s[38:39], s[38:39], exec
.LBB169_38:                             ;   in Loop: Header=BB169_30 Depth=3
	s_andn2_saveexec_b64 s[36:37], s[36:37]
	s_cbranch_execz .LBB169_29
; %bb.39:                               ;   in Loop: Header=BB169_30 Depth=3
	v_lshl_add_u32 v34, v33, 4, v19
	ds_add_f32 v34, v32
	s_andn2_b64 s[38:39], s[38:39], exec
	s_branch .LBB169_29
.LBB169_40:                             ;   in Loop: Header=BB169_16 Depth=2
	s_or_b64 exec, exec, s[34:35]
	v_mul_f32_e32 v31, v10, v31
	v_fmac_f32_e32 v31, v11, v30
	s_mov_b64 s[34:35], 0
	v_mov_b32_e32 v30, v27
	s_branch .LBB169_42
.LBB169_41:                             ;   in Loop: Header=BB169_42 Depth=3
	s_or_b64 exec, exec, s[36:37]
	s_xor_b64 s[36:37], s[38:39], -1
	s_and_b64 s[36:37], exec, s[36:37]
	s_or_b64 s[34:35], s[36:37], s[34:35]
	s_andn2_b64 exec, exec, s[34:35]
	s_cbranch_execz .LBB169_52
.LBB169_42:                             ;   Parent Loop BB169_13 Depth=1
                                        ;     Parent Loop BB169_16 Depth=2
                                        ; =>    This Inner Loop Header: Depth=3
	v_lshl_add_u32 v32, v30, 2, v12
	ds_read_b32 v33, v32
                                        ; implicit-def: $sgpr38_sgpr39
	s_waitcnt lgkmcnt(0)
	v_cmp_ne_u32_e32 vcc, v33, v26
	s_and_saveexec_b64 s[36:37], vcc
	s_xor_b64 s[36:37], exec, s[36:37]
	s_cbranch_execz .LBB169_50
; %bb.43:                               ;   in Loop: Header=BB169_42 Depth=3
	v_cmp_ne_u32_e32 vcc, s18, v33
                                        ; implicit-def: $sgpr38_sgpr39
	s_and_saveexec_b64 s[40:41], vcc
	s_xor_b64 s[40:41], exec, s[40:41]
; %bb.44:                               ;   in Loop: Header=BB169_42 Depth=3
	v_add_u32_e32 v30, 1, v30
	v_and_b32_e32 v30, 31, v30
	s_mov_b64 s[38:39], -1
                                        ; implicit-def: $vgpr32
; %bb.45:                               ;   in Loop: Header=BB169_42 Depth=3
	s_andn2_saveexec_b64 s[40:41], s[40:41]
	s_cbranch_execz .LBB169_49
; %bb.46:                               ;   in Loop: Header=BB169_42 Depth=3
	v_mov_b32_e32 v33, s18
	ds_cmpst_rtn_b32 v32, v32, v33, v26
	s_mov_b64 s[42:43], -1
	s_waitcnt lgkmcnt(0)
	v_cmp_eq_u32_e32 vcc, s18, v32
	s_and_saveexec_b64 s[44:45], vcc
	s_cbranch_execz .LBB169_48
; %bb.47:                               ;   in Loop: Header=BB169_42 Depth=3
	v_lshl_add_u32 v32, v30, 4, v20
	ds_add_f32 v32, v31
	s_xor_b64 s[42:43], exec, -1
.LBB169_48:                             ;   in Loop: Header=BB169_42 Depth=3
	s_or_b64 exec, exec, s[44:45]
	s_andn2_b64 s[38:39], s[38:39], exec
	s_and_b64 s[42:43], s[42:43], exec
	s_or_b64 s[38:39], s[38:39], s[42:43]
.LBB169_49:                             ;   in Loop: Header=BB169_42 Depth=3
	s_or_b64 exec, exec, s[40:41]
	s_and_b64 s[38:39], s[38:39], exec
.LBB169_50:                             ;   in Loop: Header=BB169_42 Depth=3
	s_andn2_saveexec_b64 s[36:37], s[36:37]
	s_cbranch_execz .LBB169_41
; %bb.51:                               ;   in Loop: Header=BB169_42 Depth=3
	v_lshl_add_u32 v32, v30, 4, v20
	ds_add_f32 v32, v31
	s_andn2_b64 s[38:39], s[38:39], exec
	s_branch .LBB169_41
.LBB169_52:                             ;   in Loop: Header=BB169_16 Depth=2
	s_or_b64 exec, exec, s[34:35]
	v_mul_f32_e32 v29, v10, v29
	v_fmac_f32_e32 v29, v11, v28
	s_mov_b64 s[34:35], 0
	s_branch .LBB169_54
.LBB169_53:                             ;   in Loop: Header=BB169_54 Depth=3
	s_or_b64 exec, exec, s[36:37]
	s_xor_b64 s[36:37], s[38:39], -1
	s_and_b64 s[36:37], exec, s[36:37]
	s_or_b64 s[34:35], s[36:37], s[34:35]
	s_andn2_b64 exec, exec, s[34:35]
	s_cbranch_execz .LBB169_15
.LBB169_54:                             ;   Parent Loop BB169_13 Depth=1
                                        ;     Parent Loop BB169_16 Depth=2
                                        ; =>    This Inner Loop Header: Depth=3
	v_lshl_add_u32 v28, v27, 2, v12
	ds_read_b32 v30, v28
                                        ; implicit-def: $sgpr38_sgpr39
	s_waitcnt lgkmcnt(0)
	v_cmp_ne_u32_e32 vcc, v30, v26
	s_and_saveexec_b64 s[36:37], vcc
	s_xor_b64 s[36:37], exec, s[36:37]
	s_cbranch_execz .LBB169_62
; %bb.55:                               ;   in Loop: Header=BB169_54 Depth=3
	v_cmp_ne_u32_e32 vcc, s18, v30
                                        ; implicit-def: $sgpr38_sgpr39
	s_and_saveexec_b64 s[40:41], vcc
	s_xor_b64 s[40:41], exec, s[40:41]
; %bb.56:                               ;   in Loop: Header=BB169_54 Depth=3
	v_add_u32_e32 v27, 1, v27
	v_and_b32_e32 v27, 31, v27
	s_mov_b64 s[38:39], -1
                                        ; implicit-def: $vgpr28
; %bb.57:                               ;   in Loop: Header=BB169_54 Depth=3
	s_andn2_saveexec_b64 s[40:41], s[40:41]
	s_cbranch_execz .LBB169_61
; %bb.58:                               ;   in Loop: Header=BB169_54 Depth=3
	v_mov_b32_e32 v30, s18
	ds_cmpst_rtn_b32 v28, v28, v30, v26
	s_mov_b64 s[42:43], -1
	s_waitcnt lgkmcnt(0)
	v_cmp_eq_u32_e32 vcc, s18, v28
	s_and_saveexec_b64 s[44:45], vcc
	s_cbranch_execz .LBB169_60
; %bb.59:                               ;   in Loop: Header=BB169_54 Depth=3
	v_lshl_add_u32 v28, v27, 4, v21
	ds_add_f32 v28, v29
	s_xor_b64 s[42:43], exec, -1
.LBB169_60:                             ;   in Loop: Header=BB169_54 Depth=3
	s_or_b64 exec, exec, s[44:45]
	s_andn2_b64 s[38:39], s[38:39], exec
	s_and_b64 s[42:43], s[42:43], exec
	s_or_b64 s[38:39], s[38:39], s[42:43]
.LBB169_61:                             ;   in Loop: Header=BB169_54 Depth=3
	s_or_b64 exec, exec, s[40:41]
	s_and_b64 s[38:39], s[38:39], exec
.LBB169_62:                             ;   in Loop: Header=BB169_54 Depth=3
	s_andn2_saveexec_b64 s[36:37], s[36:37]
	s_cbranch_execz .LBB169_53
; %bb.63:                               ;   in Loop: Header=BB169_54 Depth=3
	v_lshl_add_u32 v28, v27, 4, v21
	ds_add_f32 v28, v29
	s_andn2_b64 s[38:39], s[38:39], exec
	s_branch .LBB169_53
.LBB169_64:
	s_or_b64 exec, exec, s[2:3]
.LBB169_65:
	s_load_dwordx4 s[8:11], s[4:5], 0x80
	s_andn2_b64 vcc, exec, s[0:1]
	s_waitcnt lgkmcnt(0)
	s_cbranch_vccnz .LBB169_118
; %bb.66:
	s_load_dwordx2 s[0:1], s[4:5], 0x60
	s_waitcnt lgkmcnt(0)
	v_mov_b32_e32 v1, s1
	v_add_co_u32_e32 v0, vcc, s0, v4
	v_addc_co_u32_e32 v1, vcc, v1, v5, vcc
	global_load_dwordx4 v[6:9], v[0:1], off
	v_subrev_co_u32_e32 v2, vcc, s23, v14
	v_subb_co_u32_e64 v3, s[0:1], 0, 0, vcc
	s_waitcnt vmcnt(0)
	v_subrev_co_u32_e32 v0, vcc, s23, v8
	v_subbrev_co_u32_e32 v1, vcc, 0, v9, vcc
	v_add_co_u32_e32 v2, vcc, v6, v2
	v_addc_co_u32_e32 v3, vcc, v7, v3, vcc
	v_cmp_lt_i64_e32 vcc, v[2:3], v[0:1]
	s_and_saveexec_b64 s[12:13], vcc
	s_cbranch_execz .LBB169_117
; %bb.67:
	s_load_dwordx4 s[0:3], s[4:5], 0x68
	s_cmp_eq_u32 s16, 0
	s_cselect_b32 s17, 1, 2
	s_cselect_b32 s19, 2, 1
	v_add_u32_e32 v6, 4, v17
	v_add_u32_e32 v7, 8, v17
	;; [unrolled: 1-line block ×3, first 2 shown]
	s_mov_b64 s[4:5], 0
	s_waitcnt lgkmcnt(0)
	v_mov_b32_e32 v9, s3
	v_mov_b32_e32 v10, s1
	s_branch .LBB169_69
.LBB169_68:                             ;   in Loop: Header=BB169_69 Depth=1
	s_or_b64 exec, exec, s[14:15]
	v_add_co_u32_e32 v2, vcc, 16, v2
	v_addc_co_u32_e32 v3, vcc, 0, v3, vcc
	v_cmp_ge_i64_e32 vcc, v[2:3], v[0:1]
	s_or_b64 s[4:5], vcc, s[4:5]
	s_andn2_b64 exec, exec, s[4:5]
	s_cbranch_execz .LBB169_117
.LBB169_69:                             ; =>This Loop Header: Depth=1
                                        ;     Child Loop BB169_71 Depth 2
                                        ;     Child Loop BB169_83 Depth 2
                                        ;     Child Loop BB169_95 Depth 2
                                        ;     Child Loop BB169_107 Depth 2
	v_lshlrev_b64 v[18:19], 2, v[2:3]
	v_lshlrev_b64 v[24:25], 4, v[2:3]
	v_or_b32_e32 v21, 0, v19
	v_or_b32_e32 v20, s17, v18
	v_add_co_u32_e32 v24, vcc, s2, v24
	v_addc_co_u32_e32 v25, vcc, v9, v25, vcc
	v_lshlrev_b64 v[20:21], 2, v[20:21]
	v_add_co_u32_e32 v26, vcc, s2, v20
	v_addc_co_u32_e32 v27, vcc, v9, v21, vcc
	v_or_b32_e32 v22, s19, v18
	v_add_co_u32_e32 v18, vcc, s0, v18
	v_or_b32_e32 v23, 0, v19
	v_addc_co_u32_e32 v19, vcc, v10, v19, vcc
	global_load_dword v11, v[24:25], off
	v_lshlrev_b64 v[20:21], 2, v[22:23]
	global_load_dword v18, v[18:19], off
	v_add_co_u32_e32 v22, vcc, s2, v20
	v_addc_co_u32_e32 v23, vcc, v9, v21, vcc
	global_load_dword v20, v[22:23], off
	global_load_dword v21, v[26:27], off
	global_load_dword v19, v[24:25], off offset:12
	s_mov_b64 s[14:15], 0
	s_waitcnt vmcnt(4)
	v_mul_f32_e32 v22, v16, v11
	s_waitcnt vmcnt(3)
	v_subrev_u32_e32 v11, s23, v18
	v_lshl_add_u32 v18, v11, 3, v11
	v_and_b32_e32 v18, 31, v18
	v_mov_b32_e32 v23, v18
	s_branch .LBB169_71
.LBB169_70:                             ;   in Loop: Header=BB169_71 Depth=2
	s_or_b64 exec, exec, s[20:21]
	s_xor_b64 s[20:21], s[24:25], -1
	s_and_b64 s[20:21], exec, s[20:21]
	s_or_b64 s[14:15], s[20:21], s[14:15]
	s_andn2_b64 exec, exec, s[14:15]
	s_cbranch_execz .LBB169_81
.LBB169_71:                             ;   Parent Loop BB169_69 Depth=1
                                        ; =>  This Inner Loop Header: Depth=2
	v_lshl_add_u32 v24, v23, 2, v12
	ds_read_b32 v25, v24
                                        ; implicit-def: $sgpr24_sgpr25
	s_waitcnt lgkmcnt(0)
	v_cmp_ne_u32_e32 vcc, v25, v11
	s_and_saveexec_b64 s[20:21], vcc
	s_xor_b64 s[20:21], exec, s[20:21]
	s_cbranch_execz .LBB169_79
; %bb.72:                               ;   in Loop: Header=BB169_71 Depth=2
	v_cmp_ne_u32_e32 vcc, s18, v25
                                        ; implicit-def: $sgpr24_sgpr25
	s_and_saveexec_b64 s[26:27], vcc
	s_xor_b64 s[26:27], exec, s[26:27]
; %bb.73:                               ;   in Loop: Header=BB169_71 Depth=2
	v_add_u32_e32 v23, 1, v23
	v_and_b32_e32 v23, 31, v23
	s_mov_b64 s[24:25], -1
                                        ; implicit-def: $vgpr24
; %bb.74:                               ;   in Loop: Header=BB169_71 Depth=2
	s_andn2_saveexec_b64 s[26:27], s[26:27]
	s_cbranch_execz .LBB169_78
; %bb.75:                               ;   in Loop: Header=BB169_71 Depth=2
	v_mov_b32_e32 v25, s18
	ds_cmpst_rtn_b32 v24, v24, v25, v11
	s_mov_b64 s[28:29], -1
	s_waitcnt lgkmcnt(0)
	v_cmp_eq_u32_e32 vcc, s18, v24
	s_and_saveexec_b64 s[30:31], vcc
	s_cbranch_execz .LBB169_77
; %bb.76:                               ;   in Loop: Header=BB169_71 Depth=2
	v_lshl_add_u32 v24, v23, 4, v17
	ds_add_f32 v24, v22
	s_xor_b64 s[28:29], exec, -1
.LBB169_77:                             ;   in Loop: Header=BB169_71 Depth=2
	s_or_b64 exec, exec, s[30:31]
	s_andn2_b64 s[24:25], s[24:25], exec
	s_and_b64 s[28:29], s[28:29], exec
	s_or_b64 s[24:25], s[24:25], s[28:29]
.LBB169_78:                             ;   in Loop: Header=BB169_71 Depth=2
	s_or_b64 exec, exec, s[26:27]
	s_and_b64 s[24:25], s[24:25], exec
.LBB169_79:                             ;   in Loop: Header=BB169_71 Depth=2
	s_andn2_saveexec_b64 s[20:21], s[20:21]
	s_cbranch_execz .LBB169_70
; %bb.80:                               ;   in Loop: Header=BB169_71 Depth=2
	v_lshl_add_u32 v24, v23, 4, v17
	ds_add_f32 v24, v22
	s_andn2_b64 s[24:25], s[24:25], exec
	s_branch .LBB169_70
.LBB169_81:                             ;   in Loop: Header=BB169_69 Depth=1
	s_or_b64 exec, exec, s[14:15]
	s_waitcnt vmcnt(1)
	v_mul_f32_e32 v21, v16, v21
	s_mov_b64 s[14:15], 0
	v_mov_b32_e32 v22, v18
	s_branch .LBB169_83
.LBB169_82:                             ;   in Loop: Header=BB169_83 Depth=2
	s_or_b64 exec, exec, s[20:21]
	s_xor_b64 s[20:21], s[24:25], -1
	s_and_b64 s[20:21], exec, s[20:21]
	s_or_b64 s[14:15], s[20:21], s[14:15]
	s_andn2_b64 exec, exec, s[14:15]
	s_cbranch_execz .LBB169_93
.LBB169_83:                             ;   Parent Loop BB169_69 Depth=1
                                        ; =>  This Inner Loop Header: Depth=2
	v_lshl_add_u32 v23, v22, 2, v12
	ds_read_b32 v24, v23
                                        ; implicit-def: $sgpr24_sgpr25
	s_waitcnt lgkmcnt(0)
	v_cmp_ne_u32_e32 vcc, v24, v11
	s_and_saveexec_b64 s[20:21], vcc
	s_xor_b64 s[20:21], exec, s[20:21]
	s_cbranch_execz .LBB169_91
; %bb.84:                               ;   in Loop: Header=BB169_83 Depth=2
	v_cmp_ne_u32_e32 vcc, s18, v24
                                        ; implicit-def: $sgpr24_sgpr25
	s_and_saveexec_b64 s[26:27], vcc
	s_xor_b64 s[26:27], exec, s[26:27]
; %bb.85:                               ;   in Loop: Header=BB169_83 Depth=2
	v_add_u32_e32 v22, 1, v22
	v_and_b32_e32 v22, 31, v22
	s_mov_b64 s[24:25], -1
                                        ; implicit-def: $vgpr23
; %bb.86:                               ;   in Loop: Header=BB169_83 Depth=2
	s_andn2_saveexec_b64 s[26:27], s[26:27]
	s_cbranch_execz .LBB169_90
; %bb.87:                               ;   in Loop: Header=BB169_83 Depth=2
	v_mov_b32_e32 v24, s18
	ds_cmpst_rtn_b32 v23, v23, v24, v11
	s_mov_b64 s[28:29], -1
	s_waitcnt lgkmcnt(0)
	v_cmp_eq_u32_e32 vcc, s18, v23
	s_and_saveexec_b64 s[30:31], vcc
	s_cbranch_execz .LBB169_89
; %bb.88:                               ;   in Loop: Header=BB169_83 Depth=2
	v_lshl_add_u32 v23, v22, 4, v6
	ds_add_f32 v23, v21
	s_xor_b64 s[28:29], exec, -1
.LBB169_89:                             ;   in Loop: Header=BB169_83 Depth=2
	s_or_b64 exec, exec, s[30:31]
	s_andn2_b64 s[24:25], s[24:25], exec
	s_and_b64 s[28:29], s[28:29], exec
	s_or_b64 s[24:25], s[24:25], s[28:29]
.LBB169_90:                             ;   in Loop: Header=BB169_83 Depth=2
	s_or_b64 exec, exec, s[26:27]
	s_and_b64 s[24:25], s[24:25], exec
.LBB169_91:                             ;   in Loop: Header=BB169_83 Depth=2
	s_andn2_saveexec_b64 s[20:21], s[20:21]
	s_cbranch_execz .LBB169_82
; %bb.92:                               ;   in Loop: Header=BB169_83 Depth=2
	v_lshl_add_u32 v23, v22, 4, v6
	ds_add_f32 v23, v21
	s_andn2_b64 s[24:25], s[24:25], exec
	s_branch .LBB169_82
.LBB169_93:                             ;   in Loop: Header=BB169_69 Depth=1
	s_or_b64 exec, exec, s[14:15]
	v_mul_f32_e32 v20, v16, v20
	s_mov_b64 s[14:15], 0
	v_mov_b32_e32 v21, v18
	s_branch .LBB169_95
.LBB169_94:                             ;   in Loop: Header=BB169_95 Depth=2
	s_or_b64 exec, exec, s[20:21]
	s_xor_b64 s[20:21], s[24:25], -1
	s_and_b64 s[20:21], exec, s[20:21]
	s_or_b64 s[14:15], s[20:21], s[14:15]
	s_andn2_b64 exec, exec, s[14:15]
	s_cbranch_execz .LBB169_105
.LBB169_95:                             ;   Parent Loop BB169_69 Depth=1
                                        ; =>  This Inner Loop Header: Depth=2
	v_lshl_add_u32 v22, v21, 2, v12
	ds_read_b32 v23, v22
                                        ; implicit-def: $sgpr24_sgpr25
	s_waitcnt lgkmcnt(0)
	v_cmp_ne_u32_e32 vcc, v23, v11
	s_and_saveexec_b64 s[20:21], vcc
	s_xor_b64 s[20:21], exec, s[20:21]
	s_cbranch_execz .LBB169_103
; %bb.96:                               ;   in Loop: Header=BB169_95 Depth=2
	v_cmp_ne_u32_e32 vcc, s18, v23
                                        ; implicit-def: $sgpr24_sgpr25
	s_and_saveexec_b64 s[26:27], vcc
	s_xor_b64 s[26:27], exec, s[26:27]
; %bb.97:                               ;   in Loop: Header=BB169_95 Depth=2
	v_add_u32_e32 v21, 1, v21
	v_and_b32_e32 v21, 31, v21
	s_mov_b64 s[24:25], -1
                                        ; implicit-def: $vgpr22
; %bb.98:                               ;   in Loop: Header=BB169_95 Depth=2
	s_andn2_saveexec_b64 s[26:27], s[26:27]
	s_cbranch_execz .LBB169_102
; %bb.99:                               ;   in Loop: Header=BB169_95 Depth=2
	v_mov_b32_e32 v23, s18
	ds_cmpst_rtn_b32 v22, v22, v23, v11
	s_mov_b64 s[28:29], -1
	s_waitcnt lgkmcnt(0)
	v_cmp_eq_u32_e32 vcc, s18, v22
	s_and_saveexec_b64 s[30:31], vcc
	s_cbranch_execz .LBB169_101
; %bb.100:                              ;   in Loop: Header=BB169_95 Depth=2
	v_lshl_add_u32 v22, v21, 4, v7
	ds_add_f32 v22, v20
	s_xor_b64 s[28:29], exec, -1
.LBB169_101:                            ;   in Loop: Header=BB169_95 Depth=2
	s_or_b64 exec, exec, s[30:31]
	s_andn2_b64 s[24:25], s[24:25], exec
	s_and_b64 s[28:29], s[28:29], exec
	s_or_b64 s[24:25], s[24:25], s[28:29]
.LBB169_102:                            ;   in Loop: Header=BB169_95 Depth=2
	s_or_b64 exec, exec, s[26:27]
	s_and_b64 s[24:25], s[24:25], exec
.LBB169_103:                            ;   in Loop: Header=BB169_95 Depth=2
	s_andn2_saveexec_b64 s[20:21], s[20:21]
	s_cbranch_execz .LBB169_94
; %bb.104:                              ;   in Loop: Header=BB169_95 Depth=2
	v_lshl_add_u32 v22, v21, 4, v7
	ds_add_f32 v22, v20
	s_andn2_b64 s[24:25], s[24:25], exec
	s_branch .LBB169_94
.LBB169_105:                            ;   in Loop: Header=BB169_69 Depth=1
	s_or_b64 exec, exec, s[14:15]
	s_waitcnt vmcnt(0)
	v_mul_f32_e32 v19, v16, v19
	s_mov_b64 s[14:15], 0
	s_branch .LBB169_107
.LBB169_106:                            ;   in Loop: Header=BB169_107 Depth=2
	s_or_b64 exec, exec, s[20:21]
	s_xor_b64 s[20:21], s[24:25], -1
	s_and_b64 s[20:21], exec, s[20:21]
	s_or_b64 s[14:15], s[20:21], s[14:15]
	s_andn2_b64 exec, exec, s[14:15]
	s_cbranch_execz .LBB169_68
.LBB169_107:                            ;   Parent Loop BB169_69 Depth=1
                                        ; =>  This Inner Loop Header: Depth=2
	v_lshl_add_u32 v20, v18, 2, v12
	ds_read_b32 v21, v20
                                        ; implicit-def: $sgpr24_sgpr25
	s_waitcnt lgkmcnt(0)
	v_cmp_ne_u32_e32 vcc, v21, v11
	s_and_saveexec_b64 s[20:21], vcc
	s_xor_b64 s[20:21], exec, s[20:21]
	s_cbranch_execz .LBB169_115
; %bb.108:                              ;   in Loop: Header=BB169_107 Depth=2
	v_cmp_ne_u32_e32 vcc, s18, v21
                                        ; implicit-def: $sgpr24_sgpr25
	s_and_saveexec_b64 s[26:27], vcc
	s_xor_b64 s[26:27], exec, s[26:27]
; %bb.109:                              ;   in Loop: Header=BB169_107 Depth=2
	v_add_u32_e32 v18, 1, v18
	v_and_b32_e32 v18, 31, v18
	s_mov_b64 s[24:25], -1
                                        ; implicit-def: $vgpr20
; %bb.110:                              ;   in Loop: Header=BB169_107 Depth=2
	s_andn2_saveexec_b64 s[26:27], s[26:27]
	s_cbranch_execz .LBB169_114
; %bb.111:                              ;   in Loop: Header=BB169_107 Depth=2
	v_mov_b32_e32 v21, s18
	ds_cmpst_rtn_b32 v20, v20, v21, v11
	s_mov_b64 s[28:29], -1
	s_waitcnt lgkmcnt(0)
	v_cmp_eq_u32_e32 vcc, s18, v20
	s_and_saveexec_b64 s[30:31], vcc
	s_cbranch_execz .LBB169_113
; %bb.112:                              ;   in Loop: Header=BB169_107 Depth=2
	v_lshl_add_u32 v20, v18, 4, v8
	ds_add_f32 v20, v19
	s_xor_b64 s[28:29], exec, -1
.LBB169_113:                            ;   in Loop: Header=BB169_107 Depth=2
	s_or_b64 exec, exec, s[30:31]
	s_andn2_b64 s[24:25], s[24:25], exec
	s_and_b64 s[28:29], s[28:29], exec
	s_or_b64 s[24:25], s[24:25], s[28:29]
.LBB169_114:                            ;   in Loop: Header=BB169_107 Depth=2
	s_or_b64 exec, exec, s[26:27]
	s_and_b64 s[24:25], s[24:25], exec
.LBB169_115:                            ;   in Loop: Header=BB169_107 Depth=2
	s_andn2_saveexec_b64 s[20:21], s[20:21]
	s_cbranch_execz .LBB169_106
; %bb.116:                              ;   in Loop: Header=BB169_107 Depth=2
	v_lshl_add_u32 v20, v18, 4, v8
	ds_add_f32 v20, v19
	s_andn2_b64 s[24:25], s[24:25], exec
	s_branch .LBB169_106
.LBB169_117:
	s_or_b64 exec, exec, s[12:13]
.LBB169_118:
	v_mov_b32_e32 v1, s7
	v_add_co_u32_e32 v0, vcc, s6, v4
	v_addc_co_u32_e32 v1, vcc, v1, v5, vcc
	s_waitcnt lgkmcnt(0)
	global_load_dwordx2 v[4:5], v[0:1], off
	s_cmp_eq_u32 s16, 0
	v_lshlrev_b32_e32 v1, 4, v14
	v_lshl_add_u32 v2, v14, 2, v15
	v_or_b32_e32 v0, -16, v14
	s_cselect_b32 s4, 4, 8
	s_cselect_b32 s5, 8, 4
	v_lshl_or_b32 v1, v13, 9, v1
	v_or_b32_e32 v2, 0x2000, v2
	s_mov_b64 s[0:1], 0
	s_waitcnt vmcnt(0)
	v_subrev_co_u32_e32 v3, vcc, s22, v4
	v_subbrev_co_u32_e32 v4, vcc, 0, v5, vcc
	s_branch .LBB169_120
.LBB169_119:                            ;   in Loop: Header=BB169_120 Depth=1
	s_or_b64 exec, exec, s[2:3]
	v_add_co_u32_e32 v0, vcc, 16, v0
	s_xor_b64 s[2:3], vcc, -1
	s_and_b64 s[2:3], exec, s[2:3]
	v_add_u32_e32 v1, 0x100, v1
	s_or_b64 s[0:1], s[2:3], s[0:1]
	v_add_u32_e32 v2, 64, v2
	s_andn2_b64 exec, exec, s[0:1]
	s_cbranch_execz .LBB169_122
.LBB169_120:                            ; =>This Inner Loop Header: Depth=1
	ds_read_b32 v5, v2
	s_waitcnt lgkmcnt(0)
	v_cmp_gt_i32_e32 vcc, s18, v5
	s_and_saveexec_b64 s[2:3], vcc
	s_cbranch_execz .LBB169_119
; %bb.121:                              ;   in Loop: Header=BB169_120 Depth=1
	ds_read_b128 v[6:9], v12
	ds_read_b128 v[14:17], v12 offset:16
	ds_read_b128 v[18:21], v12 offset:32
	;; [unrolled: 1-line block ×3, first 2 shown]
	s_waitcnt lgkmcnt(3)
	v_cmp_gt_i32_e32 vcc, v5, v6
	v_cndmask_b32_e64 v6, 0, 1, vcc
	v_add_co_u32_e32 v6, vcc, v3, v6
	v_addc_co_u32_e32 v10, vcc, 0, v4, vcc
	v_cmp_gt_i32_e32 vcc, v5, v7
	v_cndmask_b32_e64 v7, 0, 1, vcc
	v_add_co_u32_e32 v6, vcc, v6, v7
	v_addc_co_u32_e32 v7, vcc, 0, v10, vcc
	v_cmp_gt_i32_e32 vcc, v5, v8
	v_cndmask_b32_e64 v8, 0, 1, vcc
	v_add_co_u32_e32 v6, vcc, v6, v8
	v_addc_co_u32_e32 v7, vcc, 0, v7, vcc
	v_cmp_gt_i32_e32 vcc, v5, v9
	v_cndmask_b32_e64 v8, 0, 1, vcc
	v_add_co_u32_e32 v6, vcc, v6, v8
	v_addc_co_u32_e32 v7, vcc, 0, v7, vcc
	s_waitcnt lgkmcnt(2)
	v_cmp_gt_i32_e32 vcc, v5, v14
	v_cndmask_b32_e64 v8, 0, 1, vcc
	v_add_co_u32_e32 v6, vcc, v6, v8
	v_addc_co_u32_e32 v7, vcc, 0, v7, vcc
	v_cmp_gt_i32_e32 vcc, v5, v15
	v_cndmask_b32_e64 v8, 0, 1, vcc
	v_add_co_u32_e32 v6, vcc, v6, v8
	v_addc_co_u32_e32 v7, vcc, 0, v7, vcc
	v_cmp_gt_i32_e32 vcc, v5, v16
	v_cndmask_b32_e64 v8, 0, 1, vcc
	v_add_co_u32_e32 v6, vcc, v6, v8
	v_addc_co_u32_e32 v7, vcc, 0, v7, vcc
	v_cmp_gt_i32_e32 vcc, v5, v17
	v_cndmask_b32_e64 v8, 0, 1, vcc
	v_add_co_u32_e32 v6, vcc, v6, v8
	v_addc_co_u32_e32 v7, vcc, 0, v7, vcc
	;; [unrolled: 17-line block ×3, first 2 shown]
	s_waitcnt lgkmcnt(0)
	v_cmp_gt_i32_e32 vcc, v5, v22
	v_cndmask_b32_e64 v8, 0, 1, vcc
	v_add_co_u32_e32 v6, vcc, v6, v8
	v_addc_co_u32_e32 v7, vcc, 0, v7, vcc
	v_cmp_gt_i32_e32 vcc, v5, v23
	v_cndmask_b32_e64 v8, 0, 1, vcc
	v_add_co_u32_e32 v6, vcc, v6, v8
	v_addc_co_u32_e32 v7, vcc, 0, v7, vcc
	;; [unrolled: 4-line block ×3, first 2 shown]
	ds_read_b128 v[6:9], v12 offset:64
	ds_read_b128 v[14:17], v12 offset:80
	v_cmp_gt_i32_e32 vcc, v5, v25
	v_cndmask_b32_e64 v13, 0, 1, vcc
	v_add_co_u32_e32 v10, vcc, v10, v13
	v_addc_co_u32_e32 v11, vcc, 0, v11, vcc
	s_waitcnt lgkmcnt(1)
	v_cmp_gt_i32_e32 vcc, v5, v6
	v_cndmask_b32_e64 v6, 0, 1, vcc
	v_add_co_u32_e32 v6, vcc, v10, v6
	v_addc_co_u32_e32 v10, vcc, 0, v11, vcc
	v_cmp_gt_i32_e32 vcc, v5, v7
	v_cndmask_b32_e64 v7, 0, 1, vcc
	v_add_co_u32_e32 v6, vcc, v6, v7
	v_addc_co_u32_e32 v7, vcc, 0, v10, vcc
	;; [unrolled: 4-line block ×4, first 2 shown]
	s_waitcnt lgkmcnt(0)
	v_cmp_gt_i32_e32 vcc, v5, v14
	v_cndmask_b32_e64 v8, 0, 1, vcc
	v_add_co_u32_e32 v6, vcc, v6, v8
	v_addc_co_u32_e32 v7, vcc, 0, v7, vcc
	v_cmp_gt_i32_e32 vcc, v5, v15
	v_cndmask_b32_e64 v8, 0, 1, vcc
	v_add_co_u32_e32 v6, vcc, v6, v8
	v_addc_co_u32_e32 v7, vcc, 0, v7, vcc
	;; [unrolled: 4-line block ×3, first 2 shown]
	ds_read_b128 v[6:9], v12 offset:96
	v_cmp_gt_i32_e32 vcc, v5, v17
	ds_read_b128 v[14:17], v12 offset:112
	v_cndmask_b32_e64 v13, 0, 1, vcc
	v_add_co_u32_e32 v10, vcc, v10, v13
	v_addc_co_u32_e32 v11, vcc, 0, v11, vcc
	s_waitcnt lgkmcnt(1)
	v_cmp_gt_i32_e32 vcc, v5, v6
	v_cndmask_b32_e64 v6, 0, 1, vcc
	v_add_co_u32_e32 v6, vcc, v10, v6
	v_addc_co_u32_e32 v10, vcc, 0, v11, vcc
	v_cmp_gt_i32_e32 vcc, v5, v7
	v_cndmask_b32_e64 v7, 0, 1, vcc
	v_add_co_u32_e32 v6, vcc, v6, v7
	v_addc_co_u32_e32 v7, vcc, 0, v10, vcc
	;; [unrolled: 4-line block ×4, first 2 shown]
	s_waitcnt lgkmcnt(0)
	v_cmp_gt_i32_e32 vcc, v5, v14
	v_cndmask_b32_e64 v8, 0, 1, vcc
	v_add_co_u32_e32 v6, vcc, v6, v8
	v_addc_co_u32_e32 v7, vcc, 0, v7, vcc
	v_cmp_gt_i32_e32 vcc, v5, v15
	v_cndmask_b32_e64 v8, 0, 1, vcc
	v_add_co_u32_e32 v6, vcc, v6, v8
	v_addc_co_u32_e32 v7, vcc, 0, v7, vcc
	;; [unrolled: 4-line block ×4, first 2 shown]
	v_lshlrev_b64 v[8:9], 2, v[6:7]
	v_mov_b32_e32 v10, s9
	v_add_co_u32_e32 v8, vcc, s8, v8
	v_add_u32_e32 v5, s22, v5
	v_addc_co_u32_e32 v9, vcc, v10, v9, vcc
	global_store_dword v[8:9], v5, off
	v_lshlrev_b64 v[10:11], 4, v[6:7]
	v_add_u32_e32 v6, s4, v1
	v_add_u32_e32 v8, s5, v1
	ds_read_b32 v7, v6
	ds_read_b32 v8, v8
	ds_read2_b32 v[14:15], v1 offset1:3
	v_mov_b32_e32 v5, s11
	v_add_co_u32_e32 v10, vcc, s10, v10
	v_addc_co_u32_e32 v11, vcc, v5, v11, vcc
	s_waitcnt lgkmcnt(0)
	v_mov_b32_e32 v6, v14
	v_mov_b32_e32 v9, v15
	global_store_dwordx4 v[10:11], v[6:9], off
	s_branch .LBB169_119
.LBB169_122:
	s_endpgm
	.section	.rodata,"a",@progbits
	.p2align	6, 0x0
	.amdhsa_kernel _ZN9rocsparseL27bsrgemm_fill_wf_per_row_2x2ILj256ELj16ELj32ELj137ElifEEv20rocsparse_direction_T4_S2_PKS2_S4_NS_24const_host_device_scalarIT5_EEPKT3_S4_PKS6_SA_S4_SC_S7_SA_S4_SC_SA_PS2_PS6_21rocsparse_index_base_SF_SF_SF_bbb
		.amdhsa_group_segment_fixed_size 10240
		.amdhsa_private_segment_fixed_size 0
		.amdhsa_kernarg_size 164
		.amdhsa_user_sgpr_count 6
		.amdhsa_user_sgpr_private_segment_buffer 1
		.amdhsa_user_sgpr_dispatch_ptr 0
		.amdhsa_user_sgpr_queue_ptr 0
		.amdhsa_user_sgpr_kernarg_segment_ptr 1
		.amdhsa_user_sgpr_dispatch_id 0
		.amdhsa_user_sgpr_flat_scratch_init 0
		.amdhsa_user_sgpr_kernarg_preload_length 0
		.amdhsa_user_sgpr_kernarg_preload_offset 0
		.amdhsa_user_sgpr_private_segment_size 0
		.amdhsa_uses_dynamic_stack 0
		.amdhsa_system_sgpr_private_segment_wavefront_offset 0
		.amdhsa_system_sgpr_workgroup_id_x 1
		.amdhsa_system_sgpr_workgroup_id_y 0
		.amdhsa_system_sgpr_workgroup_id_z 0
		.amdhsa_system_sgpr_workgroup_info 0
		.amdhsa_system_vgpr_workitem_id 0
		.amdhsa_next_free_vgpr 36
		.amdhsa_next_free_sgpr 47
		.amdhsa_accum_offset 36
		.amdhsa_reserve_vcc 1
		.amdhsa_reserve_flat_scratch 0
		.amdhsa_float_round_mode_32 0
		.amdhsa_float_round_mode_16_64 0
		.amdhsa_float_denorm_mode_32 3
		.amdhsa_float_denorm_mode_16_64 3
		.amdhsa_dx10_clamp 1
		.amdhsa_ieee_mode 1
		.amdhsa_fp16_overflow 0
		.amdhsa_tg_split 0
		.amdhsa_exception_fp_ieee_invalid_op 0
		.amdhsa_exception_fp_denorm_src 0
		.amdhsa_exception_fp_ieee_div_zero 0
		.amdhsa_exception_fp_ieee_overflow 0
		.amdhsa_exception_fp_ieee_underflow 0
		.amdhsa_exception_fp_ieee_inexact 0
		.amdhsa_exception_int_div_zero 0
	.end_amdhsa_kernel
	.section	.text._ZN9rocsparseL27bsrgemm_fill_wf_per_row_2x2ILj256ELj16ELj32ELj137ElifEEv20rocsparse_direction_T4_S2_PKS2_S4_NS_24const_host_device_scalarIT5_EEPKT3_S4_PKS6_SA_S4_SC_S7_SA_S4_SC_SA_PS2_PS6_21rocsparse_index_base_SF_SF_SF_bbb,"axG",@progbits,_ZN9rocsparseL27bsrgemm_fill_wf_per_row_2x2ILj256ELj16ELj32ELj137ElifEEv20rocsparse_direction_T4_S2_PKS2_S4_NS_24const_host_device_scalarIT5_EEPKT3_S4_PKS6_SA_S4_SC_S7_SA_S4_SC_SA_PS2_PS6_21rocsparse_index_base_SF_SF_SF_bbb,comdat
.Lfunc_end169:
	.size	_ZN9rocsparseL27bsrgemm_fill_wf_per_row_2x2ILj256ELj16ELj32ELj137ElifEEv20rocsparse_direction_T4_S2_PKS2_S4_NS_24const_host_device_scalarIT5_EEPKT3_S4_PKS6_SA_S4_SC_S7_SA_S4_SC_SA_PS2_PS6_21rocsparse_index_base_SF_SF_SF_bbb, .Lfunc_end169-_ZN9rocsparseL27bsrgemm_fill_wf_per_row_2x2ILj256ELj16ELj32ELj137ElifEEv20rocsparse_direction_T4_S2_PKS2_S4_NS_24const_host_device_scalarIT5_EEPKT3_S4_PKS6_SA_S4_SC_S7_SA_S4_SC_SA_PS2_PS6_21rocsparse_index_base_SF_SF_SF_bbb
                                        ; -- End function
	.section	.AMDGPU.csdata,"",@progbits
; Kernel info:
; codeLenInByte = 4080
; NumSgprs: 51
; NumVgprs: 36
; NumAgprs: 0
; TotalNumVgprs: 36
; ScratchSize: 0
; MemoryBound: 0
; FloatMode: 240
; IeeeMode: 1
; LDSByteSize: 10240 bytes/workgroup (compile time only)
; SGPRBlocks: 6
; VGPRBlocks: 4
; NumSGPRsForWavesPerEU: 51
; NumVGPRsForWavesPerEU: 36
; AccumOffset: 36
; Occupancy: 6
; WaveLimiterHint : 1
; COMPUTE_PGM_RSRC2:SCRATCH_EN: 0
; COMPUTE_PGM_RSRC2:USER_SGPR: 6
; COMPUTE_PGM_RSRC2:TRAP_HANDLER: 0
; COMPUTE_PGM_RSRC2:TGID_X_EN: 1
; COMPUTE_PGM_RSRC2:TGID_Y_EN: 0
; COMPUTE_PGM_RSRC2:TGID_Z_EN: 0
; COMPUTE_PGM_RSRC2:TIDIG_COMP_CNT: 0
; COMPUTE_PGM_RSRC3_GFX90A:ACCUM_OFFSET: 8
; COMPUTE_PGM_RSRC3_GFX90A:TG_SPLIT: 0
	.section	.text._ZN9rocsparseL30bsrgemm_fill_block_per_row_2x2ILj256ELj16ELj64ELj137ElifEEv20rocsparse_direction_T4_S2_PKS2_S4_NS_24const_host_device_scalarIT5_EEPKT3_S4_PKS6_SA_S4_SC_S7_SA_S4_SC_SA_PS2_PS6_21rocsparse_index_base_SF_SF_SF_bbb,"axG",@progbits,_ZN9rocsparseL30bsrgemm_fill_block_per_row_2x2ILj256ELj16ELj64ELj137ElifEEv20rocsparse_direction_T4_S2_PKS2_S4_NS_24const_host_device_scalarIT5_EEPKT3_S4_PKS6_SA_S4_SC_S7_SA_S4_SC_SA_PS2_PS6_21rocsparse_index_base_SF_SF_SF_bbb,comdat
	.globl	_ZN9rocsparseL30bsrgemm_fill_block_per_row_2x2ILj256ELj16ELj64ELj137ElifEEv20rocsparse_direction_T4_S2_PKS2_S4_NS_24const_host_device_scalarIT5_EEPKT3_S4_PKS6_SA_S4_SC_S7_SA_S4_SC_SA_PS2_PS6_21rocsparse_index_base_SF_SF_SF_bbb ; -- Begin function _ZN9rocsparseL30bsrgemm_fill_block_per_row_2x2ILj256ELj16ELj64ELj137ElifEEv20rocsparse_direction_T4_S2_PKS2_S4_NS_24const_host_device_scalarIT5_EEPKT3_S4_PKS6_SA_S4_SC_S7_SA_S4_SC_SA_PS2_PS6_21rocsparse_index_base_SF_SF_SF_bbb
	.p2align	8
	.type	_ZN9rocsparseL30bsrgemm_fill_block_per_row_2x2ILj256ELj16ELj64ELj137ElifEEv20rocsparse_direction_T4_S2_PKS2_S4_NS_24const_host_device_scalarIT5_EEPKT3_S4_PKS6_SA_S4_SC_S7_SA_S4_SC_SA_PS2_PS6_21rocsparse_index_base_SF_SF_SF_bbb,@function
_ZN9rocsparseL30bsrgemm_fill_block_per_row_2x2ILj256ELj16ELj64ELj137ElifEEv20rocsparse_direction_T4_S2_PKS2_S4_NS_24const_host_device_scalarIT5_EEPKT3_S4_PKS6_SA_S4_SC_S7_SA_S4_SC_SA_PS2_PS6_21rocsparse_index_base_SF_SF_SF_bbb: ; @_ZN9rocsparseL30bsrgemm_fill_block_per_row_2x2ILj256ELj16ELj64ELj137ElifEEv20rocsparse_direction_T4_S2_PKS2_S4_NS_24const_host_device_scalarIT5_EEPKT3_S4_PKS6_SA_S4_SC_S7_SA_S4_SC_SA_PS2_PS6_21rocsparse_index_base_SF_SF_SF_bbb
; %bb.0:
	s_load_dword s7, s[4:5], 0xa0
	s_load_dwordx2 s[2:3], s[4:5], 0x20
	s_load_dwordx2 s[0:1], s[4:5], 0x58
	s_waitcnt lgkmcnt(0)
	s_bitcmp1_b32 s7, 0
	s_cselect_b64 s[8:9], -1, 0
	s_bitcmp1_b32 s7, 16
	s_cselect_b64 s[10:11], -1, 0
	s_xor_b64 s[12:13], s[8:9], -1
	s_or_b64 s[12:13], s[12:13], s[10:11]
	s_and_b64 vcc, exec, s[12:13]
	s_cbranch_vccnz .LBB170_2
; %bb.1:
	s_load_dword s2, s[2:3], 0x0
	s_waitcnt lgkmcnt(0)
	v_mov_b32_e32 v11, s2
	s_branch .LBB170_3
.LBB170_2:
	v_mov_b32_e32 v1, s2
	v_cndmask_b32_e64 v11, 0, v1, s[8:9]
.LBB170_3:
	s_bitcmp1_b32 s7, 8
	s_cselect_b64 s[2:3], -1, 0
	s_xor_b64 s[12:13], s[2:3], -1
	s_or_b64 s[10:11], s[12:13], s[10:11]
	s_and_b64 vcc, exec, s[10:11]
	s_cbranch_vccnz .LBB170_5
; %bb.4:
	s_load_dword s0, s[0:1], 0x0
	s_waitcnt lgkmcnt(0)
	v_mov_b32_e32 v10, s0
	s_branch .LBB170_6
.LBB170_5:
	v_mov_b32_e32 v1, s0
	v_cndmask_b32_e64 v10, 0, v1, s[2:3]
.LBB170_6:
	s_load_dword s46, s[4:5], 0x8
	v_cmp_gt_u32_e64 s[0:1], 64, v0
	v_lshl_add_u32 v1, v0, 2, 0
	s_and_saveexec_b64 s[10:11], s[0:1]
	s_cbranch_execz .LBB170_8
; %bb.7:
	s_waitcnt lgkmcnt(0)
	v_mov_b32_e32 v2, s46
	ds_write_b32 v1, v2
.LBB170_8:
	s_or_b64 exec, exec, s[10:11]
	s_load_dwordx4 s[16:19], s[4:5], 0x90
	s_load_dwordx2 s[10:11], s[4:5], 0x18
	s_movk_i32 s7, 0x100
	v_cmp_gt_u32_e32 vcc, s7, v0
	s_and_saveexec_b64 s[12:13], vcc
	s_cbranch_execz .LBB170_10
; %bb.9:
	v_mov_b32_e32 v2, 0
	ds_write_b32 v1, v2 offset:256
.LBB170_10:
	s_or_b64 exec, exec, s[12:13]
	s_waitcnt lgkmcnt(0)
	s_cmp_eq_u64 s[10:11], 0
	s_barrier
	s_cbranch_scc1 .LBB170_12
; %bb.11:
	s_load_dwordx2 s[12:13], s[4:5], 0x10
	s_waitcnt lgkmcnt(0)
	s_load_dword s7, s[12:13], 0x0
	s_waitcnt lgkmcnt(0)
	s_add_i32 s6, s7, s6
	s_mov_b32 s7, 0
	s_lshl_b64 s[6:7], s[6:7], 2
	s_add_u32 s6, s10, s6
	s_addc_u32 s7, s11, s7
	s_load_dword s6, s[6:7], 0x0
.LBB170_12:
	s_nop 0
	s_load_dword s33, s[4:5], 0x0
	s_andn2_b64 vcc, exec, s[8:9]
	s_waitcnt lgkmcnt(0)
	s_ashr_i32 s7, s6, 31
	s_cbranch_vccnz .LBB170_68
; %bb.13:
	s_load_dwordx2 s[8:9], s[4:5], 0x28
	s_lshl_b64 s[10:11], s[6:7], 3
	v_lshrrev_b32_e32 v2, 4, v0
	v_subrev_co_u32_e32 v2, vcc, s16, v2
	s_waitcnt lgkmcnt(0)
	s_add_u32 s8, s8, s10
	s_addc_u32 s9, s9, s11
	s_load_dwordx4 s[8:11], s[8:9], 0x0
	v_subb_co_u32_e64 v3, s[12:13], 0, 0, vcc
	s_mov_b32 s28, 0
	s_waitcnt lgkmcnt(0)
	s_sub_u32 s20, s10, s16
	v_mov_b32_e32 v4, s9
	v_add_co_u32_e32 v2, vcc, s8, v2
	s_subb_u32 s21, s11, 0
	v_addc_co_u32_e32 v3, vcc, v4, v3, vcc
	v_cmp_gt_i64_e32 vcc, s[20:21], v[2:3]
	s_and_saveexec_b64 s[22:23], vcc
	s_cbranch_execz .LBB170_67
; %bb.14:
	s_load_dwordx2 s[24:25], s[4:5], 0x50
	s_load_dwordx8 s[8:15], s[4:5], 0x30
	v_and_b32_e32 v4, 15, v0
	v_subrev_co_u32_e32 v12, vcc, s17, v4
	s_cmp_eq_u32 s33, 0
	v_subb_co_u32_e64 v13, s[26:27], 0, 0, vcc
	s_mov_b32 s47, s17
	s_cselect_b32 s48, 1, 2
	s_cselect_b32 s49, 2, 1
	s_mov_b64 s[26:27], 0
	s_waitcnt lgkmcnt(0)
	v_mov_b32_e32 v14, s9
	v_mov_b32_e32 v15, s13
	;; [unrolled: 1-line block ×3, first 2 shown]
	s_branch .LBB170_16
.LBB170_15:                             ;   in Loop: Header=BB170_16 Depth=1
	s_or_b64 exec, exec, s[28:29]
	v_add_co_u32_e32 v2, vcc, 16, v2
	v_addc_co_u32_e32 v3, vcc, 0, v3, vcc
	v_cmp_le_i64_e32 vcc, s[20:21], v[2:3]
	s_or_b64 s[26:27], vcc, s[26:27]
	s_andn2_b64 exec, exec, s[26:27]
	s_cbranch_execz .LBB170_67
.LBB170_16:                             ; =>This Loop Header: Depth=1
                                        ;     Child Loop BB170_19 Depth 2
                                        ;       Child Loop BB170_21 Depth 3
                                        ;       Child Loop BB170_33 Depth 3
	;; [unrolled: 1-line block ×4, first 2 shown]
	v_lshlrev_b64 v[8:9], 2, v[2:3]
	v_add_co_u32_e32 v4, vcc, s8, v8
	v_addc_co_u32_e32 v5, vcc, v14, v9, vcc
	global_load_dword v4, v[4:5], off
	s_waitcnt vmcnt(0)
	v_subrev_u32_e32 v4, s16, v4
	v_ashrrev_i32_e32 v5, 31, v4
	v_lshlrev_b64 v[4:5], 3, v[4:5]
	v_add_co_u32_e32 v4, vcc, s12, v4
	v_addc_co_u32_e32 v5, vcc, v15, v5, vcc
	global_load_dwordx4 v[18:21], v[4:5], off
	s_waitcnt vmcnt(0)
	v_subrev_co_u32_e32 v4, vcc, s47, v20
	v_subb_co_u32_e32 v5, vcc, v21, v16, vcc
	v_add_co_u32_e32 v6, vcc, v18, v12
	v_addc_co_u32_e32 v7, vcc, v19, v13, vcc
	v_cmp_lt_i64_e32 vcc, v[6:7], v[4:5]
	s_and_saveexec_b64 s[28:29], vcc
	s_cbranch_execz .LBB170_15
; %bb.17:                               ;   in Loop: Header=BB170_16 Depth=1
	v_lshlrev_b64 v[20:21], 4, v[2:3]
	v_or_b32_e32 v19, 0, v9
	v_or_b32_e32 v18, s48, v8
	;; [unrolled: 1-line block ×4, first 2 shown]
	v_mov_b32_e32 v17, s11
	v_add_co_u32_e32 v20, vcc, s10, v20
	v_addc_co_u32_e32 v21, vcc, v17, v21, vcc
	v_lshlrev_b64 v[8:9], 2, v[8:9]
	v_add_co_u32_e32 v8, vcc, s10, v8
	v_addc_co_u32_e32 v9, vcc, v17, v9, vcc
	v_lshlrev_b64 v[18:19], 2, v[18:19]
	v_add_co_u32_e32 v18, vcc, s10, v18
	v_addc_co_u32_e32 v19, vcc, v17, v19, vcc
	global_load_dword v17, v[20:21], off offset:12
	global_load_dword v22, v[8:9], off
	global_load_dword v23, v[18:19], off
	;; [unrolled: 1-line block ×3, first 2 shown]
	s_mov_b64 s[30:31], 0
	s_waitcnt vmcnt(3)
	v_mul_f32_e32 v9, v11, v17
	s_waitcnt vmcnt(2)
	v_mul_f32_e32 v17, v11, v22
	;; [unrolled: 2-line block ×4, first 2 shown]
	s_branch .LBB170_19
.LBB170_18:                             ;   in Loop: Header=BB170_19 Depth=2
	s_or_b64 exec, exec, s[34:35]
	v_add_co_u32_e32 v6, vcc, 16, v6
	v_addc_co_u32_e32 v7, vcc, 0, v7, vcc
	v_cmp_ge_i64_e32 vcc, v[6:7], v[4:5]
	s_or_b64 s[30:31], vcc, s[30:31]
	s_andn2_b64 exec, exec, s[30:31]
	s_cbranch_execz .LBB170_15
.LBB170_19:                             ;   Parent Loop BB170_16 Depth=1
                                        ; =>  This Loop Header: Depth=2
                                        ;       Child Loop BB170_21 Depth 3
                                        ;       Child Loop BB170_33 Depth 3
	;; [unrolled: 1-line block ×4, first 2 shown]
	v_lshlrev_b64 v[20:21], 2, v[6:7]
	v_mov_b32_e32 v8, s15
	v_add_co_u32_e32 v22, vcc, s14, v20
	v_addc_co_u32_e32 v23, vcc, v8, v21, vcc
	v_lshlrev_b64 v[24:25], 4, v[6:7]
	global_load_dword v8, v[22:23], off
	v_or_b32_e32 v23, 0, v21
	v_or_b32_e32 v22, s48, v20
	;; [unrolled: 1-line block ×4, first 2 shown]
	v_mov_b32_e32 v28, s25
	v_add_co_u32_e32 v26, vcc, s24, v24
	v_addc_co_u32_e32 v27, vcc, v28, v25, vcc
	v_lshlrev_b64 v[20:21], 2, v[20:21]
	v_add_co_u32_e32 v20, vcc, s24, v20
	v_lshlrev_b64 v[22:23], 2, v[22:23]
	v_addc_co_u32_e32 v21, vcc, v28, v21, vcc
	global_load_dword v24, v[26:27], off
	global_load_dword v25, v[20:21], off
	v_add_co_u32_e32 v20, vcc, s24, v22
	v_addc_co_u32_e32 v21, vcc, v28, v23, vcc
	global_load_dword v22, v[20:21], off
	global_load_dword v23, v[26:27], off offset:12
	s_mov_b64 s[34:35], 0
	s_waitcnt vmcnt(4)
	v_subrev_u32_e32 v20, s17, v8
	v_lshl_add_u32 v8, v20, 3, v20
	v_and_b32_e32 v21, 63, v8
	v_mov_b32_e32 v27, v21
	s_waitcnt vmcnt(2)
	v_mul_f32_e32 v26, v18, v25
	v_fmac_f32_e32 v26, v19, v24
	s_branch .LBB170_21
.LBB170_20:                             ;   in Loop: Header=BB170_21 Depth=3
	s_or_b64 exec, exec, s[36:37]
	s_xor_b64 s[36:37], s[38:39], -1
	s_and_b64 s[36:37], exec, s[36:37]
	s_or_b64 s[34:35], s[36:37], s[34:35]
	s_andn2_b64 exec, exec, s[34:35]
	s_cbranch_execz .LBB170_31
.LBB170_21:                             ;   Parent Loop BB170_16 Depth=1
                                        ;     Parent Loop BB170_19 Depth=2
                                        ; =>    This Inner Loop Header: Depth=3
	v_lshl_add_u32 v8, v27, 2, 0
	ds_read_b32 v28, v8
                                        ; implicit-def: $sgpr38_sgpr39
	s_waitcnt lgkmcnt(0)
	v_cmp_ne_u32_e32 vcc, v28, v20
	s_and_saveexec_b64 s[36:37], vcc
	s_xor_b64 s[36:37], exec, s[36:37]
	s_cbranch_execz .LBB170_29
; %bb.22:                               ;   in Loop: Header=BB170_21 Depth=3
	v_cmp_ne_u32_e32 vcc, s46, v28
                                        ; implicit-def: $sgpr38_sgpr39
	s_and_saveexec_b64 s[40:41], vcc
	s_xor_b64 s[40:41], exec, s[40:41]
; %bb.23:                               ;   in Loop: Header=BB170_21 Depth=3
	v_add_u32_e32 v8, 1, v27
	v_and_b32_e32 v27, 63, v8
	s_mov_b64 s[38:39], -1
                                        ; implicit-def: $vgpr8
; %bb.24:                               ;   in Loop: Header=BB170_21 Depth=3
	s_andn2_saveexec_b64 s[40:41], s[40:41]
	s_cbranch_execz .LBB170_28
; %bb.25:                               ;   in Loop: Header=BB170_21 Depth=3
	v_mov_b32_e32 v28, s46
	ds_cmpst_rtn_b32 v28, v8, v28, v20
	s_mov_b64 s[42:43], -1
	s_waitcnt lgkmcnt(0)
	v_cmp_eq_u32_e32 vcc, s46, v28
	s_and_saveexec_b64 s[44:45], vcc
	s_cbranch_execz .LBB170_27
; %bb.26:                               ;   in Loop: Header=BB170_21 Depth=3
	v_mad_u64_u32 v[28:29], s[42:43], v27, 12, v[8:9]
	ds_add_f32 v28, v26 offset:256
	s_xor_b64 s[42:43], exec, -1
.LBB170_27:                             ;   in Loop: Header=BB170_21 Depth=3
	s_or_b64 exec, exec, s[44:45]
	s_andn2_b64 s[38:39], s[38:39], exec
	s_and_b64 s[42:43], s[42:43], exec
	s_or_b64 s[38:39], s[38:39], s[42:43]
.LBB170_28:                             ;   in Loop: Header=BB170_21 Depth=3
	s_or_b64 exec, exec, s[40:41]
	s_and_b64 s[38:39], s[38:39], exec
                                        ; implicit-def: $vgpr8
.LBB170_29:                             ;   in Loop: Header=BB170_21 Depth=3
	s_andn2_saveexec_b64 s[36:37], s[36:37]
	s_cbranch_execz .LBB170_20
; %bb.30:                               ;   in Loop: Header=BB170_21 Depth=3
	v_mad_u64_u32 v[28:29], s[40:41], v27, 12, v[8:9]
	ds_add_f32 v28, v26 offset:256
	s_andn2_b64 s[38:39], s[38:39], exec
	s_branch .LBB170_20
.LBB170_31:                             ;   in Loop: Header=BB170_19 Depth=2
	s_or_b64 exec, exec, s[34:35]
	s_waitcnt vmcnt(0)
	v_mul_f32_e32 v26, v18, v23
	v_fmac_f32_e32 v26, v19, v22
	s_mov_b64 s[34:35], 0
	v_mov_b32_e32 v27, v21
	s_branch .LBB170_33
.LBB170_32:                             ;   in Loop: Header=BB170_33 Depth=3
	s_or_b64 exec, exec, s[36:37]
	s_xor_b64 s[36:37], s[38:39], -1
	s_and_b64 s[36:37], exec, s[36:37]
	s_or_b64 s[34:35], s[36:37], s[34:35]
	s_andn2_b64 exec, exec, s[34:35]
	s_cbranch_execz .LBB170_43
.LBB170_33:                             ;   Parent Loop BB170_16 Depth=1
                                        ;     Parent Loop BB170_19 Depth=2
                                        ; =>    This Inner Loop Header: Depth=3
	v_lshl_add_u32 v8, v27, 2, 0
	ds_read_b32 v28, v8
                                        ; implicit-def: $sgpr38_sgpr39
	s_waitcnt lgkmcnt(0)
	v_cmp_ne_u32_e32 vcc, v28, v20
	s_and_saveexec_b64 s[36:37], vcc
	s_xor_b64 s[36:37], exec, s[36:37]
	s_cbranch_execz .LBB170_41
; %bb.34:                               ;   in Loop: Header=BB170_33 Depth=3
	v_cmp_ne_u32_e32 vcc, s46, v28
                                        ; implicit-def: $sgpr38_sgpr39
	s_and_saveexec_b64 s[40:41], vcc
	s_xor_b64 s[40:41], exec, s[40:41]
; %bb.35:                               ;   in Loop: Header=BB170_33 Depth=3
	v_add_u32_e32 v8, 1, v27
	v_and_b32_e32 v27, 63, v8
	s_mov_b64 s[38:39], -1
                                        ; implicit-def: $vgpr8
; %bb.36:                               ;   in Loop: Header=BB170_33 Depth=3
	s_andn2_saveexec_b64 s[40:41], s[40:41]
	s_cbranch_execz .LBB170_40
; %bb.37:                               ;   in Loop: Header=BB170_33 Depth=3
	v_mov_b32_e32 v28, s46
	ds_cmpst_rtn_b32 v28, v8, v28, v20
	s_mov_b64 s[42:43], -1
	s_waitcnt lgkmcnt(0)
	v_cmp_eq_u32_e32 vcc, s46, v28
	s_and_saveexec_b64 s[44:45], vcc
	s_cbranch_execz .LBB170_39
; %bb.38:                               ;   in Loop: Header=BB170_33 Depth=3
	v_mad_u64_u32 v[28:29], s[42:43], v27, 12, v[8:9]
	ds_add_f32 v28, v26 offset:260
	s_xor_b64 s[42:43], exec, -1
.LBB170_39:                             ;   in Loop: Header=BB170_33 Depth=3
	s_or_b64 exec, exec, s[44:45]
	s_andn2_b64 s[38:39], s[38:39], exec
	s_and_b64 s[42:43], s[42:43], exec
	s_or_b64 s[38:39], s[38:39], s[42:43]
.LBB170_40:                             ;   in Loop: Header=BB170_33 Depth=3
	s_or_b64 exec, exec, s[40:41]
	s_and_b64 s[38:39], s[38:39], exec
                                        ; implicit-def: $vgpr8
.LBB170_41:                             ;   in Loop: Header=BB170_33 Depth=3
	s_andn2_saveexec_b64 s[36:37], s[36:37]
	s_cbranch_execz .LBB170_32
; %bb.42:                               ;   in Loop: Header=BB170_33 Depth=3
	v_mad_u64_u32 v[28:29], s[40:41], v27, 12, v[8:9]
	ds_add_f32 v28, v26 offset:260
	s_andn2_b64 s[38:39], s[38:39], exec
	s_branch .LBB170_32
.LBB170_43:                             ;   in Loop: Header=BB170_19 Depth=2
	s_or_b64 exec, exec, s[34:35]
	v_mul_f32_e32 v25, v9, v25
	v_fmac_f32_e32 v25, v17, v24
	s_mov_b64 s[34:35], 0
	v_mov_b32_e32 v24, v21
	s_branch .LBB170_45
.LBB170_44:                             ;   in Loop: Header=BB170_45 Depth=3
	s_or_b64 exec, exec, s[36:37]
	s_xor_b64 s[36:37], s[38:39], -1
	s_and_b64 s[36:37], exec, s[36:37]
	s_or_b64 s[34:35], s[36:37], s[34:35]
	s_andn2_b64 exec, exec, s[34:35]
	s_cbranch_execz .LBB170_55
.LBB170_45:                             ;   Parent Loop BB170_16 Depth=1
                                        ;     Parent Loop BB170_19 Depth=2
                                        ; =>    This Inner Loop Header: Depth=3
	v_lshl_add_u32 v8, v24, 2, 0
	ds_read_b32 v26, v8
                                        ; implicit-def: $sgpr38_sgpr39
	s_waitcnt lgkmcnt(0)
	v_cmp_ne_u32_e32 vcc, v26, v20
	s_and_saveexec_b64 s[36:37], vcc
	s_xor_b64 s[36:37], exec, s[36:37]
	s_cbranch_execz .LBB170_53
; %bb.46:                               ;   in Loop: Header=BB170_45 Depth=3
	v_cmp_ne_u32_e32 vcc, s46, v26
                                        ; implicit-def: $sgpr38_sgpr39
	s_and_saveexec_b64 s[40:41], vcc
	s_xor_b64 s[40:41], exec, s[40:41]
; %bb.47:                               ;   in Loop: Header=BB170_45 Depth=3
	v_add_u32_e32 v8, 1, v24
	v_and_b32_e32 v24, 63, v8
	s_mov_b64 s[38:39], -1
                                        ; implicit-def: $vgpr8
; %bb.48:                               ;   in Loop: Header=BB170_45 Depth=3
	s_andn2_saveexec_b64 s[40:41], s[40:41]
	s_cbranch_execz .LBB170_52
; %bb.49:                               ;   in Loop: Header=BB170_45 Depth=3
	v_mov_b32_e32 v26, s46
	ds_cmpst_rtn_b32 v26, v8, v26, v20
	s_mov_b64 s[42:43], -1
	s_waitcnt lgkmcnt(0)
	v_cmp_eq_u32_e32 vcc, s46, v26
	s_and_saveexec_b64 s[44:45], vcc
	s_cbranch_execz .LBB170_51
; %bb.50:                               ;   in Loop: Header=BB170_45 Depth=3
	v_mad_u64_u32 v[26:27], s[42:43], v24, 12, v[8:9]
	ds_add_f32 v26, v25 offset:264
	s_xor_b64 s[42:43], exec, -1
.LBB170_51:                             ;   in Loop: Header=BB170_45 Depth=3
	s_or_b64 exec, exec, s[44:45]
	s_andn2_b64 s[38:39], s[38:39], exec
	s_and_b64 s[42:43], s[42:43], exec
	s_or_b64 s[38:39], s[38:39], s[42:43]
.LBB170_52:                             ;   in Loop: Header=BB170_45 Depth=3
	s_or_b64 exec, exec, s[40:41]
	s_and_b64 s[38:39], s[38:39], exec
                                        ; implicit-def: $vgpr8
.LBB170_53:                             ;   in Loop: Header=BB170_45 Depth=3
	s_andn2_saveexec_b64 s[36:37], s[36:37]
	s_cbranch_execz .LBB170_44
; %bb.54:                               ;   in Loop: Header=BB170_45 Depth=3
	v_mad_u64_u32 v[26:27], s[40:41], v24, 12, v[8:9]
	ds_add_f32 v26, v25 offset:264
	s_andn2_b64 s[38:39], s[38:39], exec
	s_branch .LBB170_44
.LBB170_55:                             ;   in Loop: Header=BB170_19 Depth=2
	s_or_b64 exec, exec, s[34:35]
	v_mul_f32_e32 v23, v9, v23
	v_fmac_f32_e32 v23, v17, v22
	s_mov_b64 s[34:35], 0
	s_branch .LBB170_57
.LBB170_56:                             ;   in Loop: Header=BB170_57 Depth=3
	s_or_b64 exec, exec, s[36:37]
	s_xor_b64 s[36:37], s[38:39], -1
	s_and_b64 s[36:37], exec, s[36:37]
	s_or_b64 s[34:35], s[36:37], s[34:35]
	s_andn2_b64 exec, exec, s[34:35]
	s_cbranch_execz .LBB170_18
.LBB170_57:                             ;   Parent Loop BB170_16 Depth=1
                                        ;     Parent Loop BB170_19 Depth=2
                                        ; =>    This Inner Loop Header: Depth=3
	v_lshl_add_u32 v8, v21, 2, 0
	ds_read_b32 v22, v8
                                        ; implicit-def: $sgpr38_sgpr39
	s_waitcnt lgkmcnt(0)
	v_cmp_ne_u32_e32 vcc, v22, v20
	s_and_saveexec_b64 s[36:37], vcc
	s_xor_b64 s[36:37], exec, s[36:37]
	s_cbranch_execz .LBB170_65
; %bb.58:                               ;   in Loop: Header=BB170_57 Depth=3
	v_cmp_ne_u32_e32 vcc, s46, v22
                                        ; implicit-def: $sgpr38_sgpr39
	s_and_saveexec_b64 s[40:41], vcc
	s_xor_b64 s[40:41], exec, s[40:41]
; %bb.59:                               ;   in Loop: Header=BB170_57 Depth=3
	v_add_u32_e32 v8, 1, v21
	v_and_b32_e32 v21, 63, v8
	s_mov_b64 s[38:39], -1
                                        ; implicit-def: $vgpr8
; %bb.60:                               ;   in Loop: Header=BB170_57 Depth=3
	s_andn2_saveexec_b64 s[40:41], s[40:41]
	s_cbranch_execz .LBB170_64
; %bb.61:                               ;   in Loop: Header=BB170_57 Depth=3
	v_mov_b32_e32 v22, s46
	ds_cmpst_rtn_b32 v22, v8, v22, v20
	s_mov_b64 s[42:43], -1
	s_waitcnt lgkmcnt(0)
	v_cmp_eq_u32_e32 vcc, s46, v22
	s_and_saveexec_b64 s[44:45], vcc
	s_cbranch_execz .LBB170_63
; %bb.62:                               ;   in Loop: Header=BB170_57 Depth=3
	v_mad_u64_u32 v[24:25], s[42:43], v21, 12, v[8:9]
	ds_add_f32 v24, v23 offset:268
	s_xor_b64 s[42:43], exec, -1
.LBB170_63:                             ;   in Loop: Header=BB170_57 Depth=3
	s_or_b64 exec, exec, s[44:45]
	s_andn2_b64 s[38:39], s[38:39], exec
	s_and_b64 s[42:43], s[42:43], exec
	s_or_b64 s[38:39], s[38:39], s[42:43]
.LBB170_64:                             ;   in Loop: Header=BB170_57 Depth=3
	s_or_b64 exec, exec, s[40:41]
	s_and_b64 s[38:39], s[38:39], exec
                                        ; implicit-def: $vgpr8
.LBB170_65:                             ;   in Loop: Header=BB170_57 Depth=3
	s_andn2_saveexec_b64 s[36:37], s[36:37]
	s_cbranch_execz .LBB170_56
; %bb.66:                               ;   in Loop: Header=BB170_57 Depth=3
	v_mad_u64_u32 v[24:25], s[40:41], v21, 12, v[8:9]
	ds_add_f32 v24, v23 offset:268
	s_andn2_b64 s[38:39], s[38:39], exec
	s_branch .LBB170_56
.LBB170_67:
	s_or_b64 exec, exec, s[22:23]
.LBB170_68:
	s_andn2_b64 vcc, exec, s[2:3]
	s_waitcnt lgkmcnt(0)
	s_barrier
	s_cbranch_vccnz .LBB170_121
; %bb.69:
	s_load_dwordx2 s[2:3], s[4:5], 0x60
	s_lshl_b64 s[8:9], s[6:7], 3
	v_subrev_co_u32_e32 v2, vcc, s19, v0
	s_waitcnt lgkmcnt(0)
	s_add_u32 s2, s2, s8
	s_addc_u32 s3, s3, s9
	s_load_dwordx4 s[8:11], s[2:3], 0x0
	v_subb_co_u32_e64 v3, s[2:3], 0, 0, vcc
	s_waitcnt lgkmcnt(0)
	s_sub_u32 s2, s10, s19
	v_mov_b32_e32 v4, s9
	v_add_co_u32_e32 v2, vcc, s8, v2
	s_subb_u32 s3, s11, 0
	v_addc_co_u32_e32 v3, vcc, v4, v3, vcc
	v_cmp_gt_i64_e32 vcc, s[2:3], v[2:3]
	s_and_saveexec_b64 s[12:13], vcc
	s_cbranch_execz .LBB170_120
; %bb.70:
	s_load_dwordx4 s[8:11], s[4:5], 0x68
	s_cmp_eq_u32 s33, 0
	s_mov_b64 s[14:15], 0
	s_cselect_b32 s30, 1, 2
	s_cselect_b32 s31, 2, 1
	s_waitcnt lgkmcnt(0)
	v_mov_b32_e32 v5, s11
	v_mov_b32_e32 v6, s9
	s_branch .LBB170_72
.LBB170_71:                             ;   in Loop: Header=BB170_72 Depth=1
	s_or_b64 exec, exec, s[16:17]
	v_add_co_u32_e32 v2, vcc, 0x100, v2
	v_addc_co_u32_e32 v3, vcc, 0, v3, vcc
	v_cmp_le_i64_e32 vcc, s[2:3], v[2:3]
	s_or_b64 s[14:15], vcc, s[14:15]
	s_andn2_b64 exec, exec, s[14:15]
	s_cbranch_execz .LBB170_120
.LBB170_72:                             ; =>This Loop Header: Depth=1
                                        ;     Child Loop BB170_74 Depth 2
                                        ;     Child Loop BB170_86 Depth 2
	;; [unrolled: 1-line block ×4, first 2 shown]
	v_lshlrev_b64 v[8:9], 2, v[2:3]
	v_lshlrev_b64 v[16:17], 4, v[2:3]
	v_or_b32_e32 v13, 0, v9
	v_or_b32_e32 v12, s30, v8
	v_add_co_u32_e32 v16, vcc, s10, v16
	v_addc_co_u32_e32 v17, vcc, v5, v17, vcc
	v_lshlrev_b64 v[12:13], 2, v[12:13]
	v_add_co_u32_e32 v18, vcc, s10, v12
	v_addc_co_u32_e32 v19, vcc, v5, v13, vcc
	v_or_b32_e32 v14, s31, v8
	v_add_co_u32_e32 v8, vcc, s8, v8
	v_or_b32_e32 v15, 0, v9
	v_addc_co_u32_e32 v9, vcc, v6, v9, vcc
	v_lshlrev_b64 v[12:13], 2, v[14:15]
	global_load_dword v7, v[8:9], off
	global_load_dword v4, v[16:17], off
	v_add_co_u32_e32 v14, vcc, s10, v12
	v_addc_co_u32_e32 v15, vcc, v5, v13, vcc
	global_load_dword v11, v[14:15], off
	global_load_dword v12, v[18:19], off
	global_load_dword v9, v[16:17], off offset:12
	s_mov_b64 s[16:17], 0
	s_waitcnt vmcnt(4)
	v_subrev_u32_e32 v7, s19, v7
	s_waitcnt vmcnt(3)
	v_mul_f32_e32 v13, v10, v4
	v_lshl_add_u32 v4, v7, 3, v7
	v_and_b32_e32 v8, 63, v4
	v_mov_b32_e32 v14, v8
	s_branch .LBB170_74
.LBB170_73:                             ;   in Loop: Header=BB170_74 Depth=2
	s_or_b64 exec, exec, s[20:21]
	s_xor_b64 s[20:21], s[22:23], -1
	s_and_b64 s[20:21], exec, s[20:21]
	s_or_b64 s[16:17], s[20:21], s[16:17]
	s_andn2_b64 exec, exec, s[16:17]
	s_cbranch_execz .LBB170_84
.LBB170_74:                             ;   Parent Loop BB170_72 Depth=1
                                        ; =>  This Inner Loop Header: Depth=2
	v_lshl_add_u32 v4, v14, 2, 0
	ds_read_b32 v15, v4
                                        ; implicit-def: $sgpr22_sgpr23
	s_waitcnt lgkmcnt(0)
	v_cmp_ne_u32_e32 vcc, v15, v7
	s_and_saveexec_b64 s[20:21], vcc
	s_xor_b64 s[20:21], exec, s[20:21]
	s_cbranch_execz .LBB170_82
; %bb.75:                               ;   in Loop: Header=BB170_74 Depth=2
	v_cmp_ne_u32_e32 vcc, s46, v15
                                        ; implicit-def: $sgpr22_sgpr23
	s_and_saveexec_b64 s[24:25], vcc
	s_xor_b64 s[24:25], exec, s[24:25]
; %bb.76:                               ;   in Loop: Header=BB170_74 Depth=2
	v_add_u32_e32 v4, 1, v14
	v_and_b32_e32 v14, 63, v4
	s_mov_b64 s[22:23], -1
                                        ; implicit-def: $vgpr4
; %bb.77:                               ;   in Loop: Header=BB170_74 Depth=2
	s_andn2_saveexec_b64 s[24:25], s[24:25]
	s_cbranch_execz .LBB170_81
; %bb.78:                               ;   in Loop: Header=BB170_74 Depth=2
	v_mov_b32_e32 v15, s46
	ds_cmpst_rtn_b32 v15, v4, v15, v7
	s_mov_b64 s[26:27], -1
	s_waitcnt lgkmcnt(0)
	v_cmp_eq_u32_e32 vcc, s46, v15
	s_and_saveexec_b64 s[28:29], vcc
	s_cbranch_execz .LBB170_80
; %bb.79:                               ;   in Loop: Header=BB170_74 Depth=2
	v_mad_u64_u32 v[16:17], s[26:27], v14, 12, v[4:5]
	ds_add_f32 v16, v13 offset:256
	s_xor_b64 s[26:27], exec, -1
.LBB170_80:                             ;   in Loop: Header=BB170_74 Depth=2
	s_or_b64 exec, exec, s[28:29]
	s_andn2_b64 s[22:23], s[22:23], exec
	s_and_b64 s[26:27], s[26:27], exec
	s_or_b64 s[22:23], s[22:23], s[26:27]
.LBB170_81:                             ;   in Loop: Header=BB170_74 Depth=2
	s_or_b64 exec, exec, s[24:25]
	s_and_b64 s[22:23], s[22:23], exec
                                        ; implicit-def: $vgpr4
.LBB170_82:                             ;   in Loop: Header=BB170_74 Depth=2
	s_andn2_saveexec_b64 s[20:21], s[20:21]
	s_cbranch_execz .LBB170_73
; %bb.83:                               ;   in Loop: Header=BB170_74 Depth=2
	v_mad_u64_u32 v[16:17], s[24:25], v14, 12, v[4:5]
	ds_add_f32 v16, v13 offset:256
	s_andn2_b64 s[22:23], s[22:23], exec
	s_branch .LBB170_73
.LBB170_84:                             ;   in Loop: Header=BB170_72 Depth=1
	s_or_b64 exec, exec, s[16:17]
	s_waitcnt vmcnt(1)
	v_mul_f32_e32 v12, v10, v12
	s_mov_b64 s[16:17], 0
	v_mov_b32_e32 v13, v8
	s_branch .LBB170_86
.LBB170_85:                             ;   in Loop: Header=BB170_86 Depth=2
	s_or_b64 exec, exec, s[20:21]
	s_xor_b64 s[20:21], s[22:23], -1
	s_and_b64 s[20:21], exec, s[20:21]
	s_or_b64 s[16:17], s[20:21], s[16:17]
	s_andn2_b64 exec, exec, s[16:17]
	s_cbranch_execz .LBB170_96
.LBB170_86:                             ;   Parent Loop BB170_72 Depth=1
                                        ; =>  This Inner Loop Header: Depth=2
	v_lshl_add_u32 v4, v13, 2, 0
	ds_read_b32 v14, v4
                                        ; implicit-def: $sgpr22_sgpr23
	s_waitcnt lgkmcnt(0)
	v_cmp_ne_u32_e32 vcc, v14, v7
	s_and_saveexec_b64 s[20:21], vcc
	s_xor_b64 s[20:21], exec, s[20:21]
	s_cbranch_execz .LBB170_94
; %bb.87:                               ;   in Loop: Header=BB170_86 Depth=2
	v_cmp_ne_u32_e32 vcc, s46, v14
                                        ; implicit-def: $sgpr22_sgpr23
	s_and_saveexec_b64 s[24:25], vcc
	s_xor_b64 s[24:25], exec, s[24:25]
; %bb.88:                               ;   in Loop: Header=BB170_86 Depth=2
	v_add_u32_e32 v4, 1, v13
	v_and_b32_e32 v13, 63, v4
	s_mov_b64 s[22:23], -1
                                        ; implicit-def: $vgpr4
; %bb.89:                               ;   in Loop: Header=BB170_86 Depth=2
	s_andn2_saveexec_b64 s[24:25], s[24:25]
	s_cbranch_execz .LBB170_93
; %bb.90:                               ;   in Loop: Header=BB170_86 Depth=2
	v_mov_b32_e32 v14, s46
	ds_cmpst_rtn_b32 v14, v4, v14, v7
	s_mov_b64 s[26:27], -1
	s_waitcnt lgkmcnt(0)
	v_cmp_eq_u32_e32 vcc, s46, v14
	s_and_saveexec_b64 s[28:29], vcc
	s_cbranch_execz .LBB170_92
; %bb.91:                               ;   in Loop: Header=BB170_86 Depth=2
	v_mad_u64_u32 v[14:15], s[26:27], v13, 12, v[4:5]
	ds_add_f32 v14, v12 offset:260
	s_xor_b64 s[26:27], exec, -1
.LBB170_92:                             ;   in Loop: Header=BB170_86 Depth=2
	s_or_b64 exec, exec, s[28:29]
	s_andn2_b64 s[22:23], s[22:23], exec
	s_and_b64 s[26:27], s[26:27], exec
	s_or_b64 s[22:23], s[22:23], s[26:27]
.LBB170_93:                             ;   in Loop: Header=BB170_86 Depth=2
	s_or_b64 exec, exec, s[24:25]
	s_and_b64 s[22:23], s[22:23], exec
                                        ; implicit-def: $vgpr4
.LBB170_94:                             ;   in Loop: Header=BB170_86 Depth=2
	s_andn2_saveexec_b64 s[20:21], s[20:21]
	s_cbranch_execz .LBB170_85
; %bb.95:                               ;   in Loop: Header=BB170_86 Depth=2
	v_mad_u64_u32 v[14:15], s[24:25], v13, 12, v[4:5]
	ds_add_f32 v14, v12 offset:260
	s_andn2_b64 s[22:23], s[22:23], exec
	s_branch .LBB170_85
.LBB170_96:                             ;   in Loop: Header=BB170_72 Depth=1
	s_or_b64 exec, exec, s[16:17]
	v_mul_f32_e32 v11, v10, v11
	s_mov_b64 s[16:17], 0
	v_mov_b32_e32 v12, v8
	s_branch .LBB170_98
.LBB170_97:                             ;   in Loop: Header=BB170_98 Depth=2
	s_or_b64 exec, exec, s[20:21]
	s_xor_b64 s[20:21], s[22:23], -1
	s_and_b64 s[20:21], exec, s[20:21]
	s_or_b64 s[16:17], s[20:21], s[16:17]
	s_andn2_b64 exec, exec, s[16:17]
	s_cbranch_execz .LBB170_108
.LBB170_98:                             ;   Parent Loop BB170_72 Depth=1
                                        ; =>  This Inner Loop Header: Depth=2
	v_lshl_add_u32 v4, v12, 2, 0
	ds_read_b32 v13, v4
                                        ; implicit-def: $sgpr22_sgpr23
	s_waitcnt lgkmcnt(0)
	v_cmp_ne_u32_e32 vcc, v13, v7
	s_and_saveexec_b64 s[20:21], vcc
	s_xor_b64 s[20:21], exec, s[20:21]
	s_cbranch_execz .LBB170_106
; %bb.99:                               ;   in Loop: Header=BB170_98 Depth=2
	v_cmp_ne_u32_e32 vcc, s46, v13
                                        ; implicit-def: $sgpr22_sgpr23
	s_and_saveexec_b64 s[24:25], vcc
	s_xor_b64 s[24:25], exec, s[24:25]
; %bb.100:                              ;   in Loop: Header=BB170_98 Depth=2
	v_add_u32_e32 v4, 1, v12
	v_and_b32_e32 v12, 63, v4
	s_mov_b64 s[22:23], -1
                                        ; implicit-def: $vgpr4
; %bb.101:                              ;   in Loop: Header=BB170_98 Depth=2
	s_andn2_saveexec_b64 s[24:25], s[24:25]
	s_cbranch_execz .LBB170_105
; %bb.102:                              ;   in Loop: Header=BB170_98 Depth=2
	v_mov_b32_e32 v13, s46
	ds_cmpst_rtn_b32 v13, v4, v13, v7
	s_mov_b64 s[26:27], -1
	s_waitcnt lgkmcnt(0)
	v_cmp_eq_u32_e32 vcc, s46, v13
	s_and_saveexec_b64 s[28:29], vcc
	s_cbranch_execz .LBB170_104
; %bb.103:                              ;   in Loop: Header=BB170_98 Depth=2
	v_mad_u64_u32 v[14:15], s[26:27], v12, 12, v[4:5]
	ds_add_f32 v14, v11 offset:264
	s_xor_b64 s[26:27], exec, -1
.LBB170_104:                            ;   in Loop: Header=BB170_98 Depth=2
	s_or_b64 exec, exec, s[28:29]
	s_andn2_b64 s[22:23], s[22:23], exec
	s_and_b64 s[26:27], s[26:27], exec
	s_or_b64 s[22:23], s[22:23], s[26:27]
.LBB170_105:                            ;   in Loop: Header=BB170_98 Depth=2
	s_or_b64 exec, exec, s[24:25]
	s_and_b64 s[22:23], s[22:23], exec
                                        ; implicit-def: $vgpr4
.LBB170_106:                            ;   in Loop: Header=BB170_98 Depth=2
	s_andn2_saveexec_b64 s[20:21], s[20:21]
	s_cbranch_execz .LBB170_97
; %bb.107:                              ;   in Loop: Header=BB170_98 Depth=2
	v_mad_u64_u32 v[14:15], s[24:25], v12, 12, v[4:5]
	ds_add_f32 v14, v11 offset:264
	s_andn2_b64 s[22:23], s[22:23], exec
	s_branch .LBB170_97
.LBB170_108:                            ;   in Loop: Header=BB170_72 Depth=1
	s_or_b64 exec, exec, s[16:17]
	s_waitcnt vmcnt(0)
	v_mul_f32_e32 v9, v10, v9
	s_mov_b64 s[16:17], 0
	s_branch .LBB170_110
.LBB170_109:                            ;   in Loop: Header=BB170_110 Depth=2
	s_or_b64 exec, exec, s[20:21]
	s_xor_b64 s[20:21], s[22:23], -1
	s_and_b64 s[20:21], exec, s[20:21]
	s_or_b64 s[16:17], s[20:21], s[16:17]
	s_andn2_b64 exec, exec, s[16:17]
	s_cbranch_execz .LBB170_71
.LBB170_110:                            ;   Parent Loop BB170_72 Depth=1
                                        ; =>  This Inner Loop Header: Depth=2
	v_lshl_add_u32 v4, v8, 2, 0
	ds_read_b32 v11, v4
                                        ; implicit-def: $sgpr22_sgpr23
	s_waitcnt lgkmcnt(0)
	v_cmp_ne_u32_e32 vcc, v11, v7
	s_and_saveexec_b64 s[20:21], vcc
	s_xor_b64 s[20:21], exec, s[20:21]
	s_cbranch_execz .LBB170_118
; %bb.111:                              ;   in Loop: Header=BB170_110 Depth=2
	v_cmp_ne_u32_e32 vcc, s46, v11
                                        ; implicit-def: $sgpr22_sgpr23
	s_and_saveexec_b64 s[24:25], vcc
	s_xor_b64 s[24:25], exec, s[24:25]
; %bb.112:                              ;   in Loop: Header=BB170_110 Depth=2
	v_add_u32_e32 v4, 1, v8
	v_and_b32_e32 v8, 63, v4
	s_mov_b64 s[22:23], -1
                                        ; implicit-def: $vgpr4
; %bb.113:                              ;   in Loop: Header=BB170_110 Depth=2
	s_andn2_saveexec_b64 s[24:25], s[24:25]
	s_cbranch_execz .LBB170_117
; %bb.114:                              ;   in Loop: Header=BB170_110 Depth=2
	v_mov_b32_e32 v11, s46
	ds_cmpst_rtn_b32 v11, v4, v11, v7
	s_mov_b64 s[26:27], -1
	s_waitcnt lgkmcnt(0)
	v_cmp_eq_u32_e32 vcc, s46, v11
	s_and_saveexec_b64 s[28:29], vcc
	s_cbranch_execz .LBB170_116
; %bb.115:                              ;   in Loop: Header=BB170_110 Depth=2
	v_mad_u64_u32 v[12:13], s[26:27], v8, 12, v[4:5]
	ds_add_f32 v12, v9 offset:268
	s_xor_b64 s[26:27], exec, -1
.LBB170_116:                            ;   in Loop: Header=BB170_110 Depth=2
	s_or_b64 exec, exec, s[28:29]
	s_andn2_b64 s[22:23], s[22:23], exec
	s_and_b64 s[26:27], s[26:27], exec
	s_or_b64 s[22:23], s[22:23], s[26:27]
.LBB170_117:                            ;   in Loop: Header=BB170_110 Depth=2
	s_or_b64 exec, exec, s[24:25]
	s_and_b64 s[22:23], s[22:23], exec
                                        ; implicit-def: $vgpr4
.LBB170_118:                            ;   in Loop: Header=BB170_110 Depth=2
	s_andn2_saveexec_b64 s[20:21], s[20:21]
	s_cbranch_execz .LBB170_109
; %bb.119:                              ;   in Loop: Header=BB170_110 Depth=2
	v_mad_u64_u32 v[12:13], s[24:25], v8, 12, v[4:5]
	ds_add_f32 v12, v9 offset:268
	s_andn2_b64 s[22:23], s[22:23], exec
	s_branch .LBB170_109
.LBB170_120:
	s_or_b64 exec, exec, s[12:13]
.LBB170_121:
	s_waitcnt lgkmcnt(0)
	s_barrier
	s_and_saveexec_b64 s[2:3], s[0:1]
	s_cbranch_execz .LBB170_124
; %bb.122:
	ds_read_b32 v1, v1
	s_waitcnt lgkmcnt(0)
	v_cmp_gt_i32_e32 vcc, s46, v1
	s_and_b64 exec, exec, vcc
	s_cbranch_execz .LBB170_124
; %bb.123:
	s_load_dwordx4 s[0:3], s[4:5], 0x78
	s_load_dwordx2 s[8:9], s[4:5], 0x88
	s_lshl_b64 s[4:5], s[6:7], 3
	v_mov_b32_e32 v10, 0
	s_waitcnt lgkmcnt(0)
	s_add_u32 s0, s0, s4
	s_addc_u32 s1, s1, s5
	s_load_dwordx2 s[0:1], s[0:1], 0x0
	ds_read2_b32 v[2:3], v10 offset1:1
	ds_read2_b32 v[4:5], v10 offset0:2 offset1:3
	ds_read2_b32 v[6:7], v10 offset0:4 offset1:5
	;; [unrolled: 1-line block ×3, first 2 shown]
	s_waitcnt lgkmcnt(0)
	v_cmp_gt_i32_e32 vcc, v1, v2
	v_cndmask_b32_e64 v2, 0, 1, vcc
	s_sub_u32 s4, s0, s18
	s_subb_u32 s1, s1, 0
	v_mov_b32_e32 v11, s1
	v_add_co_u32_e32 v2, vcc, s4, v2
	v_addc_co_u32_e32 v11, vcc, 0, v11, vcc
	v_cmp_gt_i32_e32 vcc, v1, v3
	v_cndmask_b32_e64 v3, 0, 1, vcc
	v_add_co_u32_e32 v2, vcc, v2, v3
	v_addc_co_u32_e32 v3, vcc, 0, v11, vcc
	v_cmp_gt_i32_e32 vcc, v1, v4
	v_cndmask_b32_e64 v4, 0, 1, vcc
	v_add_co_u32_e32 v2, vcc, v2, v4
	v_addc_co_u32_e32 v3, vcc, 0, v3, vcc
	v_cmp_gt_i32_e32 vcc, v1, v5
	v_cndmask_b32_e64 v4, 0, 1, vcc
	v_add_co_u32_e32 v2, vcc, v2, v4
	v_addc_co_u32_e32 v3, vcc, 0, v3, vcc
	v_cmp_gt_i32_e32 vcc, v1, v6
	v_cndmask_b32_e64 v4, 0, 1, vcc
	v_add_co_u32_e32 v2, vcc, v2, v4
	v_addc_co_u32_e32 v3, vcc, 0, v3, vcc
	v_cmp_gt_i32_e32 vcc, v1, v7
	v_cndmask_b32_e64 v4, 0, 1, vcc
	v_add_co_u32_e32 v2, vcc, v2, v4
	v_addc_co_u32_e32 v3, vcc, 0, v3, vcc
	v_cmp_gt_i32_e32 vcc, v1, v8
	v_cndmask_b32_e64 v4, 0, 1, vcc
	v_add_co_u32_e32 v4, vcc, v2, v4
	v_addc_co_u32_e32 v5, vcc, 0, v3, vcc
	ds_read2_b32 v[2:3], v10 offset0:8 offset1:9
	v_cmp_gt_i32_e32 vcc, v1, v9
	v_cndmask_b32_e64 v6, 0, 1, vcc
	v_add_co_u32_e32 v11, vcc, v4, v6
	v_addc_co_u32_e32 v12, vcc, 0, v5, vcc
	s_waitcnt lgkmcnt(0)
	v_cmp_gt_i32_e32 vcc, v1, v2
	v_cndmask_b32_e64 v2, 0, 1, vcc
	v_add_co_u32_e32 v2, vcc, v11, v2
	v_addc_co_u32_e32 v11, vcc, 0, v12, vcc
	v_cmp_gt_i32_e32 vcc, v1, v3
	ds_read2_b32 v[4:5], v10 offset0:10 offset1:11
	ds_read2_b32 v[6:7], v10 offset0:12 offset1:13
	ds_read2_b32 v[8:9], v10 offset0:14 offset1:15
	v_cndmask_b32_e64 v3, 0, 1, vcc
	v_add_co_u32_e32 v2, vcc, v2, v3
	v_addc_co_u32_e32 v3, vcc, 0, v11, vcc
	s_waitcnt lgkmcnt(2)
	v_cmp_gt_i32_e32 vcc, v1, v4
	v_cndmask_b32_e64 v4, 0, 1, vcc
	v_add_co_u32_e32 v2, vcc, v2, v4
	v_addc_co_u32_e32 v3, vcc, 0, v3, vcc
	v_cmp_gt_i32_e32 vcc, v1, v5
	v_cndmask_b32_e64 v4, 0, 1, vcc
	v_add_co_u32_e32 v2, vcc, v2, v4
	v_addc_co_u32_e32 v3, vcc, 0, v3, vcc
	s_waitcnt lgkmcnt(1)
	v_cmp_gt_i32_e32 vcc, v1, v6
	v_cndmask_b32_e64 v4, 0, 1, vcc
	v_add_co_u32_e32 v2, vcc, v2, v4
	v_addc_co_u32_e32 v3, vcc, 0, v3, vcc
	v_cmp_gt_i32_e32 vcc, v1, v7
	v_cndmask_b32_e64 v4, 0, 1, vcc
	v_add_co_u32_e32 v2, vcc, v2, v4
	v_addc_co_u32_e32 v3, vcc, 0, v3, vcc
	s_waitcnt lgkmcnt(0)
	v_cmp_gt_i32_e32 vcc, v1, v8
	v_cndmask_b32_e64 v4, 0, 1, vcc
	v_add_co_u32_e32 v4, vcc, v2, v4
	v_addc_co_u32_e32 v5, vcc, 0, v3, vcc
	ds_read2_b32 v[2:3], v10 offset0:16 offset1:17
	v_cmp_gt_i32_e32 vcc, v1, v9
	v_cndmask_b32_e64 v6, 0, 1, vcc
	v_add_co_u32_e32 v11, vcc, v4, v6
	v_addc_co_u32_e32 v12, vcc, 0, v5, vcc
	s_waitcnt lgkmcnt(0)
	v_cmp_gt_i32_e32 vcc, v1, v2
	v_cndmask_b32_e64 v2, 0, 1, vcc
	v_add_co_u32_e32 v2, vcc, v11, v2
	v_addc_co_u32_e32 v11, vcc, 0, v12, vcc
	v_cmp_gt_i32_e32 vcc, v1, v3
	ds_read2_b32 v[4:5], v10 offset0:18 offset1:19
	ds_read2_b32 v[6:7], v10 offset0:20 offset1:21
	ds_read2_b32 v[8:9], v10 offset0:22 offset1:23
	v_cndmask_b32_e64 v3, 0, 1, vcc
	v_add_co_u32_e32 v2, vcc, v2, v3
	v_addc_co_u32_e32 v3, vcc, 0, v11, vcc
	s_waitcnt lgkmcnt(2)
	v_cmp_gt_i32_e32 vcc, v1, v4
	v_cndmask_b32_e64 v4, 0, 1, vcc
	v_add_co_u32_e32 v2, vcc, v2, v4
	v_addc_co_u32_e32 v3, vcc, 0, v3, vcc
	v_cmp_gt_i32_e32 vcc, v1, v5
	v_cndmask_b32_e64 v4, 0, 1, vcc
	v_add_co_u32_e32 v2, vcc, v2, v4
	v_addc_co_u32_e32 v3, vcc, 0, v3, vcc
	s_waitcnt lgkmcnt(1)
	v_cmp_gt_i32_e32 vcc, v1, v6
	v_cndmask_b32_e64 v4, 0, 1, vcc
	v_add_co_u32_e32 v2, vcc, v2, v4
	v_addc_co_u32_e32 v3, vcc, 0, v3, vcc
	v_cmp_gt_i32_e32 vcc, v1, v7
	v_cndmask_b32_e64 v4, 0, 1, vcc
	v_add_co_u32_e32 v2, vcc, v2, v4
	v_addc_co_u32_e32 v3, vcc, 0, v3, vcc
	s_waitcnt lgkmcnt(0)
	v_cmp_gt_i32_e32 vcc, v1, v8
	v_cndmask_b32_e64 v4, 0, 1, vcc
	;; [unrolled: 40-line block ×6, first 2 shown]
	v_add_co_u32_e32 v4, vcc, v2, v4
	v_addc_co_u32_e32 v5, vcc, 0, v3, vcc
	ds_read2_b32 v[2:3], v10 offset0:56 offset1:57
	v_cmp_gt_i32_e32 vcc, v1, v9
	v_cndmask_b32_e64 v6, 0, 1, vcc
	v_add_co_u32_e32 v11, vcc, v4, v6
	v_addc_co_u32_e32 v12, vcc, 0, v5, vcc
	s_waitcnt lgkmcnt(0)
	v_cmp_gt_i32_e32 vcc, v1, v2
	v_cndmask_b32_e64 v2, 0, 1, vcc
	v_add_co_u32_e32 v2, vcc, v11, v2
	ds_read2_b32 v[4:5], v10 offset0:58 offset1:59
	ds_read2_b32 v[6:7], v10 offset0:60 offset1:61
	;; [unrolled: 1-line block ×3, first 2 shown]
	v_addc_co_u32_e32 v10, vcc, 0, v12, vcc
	v_cmp_gt_i32_e32 vcc, v1, v3
	v_cndmask_b32_e64 v3, 0, 1, vcc
	v_add_co_u32_e32 v2, vcc, v2, v3
	v_addc_co_u32_e32 v3, vcc, 0, v10, vcc
	s_waitcnt lgkmcnt(2)
	v_cmp_gt_i32_e32 vcc, v1, v4
	v_cndmask_b32_e64 v4, 0, 1, vcc
	v_add_co_u32_e32 v2, vcc, v2, v4
	v_addc_co_u32_e32 v3, vcc, 0, v3, vcc
	v_cmp_gt_i32_e32 vcc, v1, v5
	v_cndmask_b32_e64 v4, 0, 1, vcc
	v_add_co_u32_e32 v2, vcc, v2, v4
	v_addc_co_u32_e32 v3, vcc, 0, v3, vcc
	s_waitcnt lgkmcnt(1)
	v_cmp_gt_i32_e32 vcc, v1, v6
	v_cndmask_b32_e64 v4, 0, 1, vcc
	v_add_co_u32_e32 v2, vcc, v2, v4
	;; [unrolled: 9-line block ×3, first 2 shown]
	v_addc_co_u32_e32 v3, vcc, 0, v3, vcc
	v_cmp_gt_i32_e32 vcc, v1, v9
	v_cndmask_b32_e64 v4, 0, 1, vcc
	v_add_co_u32_e32 v2, vcc, v2, v4
	v_addc_co_u32_e32 v3, vcc, 0, v3, vcc
	v_lshlrev_b64 v[4:5], 2, v[2:3]
	s_add_i32 s0, 0, 0x100
	v_mov_b32_e32 v6, s3
	v_add_co_u32_e32 v4, vcc, s2, v4
	s_cmp_eq_u32 s33, 0
	v_add_u32_e32 v1, s18, v1
	v_addc_co_u32_e32 v5, vcc, v6, v5, vcc
	v_lshlrev_b32_e32 v6, 4, v0
	global_store_dword v[4:5], v1, off
	v_lshlrev_b32_e32 v1, 2, v0
	v_lshlrev_b64 v[4:5], 4, v[2:3]
	v_add_u32_e32 v3, s0, v6
	s_cselect_b32 s0, 1, 2
	s_cselect_b32 s1, 2, 1
	v_or_b32_e32 v2, s0, v1
	v_or_b32_e32 v1, s1, v1
	v_add_u32_e32 v0, 0, v6
	v_lshl_add_u32 v1, v1, 2, 0
	ds_read_b32 v0, v0 offset:256
	v_lshl_add_u32 v6, v2, 2, 0
	ds_read_b32 v2, v1 offset:256
	ds_read_b32 v1, v6 offset:256
	;; [unrolled: 1-line block ×3, first 2 shown]
	v_mov_b32_e32 v7, s9
	v_add_co_u32_e32 v4, vcc, s8, v4
	v_addc_co_u32_e32 v5, vcc, v7, v5, vcc
	s_waitcnt lgkmcnt(0)
	global_store_dwordx4 v[4:5], v[0:3], off
.LBB170_124:
	s_endpgm
	.section	.rodata,"a",@progbits
	.p2align	6, 0x0
	.amdhsa_kernel _ZN9rocsparseL30bsrgemm_fill_block_per_row_2x2ILj256ELj16ELj64ELj137ElifEEv20rocsparse_direction_T4_S2_PKS2_S4_NS_24const_host_device_scalarIT5_EEPKT3_S4_PKS6_SA_S4_SC_S7_SA_S4_SC_SA_PS2_PS6_21rocsparse_index_base_SF_SF_SF_bbb
		.amdhsa_group_segment_fixed_size 0
		.amdhsa_private_segment_fixed_size 0
		.amdhsa_kernarg_size 164
		.amdhsa_user_sgpr_count 6
		.amdhsa_user_sgpr_private_segment_buffer 1
		.amdhsa_user_sgpr_dispatch_ptr 0
		.amdhsa_user_sgpr_queue_ptr 0
		.amdhsa_user_sgpr_kernarg_segment_ptr 1
		.amdhsa_user_sgpr_dispatch_id 0
		.amdhsa_user_sgpr_flat_scratch_init 0
		.amdhsa_user_sgpr_kernarg_preload_length 0
		.amdhsa_user_sgpr_kernarg_preload_offset 0
		.amdhsa_user_sgpr_private_segment_size 0
		.amdhsa_uses_dynamic_stack 0
		.amdhsa_system_sgpr_private_segment_wavefront_offset 0
		.amdhsa_system_sgpr_workgroup_id_x 1
		.amdhsa_system_sgpr_workgroup_id_y 0
		.amdhsa_system_sgpr_workgroup_id_z 0
		.amdhsa_system_sgpr_workgroup_info 0
		.amdhsa_system_vgpr_workitem_id 0
		.amdhsa_next_free_vgpr 30
		.amdhsa_next_free_sgpr 50
		.amdhsa_accum_offset 32
		.amdhsa_reserve_vcc 1
		.amdhsa_reserve_flat_scratch 0
		.amdhsa_float_round_mode_32 0
		.amdhsa_float_round_mode_16_64 0
		.amdhsa_float_denorm_mode_32 3
		.amdhsa_float_denorm_mode_16_64 3
		.amdhsa_dx10_clamp 1
		.amdhsa_ieee_mode 1
		.amdhsa_fp16_overflow 0
		.amdhsa_tg_split 0
		.amdhsa_exception_fp_ieee_invalid_op 0
		.amdhsa_exception_fp_denorm_src 0
		.amdhsa_exception_fp_ieee_div_zero 0
		.amdhsa_exception_fp_ieee_overflow 0
		.amdhsa_exception_fp_ieee_underflow 0
		.amdhsa_exception_fp_ieee_inexact 0
		.amdhsa_exception_int_div_zero 0
	.end_amdhsa_kernel
	.section	.text._ZN9rocsparseL30bsrgemm_fill_block_per_row_2x2ILj256ELj16ELj64ELj137ElifEEv20rocsparse_direction_T4_S2_PKS2_S4_NS_24const_host_device_scalarIT5_EEPKT3_S4_PKS6_SA_S4_SC_S7_SA_S4_SC_SA_PS2_PS6_21rocsparse_index_base_SF_SF_SF_bbb,"axG",@progbits,_ZN9rocsparseL30bsrgemm_fill_block_per_row_2x2ILj256ELj16ELj64ELj137ElifEEv20rocsparse_direction_T4_S2_PKS2_S4_NS_24const_host_device_scalarIT5_EEPKT3_S4_PKS6_SA_S4_SC_S7_SA_S4_SC_SA_PS2_PS6_21rocsparse_index_base_SF_SF_SF_bbb,comdat
.Lfunc_end170:
	.size	_ZN9rocsparseL30bsrgemm_fill_block_per_row_2x2ILj256ELj16ELj64ELj137ElifEEv20rocsparse_direction_T4_S2_PKS2_S4_NS_24const_host_device_scalarIT5_EEPKT3_S4_PKS6_SA_S4_SC_S7_SA_S4_SC_SA_PS2_PS6_21rocsparse_index_base_SF_SF_SF_bbb, .Lfunc_end170-_ZN9rocsparseL30bsrgemm_fill_block_per_row_2x2ILj256ELj16ELj64ELj137ElifEEv20rocsparse_direction_T4_S2_PKS2_S4_NS_24const_host_device_scalarIT5_EEPKT3_S4_PKS6_SA_S4_SC_S7_SA_S4_SC_SA_PS2_PS6_21rocsparse_index_base_SF_SF_SF_bbb
                                        ; -- End function
	.section	.AMDGPU.csdata,"",@progbits
; Kernel info:
; codeLenInByte = 4944
; NumSgprs: 54
; NumVgprs: 30
; NumAgprs: 0
; TotalNumVgprs: 30
; ScratchSize: 0
; MemoryBound: 0
; FloatMode: 240
; IeeeMode: 1
; LDSByteSize: 0 bytes/workgroup (compile time only)
; SGPRBlocks: 6
; VGPRBlocks: 3
; NumSGPRsForWavesPerEU: 54
; NumVGPRsForWavesPerEU: 30
; AccumOffset: 32
; Occupancy: 8
; WaveLimiterHint : 1
; COMPUTE_PGM_RSRC2:SCRATCH_EN: 0
; COMPUTE_PGM_RSRC2:USER_SGPR: 6
; COMPUTE_PGM_RSRC2:TRAP_HANDLER: 0
; COMPUTE_PGM_RSRC2:TGID_X_EN: 1
; COMPUTE_PGM_RSRC2:TGID_Y_EN: 0
; COMPUTE_PGM_RSRC2:TGID_Z_EN: 0
; COMPUTE_PGM_RSRC2:TIDIG_COMP_CNT: 0
; COMPUTE_PGM_RSRC3_GFX90A:ACCUM_OFFSET: 7
; COMPUTE_PGM_RSRC3_GFX90A:TG_SPLIT: 0
	.section	.text._ZN9rocsparseL30bsrgemm_fill_block_per_row_2x2ILj256ELj16ELj128ELj137ElifEEv20rocsparse_direction_T4_S2_PKS2_S4_NS_24const_host_device_scalarIT5_EEPKT3_S4_PKS6_SA_S4_SC_S7_SA_S4_SC_SA_PS2_PS6_21rocsparse_index_base_SF_SF_SF_bbb,"axG",@progbits,_ZN9rocsparseL30bsrgemm_fill_block_per_row_2x2ILj256ELj16ELj128ELj137ElifEEv20rocsparse_direction_T4_S2_PKS2_S4_NS_24const_host_device_scalarIT5_EEPKT3_S4_PKS6_SA_S4_SC_S7_SA_S4_SC_SA_PS2_PS6_21rocsparse_index_base_SF_SF_SF_bbb,comdat
	.globl	_ZN9rocsparseL30bsrgemm_fill_block_per_row_2x2ILj256ELj16ELj128ELj137ElifEEv20rocsparse_direction_T4_S2_PKS2_S4_NS_24const_host_device_scalarIT5_EEPKT3_S4_PKS6_SA_S4_SC_S7_SA_S4_SC_SA_PS2_PS6_21rocsparse_index_base_SF_SF_SF_bbb ; -- Begin function _ZN9rocsparseL30bsrgemm_fill_block_per_row_2x2ILj256ELj16ELj128ELj137ElifEEv20rocsparse_direction_T4_S2_PKS2_S4_NS_24const_host_device_scalarIT5_EEPKT3_S4_PKS6_SA_S4_SC_S7_SA_S4_SC_SA_PS2_PS6_21rocsparse_index_base_SF_SF_SF_bbb
	.p2align	8
	.type	_ZN9rocsparseL30bsrgemm_fill_block_per_row_2x2ILj256ELj16ELj128ELj137ElifEEv20rocsparse_direction_T4_S2_PKS2_S4_NS_24const_host_device_scalarIT5_EEPKT3_S4_PKS6_SA_S4_SC_S7_SA_S4_SC_SA_PS2_PS6_21rocsparse_index_base_SF_SF_SF_bbb,@function
_ZN9rocsparseL30bsrgemm_fill_block_per_row_2x2ILj256ELj16ELj128ELj137ElifEEv20rocsparse_direction_T4_S2_PKS2_S4_NS_24const_host_device_scalarIT5_EEPKT3_S4_PKS6_SA_S4_SC_S7_SA_S4_SC_SA_PS2_PS6_21rocsparse_index_base_SF_SF_SF_bbb: ; @_ZN9rocsparseL30bsrgemm_fill_block_per_row_2x2ILj256ELj16ELj128ELj137ElifEEv20rocsparse_direction_T4_S2_PKS2_S4_NS_24const_host_device_scalarIT5_EEPKT3_S4_PKS6_SA_S4_SC_S7_SA_S4_SC_SA_PS2_PS6_21rocsparse_index_base_SF_SF_SF_bbb
; %bb.0:
	s_load_dword s7, s[4:5], 0xa0
	s_load_dwordx2 s[2:3], s[4:5], 0x20
	s_load_dwordx2 s[0:1], s[4:5], 0x58
	s_waitcnt lgkmcnt(0)
	s_bitcmp1_b32 s7, 0
	s_cselect_b64 s[8:9], -1, 0
	s_bitcmp1_b32 s7, 16
	s_cselect_b64 s[10:11], -1, 0
	s_xor_b64 s[12:13], s[8:9], -1
	s_or_b64 s[12:13], s[12:13], s[10:11]
	s_and_b64 vcc, exec, s[12:13]
	s_cbranch_vccnz .LBB171_2
; %bb.1:
	s_load_dword s2, s[2:3], 0x0
	s_waitcnt lgkmcnt(0)
	v_mov_b32_e32 v11, s2
	s_branch .LBB171_3
.LBB171_2:
	v_mov_b32_e32 v1, s2
	v_cndmask_b32_e64 v11, 0, v1, s[8:9]
.LBB171_3:
	s_bitcmp1_b32 s7, 8
	s_cselect_b64 s[2:3], -1, 0
	s_xor_b64 s[12:13], s[2:3], -1
	s_or_b64 s[10:11], s[12:13], s[10:11]
	s_and_b64 vcc, exec, s[10:11]
	s_cbranch_vccnz .LBB171_5
; %bb.4:
	s_load_dword s0, s[0:1], 0x0
	s_waitcnt lgkmcnt(0)
	v_mov_b32_e32 v10, s0
	s_branch .LBB171_6
.LBB171_5:
	v_mov_b32_e32 v1, s0
	v_cndmask_b32_e64 v10, 0, v1, s[2:3]
.LBB171_6:
	s_load_dwordx4 s[36:39], s[4:5], 0x90
	s_load_dword s56, s[4:5], 0x8
	s_movk_i32 s0, 0x80
	v_cmp_gt_u32_e64 s[0:1], s0, v0
	v_lshl_add_u32 v1, v0, 2, 0
	s_and_saveexec_b64 s[10:11], s[0:1]
	s_cbranch_execz .LBB171_8
; %bb.7:
	s_waitcnt lgkmcnt(0)
	v_mov_b32_e32 v2, s56
	ds_write_b32 v1, v2
.LBB171_8:
	s_or_b64 exec, exec, s[10:11]
	s_load_dwordx4 s[28:31], s[4:5], 0x80
	s_load_dwordx8 s[12:19], s[4:5], 0x60
	s_load_dwordx4 s[40:43], s[4:5], 0x48
	s_load_dwordx4 s[44:47], s[4:5], 0x10
	s_load_dwordx8 s[20:27], s[4:5], 0x28
	s_movk_i32 s7, 0x200
	v_cmp_gt_u32_e32 vcc, s7, v0
	s_and_saveexec_b64 s[10:11], vcc
	s_cbranch_execz .LBB171_15
; %bb.9:
	s_mov_b32 s7, 0
	v_add_u32_e32 v2, 0x200, v1
	s_mov_b64 s[34:35], 0
	v_mov_b32_e32 v3, 0
	s_branch .LBB171_11
.LBB171_10:                             ;   in Loop: Header=BB171_11 Depth=1
	s_or_b64 exec, exec, s[50:51]
	s_add_i32 s7, s7, 2
	v_cmp_eq_u32_e64 s[48:49], 2, s7
	s_or_b64 s[34:35], s[48:49], s[34:35]
	v_add_u32_e32 v2, 0x800, v2
	s_andn2_b64 exec, exec, s[34:35]
	s_cbranch_execz .LBB171_15
.LBB171_11:                             ; =>This Inner Loop Header: Depth=1
	s_or_b32 s33, s7, 1
	v_cmp_le_u32_e64 s[48:49], s33, 1
	v_cmp_le_u32_e64 s[52:53], s7, 1
	s_and_saveexec_b64 s[50:51], s[52:53]
	s_cbranch_execz .LBB171_13
; %bb.12:                               ;   in Loop: Header=BB171_11 Depth=1
	ds_write_b32 v2, v3
.LBB171_13:                             ;   in Loop: Header=BB171_11 Depth=1
	s_or_b64 exec, exec, s[50:51]
	s_and_saveexec_b64 s[50:51], s[48:49]
	s_cbranch_execz .LBB171_10
; %bb.14:                               ;   in Loop: Header=BB171_11 Depth=1
	ds_write_b32 v2, v3 offset:1024
	s_branch .LBB171_10
.LBB171_15:
	s_or_b64 exec, exec, s[10:11]
	s_waitcnt lgkmcnt(0)
	s_cmp_eq_u64 s[46:47], 0
	s_barrier
	s_cbranch_scc1 .LBB171_17
; %bb.16:
	s_load_dword s7, s[44:45], 0x0
	s_waitcnt lgkmcnt(0)
	s_add_i32 s6, s7, s6
	s_mov_b32 s7, 0
	s_lshl_b64 s[6:7], s[6:7], 2
	s_add_u32 s6, s46, s6
	s_addc_u32 s7, s47, s7
	s_load_dword s6, s[6:7], 0x0
.LBB171_17:
	s_nop 0
	s_load_dword s33, s[4:5], 0x0
	s_andn2_b64 vcc, exec, s[8:9]
	s_waitcnt lgkmcnt(0)
	s_ashr_i32 s7, s6, 31
	s_cbranch_vccnz .LBB171_73
; %bb.18:
	s_lshl_b64 s[4:5], s[6:7], 3
	s_add_u32 s4, s20, s4
	s_addc_u32 s5, s21, s5
	s_load_dwordx4 s[8:11], s[4:5], 0x0
	v_lshrrev_b32_e32 v2, 4, v0
	v_subrev_co_u32_e32 v2, vcc, s36, v2
	s_mov_b32 s20, 0
	s_waitcnt lgkmcnt(0)
	s_sub_u32 s4, s10, s36
	s_subb_u32 s5, s11, 0
	v_subb_co_u32_e64 v3, s[10:11], 0, 0, vcc
	v_mov_b32_e32 v4, s9
	v_add_co_u32_e32 v2, vcc, s8, v2
	v_addc_co_u32_e32 v3, vcc, v4, v3, vcc
	v_cmp_gt_i64_e32 vcc, s[4:5], v[2:3]
	s_and_saveexec_b64 s[8:9], vcc
	s_cbranch_execz .LBB171_72
; %bb.19:
	v_and_b32_e32 v4, 15, v0
	v_subrev_co_u32_e32 v12, vcc, s37, v4
	s_cmp_eq_u32 s33, 0
	v_subb_co_u32_e64 v13, s[10:11], 0, 0, vcc
	s_mov_b32 s57, s37
	s_cselect_b32 s58, 1, 2
	s_cselect_b32 s59, 2, 1
	s_mov_b64 s[10:11], 0
	v_mov_b32_e32 v14, s23
	v_mov_b32_e32 v15, s27
	;; [unrolled: 1-line block ×3, first 2 shown]
	s_branch .LBB171_21
.LBB171_20:                             ;   in Loop: Header=BB171_21 Depth=1
	s_or_b64 exec, exec, s[20:21]
	v_add_co_u32_e32 v2, vcc, 16, v2
	v_addc_co_u32_e32 v3, vcc, 0, v3, vcc
	v_cmp_le_i64_e32 vcc, s[4:5], v[2:3]
	s_or_b64 s[10:11], vcc, s[10:11]
	s_andn2_b64 exec, exec, s[10:11]
	s_cbranch_execz .LBB171_72
.LBB171_21:                             ; =>This Loop Header: Depth=1
                                        ;     Child Loop BB171_24 Depth 2
                                        ;       Child Loop BB171_26 Depth 3
                                        ;       Child Loop BB171_38 Depth 3
	;; [unrolled: 1-line block ×4, first 2 shown]
	v_lshlrev_b64 v[8:9], 2, v[2:3]
	v_add_co_u32_e32 v4, vcc, s22, v8
	v_addc_co_u32_e32 v5, vcc, v14, v9, vcc
	global_load_dword v4, v[4:5], off
	s_waitcnt vmcnt(0)
	v_subrev_u32_e32 v4, s36, v4
	v_ashrrev_i32_e32 v5, 31, v4
	v_lshlrev_b64 v[4:5], 3, v[4:5]
	v_add_co_u32_e32 v4, vcc, s26, v4
	v_addc_co_u32_e32 v5, vcc, v15, v5, vcc
	global_load_dwordx4 v[18:21], v[4:5], off
	s_waitcnt vmcnt(0)
	v_subrev_co_u32_e32 v4, vcc, s57, v20
	v_subb_co_u32_e32 v5, vcc, v21, v16, vcc
	v_add_co_u32_e32 v6, vcc, v18, v12
	v_addc_co_u32_e32 v7, vcc, v19, v13, vcc
	v_cmp_lt_i64_e32 vcc, v[6:7], v[4:5]
	s_and_saveexec_b64 s[20:21], vcc
	s_cbranch_execz .LBB171_20
; %bb.22:                               ;   in Loop: Header=BB171_21 Depth=1
	v_lshlrev_b64 v[20:21], 4, v[2:3]
	v_or_b32_e32 v19, 0, v9
	v_or_b32_e32 v18, s58, v8
	;; [unrolled: 1-line block ×4, first 2 shown]
	v_mov_b32_e32 v17, s25
	v_add_co_u32_e32 v20, vcc, s24, v20
	v_addc_co_u32_e32 v21, vcc, v17, v21, vcc
	v_lshlrev_b64 v[8:9], 2, v[8:9]
	v_add_co_u32_e32 v8, vcc, s24, v8
	v_addc_co_u32_e32 v9, vcc, v17, v9, vcc
	v_lshlrev_b64 v[18:19], 2, v[18:19]
	v_add_co_u32_e32 v18, vcc, s24, v18
	v_addc_co_u32_e32 v19, vcc, v17, v19, vcc
	global_load_dword v17, v[20:21], off offset:12
	global_load_dword v22, v[8:9], off
	global_load_dword v23, v[18:19], off
	;; [unrolled: 1-line block ×3, first 2 shown]
	s_mov_b64 s[34:35], 0
	s_waitcnt vmcnt(3)
	v_mul_f32_e32 v9, v11, v17
	s_waitcnt vmcnt(2)
	v_mul_f32_e32 v17, v11, v22
	;; [unrolled: 2-line block ×4, first 2 shown]
	s_branch .LBB171_24
.LBB171_23:                             ;   in Loop: Header=BB171_24 Depth=2
	s_or_b64 exec, exec, s[44:45]
	v_add_co_u32_e32 v6, vcc, 16, v6
	v_addc_co_u32_e32 v7, vcc, 0, v7, vcc
	v_cmp_ge_i64_e32 vcc, v[6:7], v[4:5]
	s_or_b64 s[34:35], vcc, s[34:35]
	s_andn2_b64 exec, exec, s[34:35]
	s_cbranch_execz .LBB171_20
.LBB171_24:                             ;   Parent Loop BB171_21 Depth=1
                                        ; =>  This Loop Header: Depth=2
                                        ;       Child Loop BB171_26 Depth 3
                                        ;       Child Loop BB171_38 Depth 3
	;; [unrolled: 1-line block ×4, first 2 shown]
	v_lshlrev_b64 v[20:21], 2, v[6:7]
	v_mov_b32_e32 v8, s41
	v_add_co_u32_e32 v22, vcc, s40, v20
	v_addc_co_u32_e32 v23, vcc, v8, v21, vcc
	v_lshlrev_b64 v[24:25], 4, v[6:7]
	global_load_dword v8, v[22:23], off
	v_or_b32_e32 v23, 0, v21
	v_or_b32_e32 v22, s58, v20
	;; [unrolled: 1-line block ×4, first 2 shown]
	v_mov_b32_e32 v28, s43
	v_add_co_u32_e32 v26, vcc, s42, v24
	v_addc_co_u32_e32 v27, vcc, v28, v25, vcc
	v_lshlrev_b64 v[20:21], 2, v[20:21]
	v_add_co_u32_e32 v20, vcc, s42, v20
	v_lshlrev_b64 v[22:23], 2, v[22:23]
	v_addc_co_u32_e32 v21, vcc, v28, v21, vcc
	global_load_dword v24, v[26:27], off
	global_load_dword v25, v[20:21], off
	v_add_co_u32_e32 v20, vcc, s42, v22
	v_addc_co_u32_e32 v21, vcc, v28, v23, vcc
	global_load_dword v22, v[20:21], off
	global_load_dword v23, v[26:27], off offset:12
	s_mov_b64 s[44:45], 0
	s_waitcnt vmcnt(4)
	v_subrev_u32_e32 v20, s37, v8
	v_lshl_add_u32 v8, v20, 3, v20
	v_and_b32_e32 v21, 0x7f, v8
	v_mov_b32_e32 v27, v21
	s_waitcnt vmcnt(2)
	v_mul_f32_e32 v26, v18, v25
	v_fmac_f32_e32 v26, v19, v24
	s_branch .LBB171_26
.LBB171_25:                             ;   in Loop: Header=BB171_26 Depth=3
	s_or_b64 exec, exec, s[46:47]
	s_xor_b64 s[46:47], s[48:49], -1
	s_and_b64 s[46:47], exec, s[46:47]
	s_or_b64 s[44:45], s[46:47], s[44:45]
	s_andn2_b64 exec, exec, s[44:45]
	s_cbranch_execz .LBB171_36
.LBB171_26:                             ;   Parent Loop BB171_21 Depth=1
                                        ;     Parent Loop BB171_24 Depth=2
                                        ; =>    This Inner Loop Header: Depth=3
	v_lshl_add_u32 v8, v27, 2, 0
	ds_read_b32 v28, v8
                                        ; implicit-def: $sgpr48_sgpr49
	s_waitcnt lgkmcnt(0)
	v_cmp_ne_u32_e32 vcc, v28, v20
	s_and_saveexec_b64 s[46:47], vcc
	s_xor_b64 s[46:47], exec, s[46:47]
	s_cbranch_execz .LBB171_34
; %bb.27:                               ;   in Loop: Header=BB171_26 Depth=3
	v_cmp_ne_u32_e32 vcc, s56, v28
                                        ; implicit-def: $sgpr48_sgpr49
	s_and_saveexec_b64 s[50:51], vcc
	s_xor_b64 s[50:51], exec, s[50:51]
; %bb.28:                               ;   in Loop: Header=BB171_26 Depth=3
	v_add_u32_e32 v8, 1, v27
	v_and_b32_e32 v27, 0x7f, v8
	s_mov_b64 s[48:49], -1
                                        ; implicit-def: $vgpr8
; %bb.29:                               ;   in Loop: Header=BB171_26 Depth=3
	s_andn2_saveexec_b64 s[50:51], s[50:51]
	s_cbranch_execz .LBB171_33
; %bb.30:                               ;   in Loop: Header=BB171_26 Depth=3
	v_mov_b32_e32 v28, s56
	ds_cmpst_rtn_b32 v28, v8, v28, v20
	s_mov_b64 s[52:53], -1
	s_waitcnt lgkmcnt(0)
	v_cmp_eq_u32_e32 vcc, s56, v28
	s_and_saveexec_b64 s[54:55], vcc
	s_cbranch_execz .LBB171_32
; %bb.31:                               ;   in Loop: Header=BB171_26 Depth=3
	v_mad_u64_u32 v[28:29], s[52:53], v27, 12, v[8:9]
	ds_add_f32 v28, v26 offset:512
	s_xor_b64 s[52:53], exec, -1
.LBB171_32:                             ;   in Loop: Header=BB171_26 Depth=3
	s_or_b64 exec, exec, s[54:55]
	s_andn2_b64 s[48:49], s[48:49], exec
	s_and_b64 s[52:53], s[52:53], exec
	s_or_b64 s[48:49], s[48:49], s[52:53]
.LBB171_33:                             ;   in Loop: Header=BB171_26 Depth=3
	s_or_b64 exec, exec, s[50:51]
	s_and_b64 s[48:49], s[48:49], exec
                                        ; implicit-def: $vgpr8
.LBB171_34:                             ;   in Loop: Header=BB171_26 Depth=3
	s_andn2_saveexec_b64 s[46:47], s[46:47]
	s_cbranch_execz .LBB171_25
; %bb.35:                               ;   in Loop: Header=BB171_26 Depth=3
	v_mad_u64_u32 v[28:29], s[50:51], v27, 12, v[8:9]
	ds_add_f32 v28, v26 offset:512
	s_andn2_b64 s[48:49], s[48:49], exec
	s_branch .LBB171_25
.LBB171_36:                             ;   in Loop: Header=BB171_24 Depth=2
	s_or_b64 exec, exec, s[44:45]
	s_waitcnt vmcnt(0)
	v_mul_f32_e32 v26, v18, v23
	v_fmac_f32_e32 v26, v19, v22
	s_mov_b64 s[44:45], 0
	v_mov_b32_e32 v27, v21
	s_branch .LBB171_38
.LBB171_37:                             ;   in Loop: Header=BB171_38 Depth=3
	s_or_b64 exec, exec, s[46:47]
	s_xor_b64 s[46:47], s[48:49], -1
	s_and_b64 s[46:47], exec, s[46:47]
	s_or_b64 s[44:45], s[46:47], s[44:45]
	s_andn2_b64 exec, exec, s[44:45]
	s_cbranch_execz .LBB171_48
.LBB171_38:                             ;   Parent Loop BB171_21 Depth=1
                                        ;     Parent Loop BB171_24 Depth=2
                                        ; =>    This Inner Loop Header: Depth=3
	v_lshl_add_u32 v8, v27, 2, 0
	ds_read_b32 v28, v8
                                        ; implicit-def: $sgpr48_sgpr49
	s_waitcnt lgkmcnt(0)
	v_cmp_ne_u32_e32 vcc, v28, v20
	s_and_saveexec_b64 s[46:47], vcc
	s_xor_b64 s[46:47], exec, s[46:47]
	s_cbranch_execz .LBB171_46
; %bb.39:                               ;   in Loop: Header=BB171_38 Depth=3
	v_cmp_ne_u32_e32 vcc, s56, v28
                                        ; implicit-def: $sgpr48_sgpr49
	s_and_saveexec_b64 s[50:51], vcc
	s_xor_b64 s[50:51], exec, s[50:51]
; %bb.40:                               ;   in Loop: Header=BB171_38 Depth=3
	v_add_u32_e32 v8, 1, v27
	v_and_b32_e32 v27, 0x7f, v8
	s_mov_b64 s[48:49], -1
                                        ; implicit-def: $vgpr8
; %bb.41:                               ;   in Loop: Header=BB171_38 Depth=3
	s_andn2_saveexec_b64 s[50:51], s[50:51]
	s_cbranch_execz .LBB171_45
; %bb.42:                               ;   in Loop: Header=BB171_38 Depth=3
	v_mov_b32_e32 v28, s56
	ds_cmpst_rtn_b32 v28, v8, v28, v20
	s_mov_b64 s[52:53], -1
	s_waitcnt lgkmcnt(0)
	v_cmp_eq_u32_e32 vcc, s56, v28
	s_and_saveexec_b64 s[54:55], vcc
	s_cbranch_execz .LBB171_44
; %bb.43:                               ;   in Loop: Header=BB171_38 Depth=3
	v_mad_u64_u32 v[28:29], s[52:53], v27, 12, v[8:9]
	ds_add_f32 v28, v26 offset:516
	s_xor_b64 s[52:53], exec, -1
.LBB171_44:                             ;   in Loop: Header=BB171_38 Depth=3
	s_or_b64 exec, exec, s[54:55]
	s_andn2_b64 s[48:49], s[48:49], exec
	s_and_b64 s[52:53], s[52:53], exec
	s_or_b64 s[48:49], s[48:49], s[52:53]
.LBB171_45:                             ;   in Loop: Header=BB171_38 Depth=3
	s_or_b64 exec, exec, s[50:51]
	s_and_b64 s[48:49], s[48:49], exec
                                        ; implicit-def: $vgpr8
.LBB171_46:                             ;   in Loop: Header=BB171_38 Depth=3
	s_andn2_saveexec_b64 s[46:47], s[46:47]
	s_cbranch_execz .LBB171_37
; %bb.47:                               ;   in Loop: Header=BB171_38 Depth=3
	v_mad_u64_u32 v[28:29], s[50:51], v27, 12, v[8:9]
	ds_add_f32 v28, v26 offset:516
	s_andn2_b64 s[48:49], s[48:49], exec
	s_branch .LBB171_37
.LBB171_48:                             ;   in Loop: Header=BB171_24 Depth=2
	s_or_b64 exec, exec, s[44:45]
	v_mul_f32_e32 v25, v9, v25
	v_fmac_f32_e32 v25, v17, v24
	s_mov_b64 s[44:45], 0
	v_mov_b32_e32 v24, v21
	s_branch .LBB171_50
.LBB171_49:                             ;   in Loop: Header=BB171_50 Depth=3
	s_or_b64 exec, exec, s[46:47]
	s_xor_b64 s[46:47], s[48:49], -1
	s_and_b64 s[46:47], exec, s[46:47]
	s_or_b64 s[44:45], s[46:47], s[44:45]
	s_andn2_b64 exec, exec, s[44:45]
	s_cbranch_execz .LBB171_60
.LBB171_50:                             ;   Parent Loop BB171_21 Depth=1
                                        ;     Parent Loop BB171_24 Depth=2
                                        ; =>    This Inner Loop Header: Depth=3
	v_lshl_add_u32 v8, v24, 2, 0
	ds_read_b32 v26, v8
                                        ; implicit-def: $sgpr48_sgpr49
	s_waitcnt lgkmcnt(0)
	v_cmp_ne_u32_e32 vcc, v26, v20
	s_and_saveexec_b64 s[46:47], vcc
	s_xor_b64 s[46:47], exec, s[46:47]
	s_cbranch_execz .LBB171_58
; %bb.51:                               ;   in Loop: Header=BB171_50 Depth=3
	v_cmp_ne_u32_e32 vcc, s56, v26
                                        ; implicit-def: $sgpr48_sgpr49
	s_and_saveexec_b64 s[50:51], vcc
	s_xor_b64 s[50:51], exec, s[50:51]
; %bb.52:                               ;   in Loop: Header=BB171_50 Depth=3
	v_add_u32_e32 v8, 1, v24
	v_and_b32_e32 v24, 0x7f, v8
	s_mov_b64 s[48:49], -1
                                        ; implicit-def: $vgpr8
; %bb.53:                               ;   in Loop: Header=BB171_50 Depth=3
	s_andn2_saveexec_b64 s[50:51], s[50:51]
	s_cbranch_execz .LBB171_57
; %bb.54:                               ;   in Loop: Header=BB171_50 Depth=3
	v_mov_b32_e32 v26, s56
	ds_cmpst_rtn_b32 v26, v8, v26, v20
	s_mov_b64 s[52:53], -1
	s_waitcnt lgkmcnt(0)
	v_cmp_eq_u32_e32 vcc, s56, v26
	s_and_saveexec_b64 s[54:55], vcc
	s_cbranch_execz .LBB171_56
; %bb.55:                               ;   in Loop: Header=BB171_50 Depth=3
	v_mad_u64_u32 v[26:27], s[52:53], v24, 12, v[8:9]
	ds_add_f32 v26, v25 offset:520
	s_xor_b64 s[52:53], exec, -1
.LBB171_56:                             ;   in Loop: Header=BB171_50 Depth=3
	s_or_b64 exec, exec, s[54:55]
	s_andn2_b64 s[48:49], s[48:49], exec
	s_and_b64 s[52:53], s[52:53], exec
	s_or_b64 s[48:49], s[48:49], s[52:53]
.LBB171_57:                             ;   in Loop: Header=BB171_50 Depth=3
	s_or_b64 exec, exec, s[50:51]
	s_and_b64 s[48:49], s[48:49], exec
                                        ; implicit-def: $vgpr8
.LBB171_58:                             ;   in Loop: Header=BB171_50 Depth=3
	s_andn2_saveexec_b64 s[46:47], s[46:47]
	s_cbranch_execz .LBB171_49
; %bb.59:                               ;   in Loop: Header=BB171_50 Depth=3
	v_mad_u64_u32 v[26:27], s[50:51], v24, 12, v[8:9]
	ds_add_f32 v26, v25 offset:520
	s_andn2_b64 s[48:49], s[48:49], exec
	s_branch .LBB171_49
.LBB171_60:                             ;   in Loop: Header=BB171_24 Depth=2
	s_or_b64 exec, exec, s[44:45]
	v_mul_f32_e32 v23, v9, v23
	v_fmac_f32_e32 v23, v17, v22
	s_mov_b64 s[44:45], 0
	s_branch .LBB171_62
.LBB171_61:                             ;   in Loop: Header=BB171_62 Depth=3
	s_or_b64 exec, exec, s[46:47]
	s_xor_b64 s[46:47], s[48:49], -1
	s_and_b64 s[46:47], exec, s[46:47]
	s_or_b64 s[44:45], s[46:47], s[44:45]
	s_andn2_b64 exec, exec, s[44:45]
	s_cbranch_execz .LBB171_23
.LBB171_62:                             ;   Parent Loop BB171_21 Depth=1
                                        ;     Parent Loop BB171_24 Depth=2
                                        ; =>    This Inner Loop Header: Depth=3
	v_lshl_add_u32 v8, v21, 2, 0
	ds_read_b32 v22, v8
                                        ; implicit-def: $sgpr48_sgpr49
	s_waitcnt lgkmcnt(0)
	v_cmp_ne_u32_e32 vcc, v22, v20
	s_and_saveexec_b64 s[46:47], vcc
	s_xor_b64 s[46:47], exec, s[46:47]
	s_cbranch_execz .LBB171_70
; %bb.63:                               ;   in Loop: Header=BB171_62 Depth=3
	v_cmp_ne_u32_e32 vcc, s56, v22
                                        ; implicit-def: $sgpr48_sgpr49
	s_and_saveexec_b64 s[50:51], vcc
	s_xor_b64 s[50:51], exec, s[50:51]
; %bb.64:                               ;   in Loop: Header=BB171_62 Depth=3
	v_add_u32_e32 v8, 1, v21
	v_and_b32_e32 v21, 0x7f, v8
	s_mov_b64 s[48:49], -1
                                        ; implicit-def: $vgpr8
; %bb.65:                               ;   in Loop: Header=BB171_62 Depth=3
	s_andn2_saveexec_b64 s[50:51], s[50:51]
	s_cbranch_execz .LBB171_69
; %bb.66:                               ;   in Loop: Header=BB171_62 Depth=3
	v_mov_b32_e32 v22, s56
	ds_cmpst_rtn_b32 v22, v8, v22, v20
	s_mov_b64 s[52:53], -1
	s_waitcnt lgkmcnt(0)
	v_cmp_eq_u32_e32 vcc, s56, v22
	s_and_saveexec_b64 s[54:55], vcc
	s_cbranch_execz .LBB171_68
; %bb.67:                               ;   in Loop: Header=BB171_62 Depth=3
	v_mad_u64_u32 v[24:25], s[52:53], v21, 12, v[8:9]
	ds_add_f32 v24, v23 offset:524
	s_xor_b64 s[52:53], exec, -1
.LBB171_68:                             ;   in Loop: Header=BB171_62 Depth=3
	s_or_b64 exec, exec, s[54:55]
	s_andn2_b64 s[48:49], s[48:49], exec
	s_and_b64 s[52:53], s[52:53], exec
	s_or_b64 s[48:49], s[48:49], s[52:53]
.LBB171_69:                             ;   in Loop: Header=BB171_62 Depth=3
	s_or_b64 exec, exec, s[50:51]
	s_and_b64 s[48:49], s[48:49], exec
                                        ; implicit-def: $vgpr8
.LBB171_70:                             ;   in Loop: Header=BB171_62 Depth=3
	s_andn2_saveexec_b64 s[46:47], s[46:47]
	s_cbranch_execz .LBB171_61
; %bb.71:                               ;   in Loop: Header=BB171_62 Depth=3
	v_mad_u64_u32 v[24:25], s[50:51], v21, 12, v[8:9]
	ds_add_f32 v24, v23 offset:524
	s_andn2_b64 s[48:49], s[48:49], exec
	s_branch .LBB171_61
.LBB171_72:
	s_or_b64 exec, exec, s[8:9]
.LBB171_73:
	s_andn2_b64 vcc, exec, s[2:3]
	s_waitcnt lgkmcnt(0)
	s_barrier
	s_cbranch_vccnz .LBB171_126
; %bb.74:
	s_lshl_b64 s[2:3], s[6:7], 3
	s_add_u32 s2, s12, s2
	s_addc_u32 s3, s13, s3
	s_load_dwordx4 s[8:11], s[2:3], 0x0
	v_subrev_co_u32_e32 v2, vcc, s39, v0
	v_subb_co_u32_e64 v3, s[2:3], 0, 0, vcc
	s_waitcnt lgkmcnt(0)
	s_sub_u32 s2, s10, s39
	v_mov_b32_e32 v4, s9
	v_add_co_u32_e32 v2, vcc, s8, v2
	s_subb_u32 s3, s11, 0
	v_addc_co_u32_e32 v3, vcc, v4, v3, vcc
	v_cmp_gt_i64_e32 vcc, s[2:3], v[2:3]
	s_and_saveexec_b64 s[4:5], vcc
	s_cbranch_execz .LBB171_125
; %bb.75:
	s_cmp_eq_u32 s33, 0
	s_cselect_b32 s34, 1, 2
	s_cselect_b32 s35, 2, 1
	s_mov_b64 s[8:9], 0
	v_mov_b32_e32 v5, s17
	v_mov_b32_e32 v6, s15
	s_branch .LBB171_77
.LBB171_76:                             ;   in Loop: Header=BB171_77 Depth=1
	s_or_b64 exec, exec, s[10:11]
	v_add_co_u32_e32 v2, vcc, 0x100, v2
	v_addc_co_u32_e32 v3, vcc, 0, v3, vcc
	v_cmp_le_i64_e32 vcc, s[2:3], v[2:3]
	s_or_b64 s[8:9], vcc, s[8:9]
	s_andn2_b64 exec, exec, s[8:9]
	s_cbranch_execz .LBB171_125
.LBB171_77:                             ; =>This Loop Header: Depth=1
                                        ;     Child Loop BB171_79 Depth 2
                                        ;     Child Loop BB171_91 Depth 2
	;; [unrolled: 1-line block ×4, first 2 shown]
	v_lshlrev_b64 v[8:9], 2, v[2:3]
	v_lshlrev_b64 v[16:17], 4, v[2:3]
	v_or_b32_e32 v13, 0, v9
	v_or_b32_e32 v12, s34, v8
	v_add_co_u32_e32 v16, vcc, s16, v16
	v_addc_co_u32_e32 v17, vcc, v5, v17, vcc
	v_lshlrev_b64 v[12:13], 2, v[12:13]
	v_add_co_u32_e32 v18, vcc, s16, v12
	v_addc_co_u32_e32 v19, vcc, v5, v13, vcc
	v_or_b32_e32 v14, s35, v8
	v_add_co_u32_e32 v8, vcc, s14, v8
	v_or_b32_e32 v15, 0, v9
	v_addc_co_u32_e32 v9, vcc, v6, v9, vcc
	v_lshlrev_b64 v[12:13], 2, v[14:15]
	global_load_dword v7, v[8:9], off
	global_load_dword v4, v[16:17], off
	v_add_co_u32_e32 v14, vcc, s16, v12
	v_addc_co_u32_e32 v15, vcc, v5, v13, vcc
	global_load_dword v11, v[14:15], off
	global_load_dword v12, v[18:19], off
	global_load_dword v9, v[16:17], off offset:12
	s_mov_b64 s[10:11], 0
	s_waitcnt vmcnt(4)
	v_subrev_u32_e32 v7, s39, v7
	s_waitcnt vmcnt(3)
	v_mul_f32_e32 v13, v10, v4
	v_lshl_add_u32 v4, v7, 3, v7
	v_and_b32_e32 v8, 0x7f, v4
	v_mov_b32_e32 v14, v8
	s_branch .LBB171_79
.LBB171_78:                             ;   in Loop: Header=BB171_79 Depth=2
	s_or_b64 exec, exec, s[12:13]
	s_xor_b64 s[12:13], s[20:21], -1
	s_and_b64 s[12:13], exec, s[12:13]
	s_or_b64 s[10:11], s[12:13], s[10:11]
	s_andn2_b64 exec, exec, s[10:11]
	s_cbranch_execz .LBB171_89
.LBB171_79:                             ;   Parent Loop BB171_77 Depth=1
                                        ; =>  This Inner Loop Header: Depth=2
	v_lshl_add_u32 v4, v14, 2, 0
	ds_read_b32 v15, v4
                                        ; implicit-def: $sgpr20_sgpr21
	s_waitcnt lgkmcnt(0)
	v_cmp_ne_u32_e32 vcc, v15, v7
	s_and_saveexec_b64 s[12:13], vcc
	s_xor_b64 s[12:13], exec, s[12:13]
	s_cbranch_execz .LBB171_87
; %bb.80:                               ;   in Loop: Header=BB171_79 Depth=2
	v_cmp_ne_u32_e32 vcc, s56, v15
                                        ; implicit-def: $sgpr20_sgpr21
	s_and_saveexec_b64 s[22:23], vcc
	s_xor_b64 s[22:23], exec, s[22:23]
; %bb.81:                               ;   in Loop: Header=BB171_79 Depth=2
	v_add_u32_e32 v4, 1, v14
	v_and_b32_e32 v14, 0x7f, v4
	s_mov_b64 s[20:21], -1
                                        ; implicit-def: $vgpr4
; %bb.82:                               ;   in Loop: Header=BB171_79 Depth=2
	s_andn2_saveexec_b64 s[22:23], s[22:23]
	s_cbranch_execz .LBB171_86
; %bb.83:                               ;   in Loop: Header=BB171_79 Depth=2
	v_mov_b32_e32 v15, s56
	ds_cmpst_rtn_b32 v15, v4, v15, v7
	s_mov_b64 s[24:25], -1
	s_waitcnt lgkmcnt(0)
	v_cmp_eq_u32_e32 vcc, s56, v15
	s_and_saveexec_b64 s[26:27], vcc
	s_cbranch_execz .LBB171_85
; %bb.84:                               ;   in Loop: Header=BB171_79 Depth=2
	v_mad_u64_u32 v[16:17], s[24:25], v14, 12, v[4:5]
	ds_add_f32 v16, v13 offset:512
	s_xor_b64 s[24:25], exec, -1
.LBB171_85:                             ;   in Loop: Header=BB171_79 Depth=2
	s_or_b64 exec, exec, s[26:27]
	s_andn2_b64 s[20:21], s[20:21], exec
	s_and_b64 s[24:25], s[24:25], exec
	s_or_b64 s[20:21], s[20:21], s[24:25]
.LBB171_86:                             ;   in Loop: Header=BB171_79 Depth=2
	s_or_b64 exec, exec, s[22:23]
	s_and_b64 s[20:21], s[20:21], exec
                                        ; implicit-def: $vgpr4
.LBB171_87:                             ;   in Loop: Header=BB171_79 Depth=2
	s_andn2_saveexec_b64 s[12:13], s[12:13]
	s_cbranch_execz .LBB171_78
; %bb.88:                               ;   in Loop: Header=BB171_79 Depth=2
	v_mad_u64_u32 v[16:17], s[22:23], v14, 12, v[4:5]
	ds_add_f32 v16, v13 offset:512
	s_andn2_b64 s[20:21], s[20:21], exec
	s_branch .LBB171_78
.LBB171_89:                             ;   in Loop: Header=BB171_77 Depth=1
	s_or_b64 exec, exec, s[10:11]
	s_waitcnt vmcnt(1)
	v_mul_f32_e32 v12, v10, v12
	s_mov_b64 s[10:11], 0
	v_mov_b32_e32 v13, v8
	s_branch .LBB171_91
.LBB171_90:                             ;   in Loop: Header=BB171_91 Depth=2
	s_or_b64 exec, exec, s[12:13]
	s_xor_b64 s[12:13], s[20:21], -1
	s_and_b64 s[12:13], exec, s[12:13]
	s_or_b64 s[10:11], s[12:13], s[10:11]
	s_andn2_b64 exec, exec, s[10:11]
	s_cbranch_execz .LBB171_101
.LBB171_91:                             ;   Parent Loop BB171_77 Depth=1
                                        ; =>  This Inner Loop Header: Depth=2
	v_lshl_add_u32 v4, v13, 2, 0
	ds_read_b32 v14, v4
                                        ; implicit-def: $sgpr20_sgpr21
	s_waitcnt lgkmcnt(0)
	v_cmp_ne_u32_e32 vcc, v14, v7
	s_and_saveexec_b64 s[12:13], vcc
	s_xor_b64 s[12:13], exec, s[12:13]
	s_cbranch_execz .LBB171_99
; %bb.92:                               ;   in Loop: Header=BB171_91 Depth=2
	v_cmp_ne_u32_e32 vcc, s56, v14
                                        ; implicit-def: $sgpr20_sgpr21
	s_and_saveexec_b64 s[22:23], vcc
	s_xor_b64 s[22:23], exec, s[22:23]
; %bb.93:                               ;   in Loop: Header=BB171_91 Depth=2
	v_add_u32_e32 v4, 1, v13
	v_and_b32_e32 v13, 0x7f, v4
	s_mov_b64 s[20:21], -1
                                        ; implicit-def: $vgpr4
; %bb.94:                               ;   in Loop: Header=BB171_91 Depth=2
	s_andn2_saveexec_b64 s[22:23], s[22:23]
	s_cbranch_execz .LBB171_98
; %bb.95:                               ;   in Loop: Header=BB171_91 Depth=2
	v_mov_b32_e32 v14, s56
	ds_cmpst_rtn_b32 v14, v4, v14, v7
	s_mov_b64 s[24:25], -1
	s_waitcnt lgkmcnt(0)
	v_cmp_eq_u32_e32 vcc, s56, v14
	s_and_saveexec_b64 s[26:27], vcc
	s_cbranch_execz .LBB171_97
; %bb.96:                               ;   in Loop: Header=BB171_91 Depth=2
	v_mad_u64_u32 v[14:15], s[24:25], v13, 12, v[4:5]
	ds_add_f32 v14, v12 offset:516
	s_xor_b64 s[24:25], exec, -1
.LBB171_97:                             ;   in Loop: Header=BB171_91 Depth=2
	s_or_b64 exec, exec, s[26:27]
	s_andn2_b64 s[20:21], s[20:21], exec
	s_and_b64 s[24:25], s[24:25], exec
	s_or_b64 s[20:21], s[20:21], s[24:25]
.LBB171_98:                             ;   in Loop: Header=BB171_91 Depth=2
	s_or_b64 exec, exec, s[22:23]
	s_and_b64 s[20:21], s[20:21], exec
                                        ; implicit-def: $vgpr4
.LBB171_99:                             ;   in Loop: Header=BB171_91 Depth=2
	s_andn2_saveexec_b64 s[12:13], s[12:13]
	s_cbranch_execz .LBB171_90
; %bb.100:                              ;   in Loop: Header=BB171_91 Depth=2
	v_mad_u64_u32 v[14:15], s[22:23], v13, 12, v[4:5]
	ds_add_f32 v14, v12 offset:516
	s_andn2_b64 s[20:21], s[20:21], exec
	s_branch .LBB171_90
.LBB171_101:                            ;   in Loop: Header=BB171_77 Depth=1
	s_or_b64 exec, exec, s[10:11]
	v_mul_f32_e32 v11, v10, v11
	s_mov_b64 s[10:11], 0
	v_mov_b32_e32 v12, v8
	s_branch .LBB171_103
.LBB171_102:                            ;   in Loop: Header=BB171_103 Depth=2
	s_or_b64 exec, exec, s[12:13]
	s_xor_b64 s[12:13], s[20:21], -1
	s_and_b64 s[12:13], exec, s[12:13]
	s_or_b64 s[10:11], s[12:13], s[10:11]
	s_andn2_b64 exec, exec, s[10:11]
	s_cbranch_execz .LBB171_113
.LBB171_103:                            ;   Parent Loop BB171_77 Depth=1
                                        ; =>  This Inner Loop Header: Depth=2
	v_lshl_add_u32 v4, v12, 2, 0
	ds_read_b32 v13, v4
                                        ; implicit-def: $sgpr20_sgpr21
	s_waitcnt lgkmcnt(0)
	v_cmp_ne_u32_e32 vcc, v13, v7
	s_and_saveexec_b64 s[12:13], vcc
	s_xor_b64 s[12:13], exec, s[12:13]
	s_cbranch_execz .LBB171_111
; %bb.104:                              ;   in Loop: Header=BB171_103 Depth=2
	v_cmp_ne_u32_e32 vcc, s56, v13
                                        ; implicit-def: $sgpr20_sgpr21
	s_and_saveexec_b64 s[22:23], vcc
	s_xor_b64 s[22:23], exec, s[22:23]
; %bb.105:                              ;   in Loop: Header=BB171_103 Depth=2
	v_add_u32_e32 v4, 1, v12
	v_and_b32_e32 v12, 0x7f, v4
	s_mov_b64 s[20:21], -1
                                        ; implicit-def: $vgpr4
; %bb.106:                              ;   in Loop: Header=BB171_103 Depth=2
	s_andn2_saveexec_b64 s[22:23], s[22:23]
	s_cbranch_execz .LBB171_110
; %bb.107:                              ;   in Loop: Header=BB171_103 Depth=2
	v_mov_b32_e32 v13, s56
	ds_cmpst_rtn_b32 v13, v4, v13, v7
	s_mov_b64 s[24:25], -1
	s_waitcnt lgkmcnt(0)
	v_cmp_eq_u32_e32 vcc, s56, v13
	s_and_saveexec_b64 s[26:27], vcc
	s_cbranch_execz .LBB171_109
; %bb.108:                              ;   in Loop: Header=BB171_103 Depth=2
	v_mad_u64_u32 v[14:15], s[24:25], v12, 12, v[4:5]
	ds_add_f32 v14, v11 offset:520
	s_xor_b64 s[24:25], exec, -1
.LBB171_109:                            ;   in Loop: Header=BB171_103 Depth=2
	s_or_b64 exec, exec, s[26:27]
	s_andn2_b64 s[20:21], s[20:21], exec
	s_and_b64 s[24:25], s[24:25], exec
	s_or_b64 s[20:21], s[20:21], s[24:25]
.LBB171_110:                            ;   in Loop: Header=BB171_103 Depth=2
	s_or_b64 exec, exec, s[22:23]
	s_and_b64 s[20:21], s[20:21], exec
                                        ; implicit-def: $vgpr4
.LBB171_111:                            ;   in Loop: Header=BB171_103 Depth=2
	s_andn2_saveexec_b64 s[12:13], s[12:13]
	s_cbranch_execz .LBB171_102
; %bb.112:                              ;   in Loop: Header=BB171_103 Depth=2
	v_mad_u64_u32 v[14:15], s[22:23], v12, 12, v[4:5]
	ds_add_f32 v14, v11 offset:520
	s_andn2_b64 s[20:21], s[20:21], exec
	s_branch .LBB171_102
.LBB171_113:                            ;   in Loop: Header=BB171_77 Depth=1
	s_or_b64 exec, exec, s[10:11]
	s_waitcnt vmcnt(0)
	v_mul_f32_e32 v9, v10, v9
	s_mov_b64 s[10:11], 0
	s_branch .LBB171_115
.LBB171_114:                            ;   in Loop: Header=BB171_115 Depth=2
	s_or_b64 exec, exec, s[12:13]
	s_xor_b64 s[12:13], s[20:21], -1
	s_and_b64 s[12:13], exec, s[12:13]
	s_or_b64 s[10:11], s[12:13], s[10:11]
	s_andn2_b64 exec, exec, s[10:11]
	s_cbranch_execz .LBB171_76
.LBB171_115:                            ;   Parent Loop BB171_77 Depth=1
                                        ; =>  This Inner Loop Header: Depth=2
	v_lshl_add_u32 v4, v8, 2, 0
	ds_read_b32 v11, v4
                                        ; implicit-def: $sgpr20_sgpr21
	s_waitcnt lgkmcnt(0)
	v_cmp_ne_u32_e32 vcc, v11, v7
	s_and_saveexec_b64 s[12:13], vcc
	s_xor_b64 s[12:13], exec, s[12:13]
	s_cbranch_execz .LBB171_123
; %bb.116:                              ;   in Loop: Header=BB171_115 Depth=2
	v_cmp_ne_u32_e32 vcc, s56, v11
                                        ; implicit-def: $sgpr20_sgpr21
	s_and_saveexec_b64 s[22:23], vcc
	s_xor_b64 s[22:23], exec, s[22:23]
; %bb.117:                              ;   in Loop: Header=BB171_115 Depth=2
	v_add_u32_e32 v4, 1, v8
	v_and_b32_e32 v8, 0x7f, v4
	s_mov_b64 s[20:21], -1
                                        ; implicit-def: $vgpr4
; %bb.118:                              ;   in Loop: Header=BB171_115 Depth=2
	s_andn2_saveexec_b64 s[22:23], s[22:23]
	s_cbranch_execz .LBB171_122
; %bb.119:                              ;   in Loop: Header=BB171_115 Depth=2
	v_mov_b32_e32 v11, s56
	ds_cmpst_rtn_b32 v11, v4, v11, v7
	s_mov_b64 s[24:25], -1
	s_waitcnt lgkmcnt(0)
	v_cmp_eq_u32_e32 vcc, s56, v11
	s_and_saveexec_b64 s[26:27], vcc
	s_cbranch_execz .LBB171_121
; %bb.120:                              ;   in Loop: Header=BB171_115 Depth=2
	v_mad_u64_u32 v[12:13], s[24:25], v8, 12, v[4:5]
	ds_add_f32 v12, v9 offset:524
	s_xor_b64 s[24:25], exec, -1
.LBB171_121:                            ;   in Loop: Header=BB171_115 Depth=2
	s_or_b64 exec, exec, s[26:27]
	s_andn2_b64 s[20:21], s[20:21], exec
	s_and_b64 s[24:25], s[24:25], exec
	s_or_b64 s[20:21], s[20:21], s[24:25]
.LBB171_122:                            ;   in Loop: Header=BB171_115 Depth=2
	s_or_b64 exec, exec, s[22:23]
	s_and_b64 s[20:21], s[20:21], exec
                                        ; implicit-def: $vgpr4
.LBB171_123:                            ;   in Loop: Header=BB171_115 Depth=2
	s_andn2_saveexec_b64 s[12:13], s[12:13]
	s_cbranch_execz .LBB171_114
; %bb.124:                              ;   in Loop: Header=BB171_115 Depth=2
	v_mad_u64_u32 v[12:13], s[22:23], v8, 12, v[4:5]
	ds_add_f32 v12, v9 offset:524
	s_andn2_b64 s[20:21], s[20:21], exec
	s_branch .LBB171_114
.LBB171_125:
	s_or_b64 exec, exec, s[4:5]
.LBB171_126:
	s_waitcnt lgkmcnt(0)
	s_barrier
	s_and_saveexec_b64 s[2:3], s[0:1]
	s_cbranch_execz .LBB171_131
; %bb.127:
	ds_read_b32 v1, v1
	s_mov_b32 s0, 0
	s_waitcnt lgkmcnt(0)
	v_cmp_gt_i32_e32 vcc, s56, v1
	s_and_b64 exec, exec, vcc
	s_cbranch_execz .LBB171_131
; %bb.128:
	s_lshl_b64 s[2:3], s[6:7], 3
	s_add_u32 s2, s18, s2
	s_addc_u32 s3, s19, s3
	s_load_dwordx2 s[2:3], s[2:3], 0x0
	s_waitcnt lgkmcnt(0)
	s_sub_u32 s2, s2, s38
	s_subb_u32 s3, s3, 0
	v_pk_mov_b32 v[2:3], s[2:3], s[2:3] op_sel:[0,1]
.LBB171_129:                            ; =>This Inner Loop Header: Depth=1
	s_add_i32 s1, s0, 0
	v_mov_b32_e32 v18, s1
	ds_read2_b32 v[4:5], v18 offset1:1
	ds_read2_b32 v[6:7], v18 offset0:2 offset1:3
	ds_read2_b32 v[8:9], v18 offset0:4 offset1:5
	;; [unrolled: 1-line block ×7, first 2 shown]
	s_waitcnt lgkmcnt(7)
	v_cmp_gt_i32_e32 vcc, v1, v4
	v_cndmask_b32_e64 v4, 0, 1, vcc
	v_cmp_gt_i32_e32 vcc, v1, v5
	v_cndmask_b32_e64 v5, 0, 1, vcc
	s_waitcnt lgkmcnt(6)
	v_cmp_gt_i32_e32 vcc, v1, v6
	v_cndmask_b32_e64 v6, 0, 1, vcc
	v_cmp_gt_i32_e32 vcc, v1, v7
	v_cndmask_b32_e64 v7, 0, 1, vcc
	;; [unrolled: 5-line block ×8, first 2 shown]
	v_add_co_u32_e32 v2, vcc, v2, v4
	v_addc_co_u32_e32 v3, vcc, 0, v3, vcc
	v_add_co_u32_e32 v2, vcc, v2, v5
	v_addc_co_u32_e32 v3, vcc, 0, v3, vcc
	v_add_co_u32_e32 v2, vcc, v2, v6
	v_addc_co_u32_e32 v3, vcc, 0, v3, vcc
	v_add_co_u32_e32 v2, vcc, v2, v7
	v_addc_co_u32_e32 v3, vcc, 0, v3, vcc
	v_add_co_u32_e32 v2, vcc, v2, v8
	v_addc_co_u32_e32 v3, vcc, 0, v3, vcc
	v_add_co_u32_e32 v2, vcc, v2, v9
	v_addc_co_u32_e32 v3, vcc, 0, v3, vcc
	v_add_co_u32_e32 v2, vcc, v2, v10
	v_addc_co_u32_e32 v3, vcc, 0, v3, vcc
	v_add_co_u32_e32 v2, vcc, v2, v11
	v_addc_co_u32_e32 v3, vcc, 0, v3, vcc
	v_add_co_u32_e32 v2, vcc, v2, v12
	v_addc_co_u32_e32 v3, vcc, 0, v3, vcc
	v_add_co_u32_e32 v2, vcc, v2, v13
	v_addc_co_u32_e32 v3, vcc, 0, v3, vcc
	v_add_co_u32_e32 v2, vcc, v2, v14
	v_addc_co_u32_e32 v3, vcc, 0, v3, vcc
	v_add_co_u32_e32 v2, vcc, v2, v15
	v_addc_co_u32_e32 v3, vcc, 0, v3, vcc
	v_add_co_u32_e32 v2, vcc, v2, v16
	v_addc_co_u32_e32 v3, vcc, 0, v3, vcc
	v_add_co_u32_e32 v2, vcc, v2, v17
	v_addc_co_u32_e32 v3, vcc, 0, v3, vcc
	v_add_co_u32_e32 v2, vcc, v2, v18
	v_addc_co_u32_e32 v3, vcc, 0, v3, vcc
	s_add_i32 s0, s0, 64
	v_add_co_u32_e32 v2, vcc, v2, v19
	s_cmpk_lg_i32 s0, 0x200
	v_addc_co_u32_e32 v3, vcc, 0, v3, vcc
	s_cbranch_scc1 .LBB171_129
; %bb.130:
	v_lshlrev_b64 v[4:5], 2, v[2:3]
	s_add_i32 s0, 0, 0x200
	v_mov_b32_e32 v6, s29
	v_add_co_u32_e32 v4, vcc, s28, v4
	s_cmp_eq_u32 s33, 0
	v_add_u32_e32 v1, s38, v1
	v_addc_co_u32_e32 v5, vcc, v6, v5, vcc
	v_lshlrev_b32_e32 v6, 4, v0
	global_store_dword v[4:5], v1, off
	v_lshlrev_b32_e32 v1, 2, v0
	v_lshlrev_b64 v[4:5], 4, v[2:3]
	v_add_u32_e32 v3, s0, v6
	s_cselect_b32 s0, 1, 2
	s_cselect_b32 s1, 2, 1
	v_or_b32_e32 v2, s0, v1
	v_or_b32_e32 v1, s1, v1
	v_add_u32_e32 v0, 0, v6
	v_lshl_add_u32 v1, v1, 2, 0
	ds_read_b32 v0, v0 offset:512
	v_lshl_add_u32 v6, v2, 2, 0
	ds_read_b32 v2, v1 offset:512
	ds_read_b32 v1, v6 offset:512
	;; [unrolled: 1-line block ×3, first 2 shown]
	v_mov_b32_e32 v7, s31
	v_add_co_u32_e32 v4, vcc, s30, v4
	v_addc_co_u32_e32 v5, vcc, v7, v5, vcc
	s_waitcnt lgkmcnt(0)
	global_store_dwordx4 v[4:5], v[0:3], off
.LBB171_131:
	s_endpgm
	.section	.rodata,"a",@progbits
	.p2align	6, 0x0
	.amdhsa_kernel _ZN9rocsparseL30bsrgemm_fill_block_per_row_2x2ILj256ELj16ELj128ELj137ElifEEv20rocsparse_direction_T4_S2_PKS2_S4_NS_24const_host_device_scalarIT5_EEPKT3_S4_PKS6_SA_S4_SC_S7_SA_S4_SC_SA_PS2_PS6_21rocsparse_index_base_SF_SF_SF_bbb
		.amdhsa_group_segment_fixed_size 0
		.amdhsa_private_segment_fixed_size 0
		.amdhsa_kernarg_size 164
		.amdhsa_user_sgpr_count 6
		.amdhsa_user_sgpr_private_segment_buffer 1
		.amdhsa_user_sgpr_dispatch_ptr 0
		.amdhsa_user_sgpr_queue_ptr 0
		.amdhsa_user_sgpr_kernarg_segment_ptr 1
		.amdhsa_user_sgpr_dispatch_id 0
		.amdhsa_user_sgpr_flat_scratch_init 0
		.amdhsa_user_sgpr_kernarg_preload_length 0
		.amdhsa_user_sgpr_kernarg_preload_offset 0
		.amdhsa_user_sgpr_private_segment_size 0
		.amdhsa_uses_dynamic_stack 0
		.amdhsa_system_sgpr_private_segment_wavefront_offset 0
		.amdhsa_system_sgpr_workgroup_id_x 1
		.amdhsa_system_sgpr_workgroup_id_y 0
		.amdhsa_system_sgpr_workgroup_id_z 0
		.amdhsa_system_sgpr_workgroup_info 0
		.amdhsa_system_vgpr_workitem_id 0
		.amdhsa_next_free_vgpr 30
		.amdhsa_next_free_sgpr 60
		.amdhsa_accum_offset 32
		.amdhsa_reserve_vcc 1
		.amdhsa_reserve_flat_scratch 0
		.amdhsa_float_round_mode_32 0
		.amdhsa_float_round_mode_16_64 0
		.amdhsa_float_denorm_mode_32 3
		.amdhsa_float_denorm_mode_16_64 3
		.amdhsa_dx10_clamp 1
		.amdhsa_ieee_mode 1
		.amdhsa_fp16_overflow 0
		.amdhsa_tg_split 0
		.amdhsa_exception_fp_ieee_invalid_op 0
		.amdhsa_exception_fp_denorm_src 0
		.amdhsa_exception_fp_ieee_div_zero 0
		.amdhsa_exception_fp_ieee_overflow 0
		.amdhsa_exception_fp_ieee_underflow 0
		.amdhsa_exception_fp_ieee_inexact 0
		.amdhsa_exception_int_div_zero 0
	.end_amdhsa_kernel
	.section	.text._ZN9rocsparseL30bsrgemm_fill_block_per_row_2x2ILj256ELj16ELj128ELj137ElifEEv20rocsparse_direction_T4_S2_PKS2_S4_NS_24const_host_device_scalarIT5_EEPKT3_S4_PKS6_SA_S4_SC_S7_SA_S4_SC_SA_PS2_PS6_21rocsparse_index_base_SF_SF_SF_bbb,"axG",@progbits,_ZN9rocsparseL30bsrgemm_fill_block_per_row_2x2ILj256ELj16ELj128ELj137ElifEEv20rocsparse_direction_T4_S2_PKS2_S4_NS_24const_host_device_scalarIT5_EEPKT3_S4_PKS6_SA_S4_SC_S7_SA_S4_SC_SA_PS2_PS6_21rocsparse_index_base_SF_SF_SF_bbb,comdat
.Lfunc_end171:
	.size	_ZN9rocsparseL30bsrgemm_fill_block_per_row_2x2ILj256ELj16ELj128ELj137ElifEEv20rocsparse_direction_T4_S2_PKS2_S4_NS_24const_host_device_scalarIT5_EEPKT3_S4_PKS6_SA_S4_SC_S7_SA_S4_SC_SA_PS2_PS6_21rocsparse_index_base_SF_SF_SF_bbb, .Lfunc_end171-_ZN9rocsparseL30bsrgemm_fill_block_per_row_2x2ILj256ELj16ELj128ELj137ElifEEv20rocsparse_direction_T4_S2_PKS2_S4_NS_24const_host_device_scalarIT5_EEPKT3_S4_PKS6_SA_S4_SC_S7_SA_S4_SC_SA_PS2_PS6_21rocsparse_index_base_SF_SF_SF_bbb
                                        ; -- End function
	.section	.AMDGPU.csdata,"",@progbits
; Kernel info:
; codeLenInByte = 3832
; NumSgprs: 64
; NumVgprs: 30
; NumAgprs: 0
; TotalNumVgprs: 30
; ScratchSize: 0
; MemoryBound: 0
; FloatMode: 240
; IeeeMode: 1
; LDSByteSize: 0 bytes/workgroup (compile time only)
; SGPRBlocks: 7
; VGPRBlocks: 3
; NumSGPRsForWavesPerEU: 64
; NumVGPRsForWavesPerEU: 30
; AccumOffset: 32
; Occupancy: 8
; WaveLimiterHint : 1
; COMPUTE_PGM_RSRC2:SCRATCH_EN: 0
; COMPUTE_PGM_RSRC2:USER_SGPR: 6
; COMPUTE_PGM_RSRC2:TRAP_HANDLER: 0
; COMPUTE_PGM_RSRC2:TGID_X_EN: 1
; COMPUTE_PGM_RSRC2:TGID_Y_EN: 0
; COMPUTE_PGM_RSRC2:TGID_Z_EN: 0
; COMPUTE_PGM_RSRC2:TIDIG_COMP_CNT: 0
; COMPUTE_PGM_RSRC3_GFX90A:ACCUM_OFFSET: 7
; COMPUTE_PGM_RSRC3_GFX90A:TG_SPLIT: 0
	.section	.text._ZN9rocsparseL30bsrgemm_fill_block_per_row_2x2ILj256ELj16ELj256ELj137ElifEEv20rocsparse_direction_T4_S2_PKS2_S4_NS_24const_host_device_scalarIT5_EEPKT3_S4_PKS6_SA_S4_SC_S7_SA_S4_SC_SA_PS2_PS6_21rocsparse_index_base_SF_SF_SF_bbb,"axG",@progbits,_ZN9rocsparseL30bsrgemm_fill_block_per_row_2x2ILj256ELj16ELj256ELj137ElifEEv20rocsparse_direction_T4_S2_PKS2_S4_NS_24const_host_device_scalarIT5_EEPKT3_S4_PKS6_SA_S4_SC_S7_SA_S4_SC_SA_PS2_PS6_21rocsparse_index_base_SF_SF_SF_bbb,comdat
	.globl	_ZN9rocsparseL30bsrgemm_fill_block_per_row_2x2ILj256ELj16ELj256ELj137ElifEEv20rocsparse_direction_T4_S2_PKS2_S4_NS_24const_host_device_scalarIT5_EEPKT3_S4_PKS6_SA_S4_SC_S7_SA_S4_SC_SA_PS2_PS6_21rocsparse_index_base_SF_SF_SF_bbb ; -- Begin function _ZN9rocsparseL30bsrgemm_fill_block_per_row_2x2ILj256ELj16ELj256ELj137ElifEEv20rocsparse_direction_T4_S2_PKS2_S4_NS_24const_host_device_scalarIT5_EEPKT3_S4_PKS6_SA_S4_SC_S7_SA_S4_SC_SA_PS2_PS6_21rocsparse_index_base_SF_SF_SF_bbb
	.p2align	8
	.type	_ZN9rocsparseL30bsrgemm_fill_block_per_row_2x2ILj256ELj16ELj256ELj137ElifEEv20rocsparse_direction_T4_S2_PKS2_S4_NS_24const_host_device_scalarIT5_EEPKT3_S4_PKS6_SA_S4_SC_S7_SA_S4_SC_SA_PS2_PS6_21rocsparse_index_base_SF_SF_SF_bbb,@function
_ZN9rocsparseL30bsrgemm_fill_block_per_row_2x2ILj256ELj16ELj256ELj137ElifEEv20rocsparse_direction_T4_S2_PKS2_S4_NS_24const_host_device_scalarIT5_EEPKT3_S4_PKS6_SA_S4_SC_S7_SA_S4_SC_SA_PS2_PS6_21rocsparse_index_base_SF_SF_SF_bbb: ; @_ZN9rocsparseL30bsrgemm_fill_block_per_row_2x2ILj256ELj16ELj256ELj137ElifEEv20rocsparse_direction_T4_S2_PKS2_S4_NS_24const_host_device_scalarIT5_EEPKT3_S4_PKS6_SA_S4_SC_S7_SA_S4_SC_SA_PS2_PS6_21rocsparse_index_base_SF_SF_SF_bbb
; %bb.0:
	s_load_dword s7, s[4:5], 0xa0
	s_load_dwordx2 s[2:3], s[4:5], 0x20
	s_load_dwordx2 s[0:1], s[4:5], 0x58
	s_waitcnt lgkmcnt(0)
	s_bitcmp1_b32 s7, 0
	s_cselect_b64 s[8:9], -1, 0
	s_bitcmp1_b32 s7, 16
	s_cselect_b64 s[10:11], -1, 0
	s_xor_b64 s[12:13], s[8:9], -1
	s_or_b64 s[12:13], s[12:13], s[10:11]
	s_and_b64 vcc, exec, s[12:13]
	s_cbranch_vccnz .LBB172_2
; %bb.1:
	s_load_dword s2, s[2:3], 0x0
	s_waitcnt lgkmcnt(0)
	v_mov_b32_e32 v1, s2
	s_branch .LBB172_3
.LBB172_2:
	v_mov_b32_e32 v1, s2
	v_cndmask_b32_e64 v1, 0, v1, s[8:9]
.LBB172_3:
	s_load_dwordx4 s[36:39], s[4:5], 0x90
	s_bitcmp1_b32 s7, 8
	s_cselect_b64 s[2:3], -1, 0
	s_xor_b64 s[12:13], s[2:3], -1
	s_or_b64 s[10:11], s[12:13], s[10:11]
	s_and_b64 vcc, exec, s[10:11]
	s_cbranch_vccnz .LBB172_5
; %bb.4:
	s_load_dword s0, s[0:1], 0x0
	s_waitcnt lgkmcnt(0)
	v_mov_b32_e32 v11, s0
	s_branch .LBB172_6
.LBB172_5:
	v_mov_b32_e32 v2, s0
	v_cndmask_b32_e64 v11, 0, v2, s[2:3]
.LBB172_6:
	s_load_dwordx4 s[28:31], s[4:5], 0x80
	s_load_dwordx8 s[12:19], s[4:5], 0x60
	s_load_dwordx4 s[40:43], s[4:5], 0x48
	s_load_dwordx8 s[20:27], s[4:5], 0x28
	s_load_dwordx4 s[44:47], s[4:5], 0x10
	s_load_dword s56, s[4:5], 0x8
	s_movk_i32 s0, 0x100
	v_cmp_gt_u32_e64 s[0:1], s0, v0
	v_lshl_add_u32 v12, v0, 2, 0
	s_and_saveexec_b64 s[10:11], s[0:1]
	s_cbranch_execz .LBB172_8
; %bb.7:
	s_waitcnt lgkmcnt(0)
	v_mov_b32_e32 v2, s56
	ds_write_b32 v12, v2
.LBB172_8:
	s_or_b64 exec, exec, s[10:11]
	v_lshlrev_b32_e32 v10, 2, v0
	v_add_u32_e32 v2, 0, v10
	s_mov_b32 s7, 0
	v_add_u32_e32 v2, 0x400, v2
	s_mov_b64 s[10:11], 0
	v_mov_b32_e32 v3, 0
	s_branch .LBB172_10
.LBB172_9:                              ;   in Loop: Header=BB172_10 Depth=1
	s_or_b64 exec, exec, s[48:49]
	s_add_i32 s7, s7, 2
	v_cmp_eq_u32_e64 s[34:35], 4, s7
	s_or_b64 s[10:11], s[34:35], s[10:11]
	v_add_u32_e32 v2, 0x800, v2
	s_andn2_b64 exec, exec, s[10:11]
	s_cbranch_execz .LBB172_14
.LBB172_10:                             ; =>This Inner Loop Header: Depth=1
	s_or_b32 s33, s7, 1
	v_cmp_le_u32_e64 s[34:35], s33, 3
	v_cmp_le_u32_e64 s[50:51], s7, 3
	s_and_saveexec_b64 s[48:49], s[50:51]
	s_cbranch_execz .LBB172_12
; %bb.11:                               ;   in Loop: Header=BB172_10 Depth=1
	ds_write_b32 v2, v3
.LBB172_12:                             ;   in Loop: Header=BB172_10 Depth=1
	s_or_b64 exec, exec, s[48:49]
	s_and_saveexec_b64 s[48:49], s[34:35]
	s_cbranch_execz .LBB172_9
; %bb.13:                               ;   in Loop: Header=BB172_10 Depth=1
	ds_write_b32 v2, v3 offset:1024
	s_branch .LBB172_9
.LBB172_14:
	s_or_b64 exec, exec, s[10:11]
	s_waitcnt lgkmcnt(0)
	s_cmp_eq_u64 s[46:47], 0
	s_barrier
	s_cbranch_scc1 .LBB172_16
; %bb.15:
	s_load_dword s7, s[44:45], 0x0
	s_waitcnt lgkmcnt(0)
	s_add_i32 s6, s7, s6
	s_mov_b32 s7, 0
	s_lshl_b64 s[6:7], s[6:7], 2
	s_add_u32 s6, s46, s6
	s_addc_u32 s7, s47, s7
	s_load_dword s6, s[6:7], 0x0
.LBB172_16:
	s_nop 0
	s_load_dword s33, s[4:5], 0x0
	s_andn2_b64 vcc, exec, s[8:9]
	s_waitcnt lgkmcnt(0)
	s_ashr_i32 s7, s6, 31
	s_cbranch_vccnz .LBB172_72
; %bb.17:
	s_lshl_b64 s[4:5], s[6:7], 3
	s_add_u32 s4, s20, s4
	s_addc_u32 s5, s21, s5
	s_load_dwordx4 s[8:11], s[4:5], 0x0
	v_lshrrev_b32_e32 v2, 4, v0
	v_subrev_co_u32_e32 v2, vcc, s36, v2
	s_mov_b32 s20, 0
	s_waitcnt lgkmcnt(0)
	s_sub_u32 s4, s10, s36
	s_subb_u32 s5, s11, 0
	v_subb_co_u32_e64 v3, s[10:11], 0, 0, vcc
	v_mov_b32_e32 v4, s9
	v_add_co_u32_e32 v2, vcc, s8, v2
	v_addc_co_u32_e32 v3, vcc, v4, v3, vcc
	v_cmp_gt_i64_e32 vcc, s[4:5], v[2:3]
	s_and_saveexec_b64 s[8:9], vcc
	s_cbranch_execz .LBB172_71
; %bb.18:
	v_and_b32_e32 v4, 15, v0
	v_subrev_co_u32_e32 v13, vcc, s37, v4
	s_cmp_eq_u32 s33, 0
	v_subb_co_u32_e64 v14, s[10:11], 0, 0, vcc
	s_mov_b32 s57, s37
	s_cselect_b32 s58, 1, 2
	s_cselect_b32 s59, 2, 1
	s_mov_b64 s[10:11], 0
	v_mov_b32_e32 v15, s23
	v_mov_b32_e32 v16, s27
	;; [unrolled: 1-line block ×3, first 2 shown]
	s_movk_i32 s23, 0x89
	s_branch .LBB172_20
.LBB172_19:                             ;   in Loop: Header=BB172_20 Depth=1
	s_or_b64 exec, exec, s[20:21]
	v_add_co_u32_e32 v2, vcc, 16, v2
	v_addc_co_u32_e32 v3, vcc, 0, v3, vcc
	v_cmp_le_i64_e32 vcc, s[4:5], v[2:3]
	s_or_b64 s[10:11], vcc, s[10:11]
	s_andn2_b64 exec, exec, s[10:11]
	s_cbranch_execz .LBB172_71
.LBB172_20:                             ; =>This Loop Header: Depth=1
                                        ;     Child Loop BB172_23 Depth 2
                                        ;       Child Loop BB172_25 Depth 3
                                        ;       Child Loop BB172_37 Depth 3
	;; [unrolled: 1-line block ×4, first 2 shown]
	v_lshlrev_b64 v[8:9], 2, v[2:3]
	v_add_co_u32_e32 v4, vcc, s22, v8
	v_addc_co_u32_e32 v5, vcc, v15, v9, vcc
	global_load_dword v4, v[4:5], off
	s_waitcnt vmcnt(0)
	v_subrev_u32_e32 v4, s36, v4
	v_ashrrev_i32_e32 v5, 31, v4
	v_lshlrev_b64 v[4:5], 3, v[4:5]
	v_add_co_u32_e32 v4, vcc, s26, v4
	v_addc_co_u32_e32 v5, vcc, v16, v5, vcc
	global_load_dwordx4 v[18:21], v[4:5], off
	s_waitcnt vmcnt(0)
	v_subrev_co_u32_e32 v4, vcc, s57, v20
	v_subb_co_u32_e32 v5, vcc, v21, v17, vcc
	v_add_co_u32_e32 v6, vcc, v18, v13
	v_addc_co_u32_e32 v7, vcc, v19, v14, vcc
	v_cmp_lt_i64_e32 vcc, v[6:7], v[4:5]
	s_and_saveexec_b64 s[20:21], vcc
	s_cbranch_execz .LBB172_19
; %bb.21:                               ;   in Loop: Header=BB172_20 Depth=1
	v_lshlrev_b64 v[20:21], 4, v[2:3]
	v_or_b32_e32 v19, 0, v9
	v_or_b32_e32 v18, s58, v8
	;; [unrolled: 1-line block ×4, first 2 shown]
	v_mov_b32_e32 v22, s25
	v_add_co_u32_e32 v20, vcc, s24, v20
	v_addc_co_u32_e32 v21, vcc, v22, v21, vcc
	v_lshlrev_b64 v[8:9], 2, v[8:9]
	v_add_co_u32_e32 v8, vcc, s24, v8
	v_addc_co_u32_e32 v9, vcc, v22, v9, vcc
	v_lshlrev_b64 v[18:19], 2, v[18:19]
	v_add_co_u32_e32 v18, vcc, s24, v18
	v_addc_co_u32_e32 v19, vcc, v22, v19, vcc
	global_load_dword v22, v[20:21], off offset:12
	global_load_dword v23, v[8:9], off
	global_load_dword v24, v[18:19], off
	;; [unrolled: 1-line block ×3, first 2 shown]
	s_mov_b64 s[34:35], 0
	s_waitcnt vmcnt(3)
	v_mul_f32_e32 v9, v1, v22
	s_waitcnt vmcnt(2)
	v_mul_f32_e32 v18, v1, v23
	s_waitcnt vmcnt(1)
	v_mul_f32_e32 v19, v1, v24
	s_waitcnt vmcnt(0)
	v_mul_f32_e32 v20, v1, v25
	s_branch .LBB172_23
.LBB172_22:                             ;   in Loop: Header=BB172_23 Depth=2
	s_or_b64 exec, exec, s[44:45]
	v_add_co_u32_e32 v6, vcc, 16, v6
	v_addc_co_u32_e32 v7, vcc, 0, v7, vcc
	v_cmp_ge_i64_e32 vcc, v[6:7], v[4:5]
	s_or_b64 s[34:35], vcc, s[34:35]
	s_andn2_b64 exec, exec, s[34:35]
	s_cbranch_execz .LBB172_19
.LBB172_23:                             ;   Parent Loop BB172_20 Depth=1
                                        ; =>  This Loop Header: Depth=2
                                        ;       Child Loop BB172_25 Depth 3
                                        ;       Child Loop BB172_37 Depth 3
	;; [unrolled: 1-line block ×4, first 2 shown]
	v_lshlrev_b64 v[22:23], 2, v[6:7]
	v_mov_b32_e32 v8, s41
	v_add_co_u32_e32 v24, vcc, s40, v22
	v_addc_co_u32_e32 v25, vcc, v8, v23, vcc
	global_load_dword v8, v[24:25], off
	v_lshlrev_b64 v[24:25], 4, v[6:7]
	v_or_b32_e32 v27, 0, v23
	v_or_b32_e32 v26, s58, v22
	;; [unrolled: 1-line block ×4, first 2 shown]
	v_mov_b32_e32 v21, s43
	v_add_co_u32_e32 v28, vcc, s42, v24
	v_addc_co_u32_e32 v29, vcc, v21, v25, vcc
	v_lshlrev_b64 v[22:23], 2, v[22:23]
	v_add_co_u32_e32 v22, vcc, s42, v22
	v_lshlrev_b64 v[30:31], 2, v[26:27]
	v_addc_co_u32_e32 v23, vcc, v21, v23, vcc
	global_load_dword v25, v[28:29], off
	global_load_dword v26, v[22:23], off
	v_add_co_u32_e32 v22, vcc, s42, v30
	v_addc_co_u32_e32 v23, vcc, v21, v31, vcc
	global_load_dword v23, v[22:23], off
	s_nop 0
	global_load_dword v24, v[28:29], off offset:12
	s_mov_b64 s[44:45], 0
	s_waitcnt vmcnt(4)
	v_subrev_u32_e32 v21, s37, v8
	v_mul_lo_u32 v8, v21, s23
	v_and_b32_e32 v22, 0xff, v8
	v_mov_b32_e32 v28, v22
	s_waitcnt vmcnt(2)
	v_mul_f32_e32 v27, v19, v26
	v_fmac_f32_e32 v27, v20, v25
	s_branch .LBB172_25
.LBB172_24:                             ;   in Loop: Header=BB172_25 Depth=3
	s_or_b64 exec, exec, s[46:47]
	s_xor_b64 s[46:47], s[48:49], -1
	s_and_b64 s[46:47], exec, s[46:47]
	s_or_b64 s[44:45], s[46:47], s[44:45]
	s_andn2_b64 exec, exec, s[44:45]
	s_cbranch_execz .LBB172_35
.LBB172_25:                             ;   Parent Loop BB172_20 Depth=1
                                        ;     Parent Loop BB172_23 Depth=2
                                        ; =>    This Inner Loop Header: Depth=3
	v_lshl_add_u32 v8, v28, 2, 0
	ds_read_b32 v29, v8
                                        ; implicit-def: $sgpr48_sgpr49
	s_waitcnt lgkmcnt(0)
	v_cmp_ne_u32_e32 vcc, v29, v21
	s_and_saveexec_b64 s[46:47], vcc
	s_xor_b64 s[46:47], exec, s[46:47]
	s_cbranch_execz .LBB172_33
; %bb.26:                               ;   in Loop: Header=BB172_25 Depth=3
	v_cmp_ne_u32_e32 vcc, s56, v29
                                        ; implicit-def: $sgpr48_sgpr49
	s_and_saveexec_b64 s[50:51], vcc
	s_xor_b64 s[50:51], exec, s[50:51]
; %bb.27:                               ;   in Loop: Header=BB172_25 Depth=3
	v_add_u32_e32 v8, 1, v28
	v_and_b32_e32 v28, 0xff, v8
	s_mov_b64 s[48:49], -1
                                        ; implicit-def: $vgpr8
; %bb.28:                               ;   in Loop: Header=BB172_25 Depth=3
	s_andn2_saveexec_b64 s[50:51], s[50:51]
	s_cbranch_execz .LBB172_32
; %bb.29:                               ;   in Loop: Header=BB172_25 Depth=3
	v_mov_b32_e32 v29, s56
	ds_cmpst_rtn_b32 v29, v8, v29, v21
	s_mov_b64 s[52:53], -1
	s_waitcnt lgkmcnt(0)
	v_cmp_eq_u32_e32 vcc, s56, v29
	s_and_saveexec_b64 s[54:55], vcc
	s_cbranch_execz .LBB172_31
; %bb.30:                               ;   in Loop: Header=BB172_25 Depth=3
	v_mad_u64_u32 v[30:31], s[52:53], v28, 12, v[8:9]
	ds_add_f32 v30, v27 offset:1024
	s_xor_b64 s[52:53], exec, -1
.LBB172_31:                             ;   in Loop: Header=BB172_25 Depth=3
	s_or_b64 exec, exec, s[54:55]
	s_andn2_b64 s[48:49], s[48:49], exec
	s_and_b64 s[52:53], s[52:53], exec
	s_or_b64 s[48:49], s[48:49], s[52:53]
.LBB172_32:                             ;   in Loop: Header=BB172_25 Depth=3
	s_or_b64 exec, exec, s[50:51]
	s_and_b64 s[48:49], s[48:49], exec
                                        ; implicit-def: $vgpr8
.LBB172_33:                             ;   in Loop: Header=BB172_25 Depth=3
	s_andn2_saveexec_b64 s[46:47], s[46:47]
	s_cbranch_execz .LBB172_24
; %bb.34:                               ;   in Loop: Header=BB172_25 Depth=3
	v_mad_u64_u32 v[30:31], s[50:51], v28, 12, v[8:9]
	ds_add_f32 v30, v27 offset:1024
	s_andn2_b64 s[48:49], s[48:49], exec
	s_branch .LBB172_24
.LBB172_35:                             ;   in Loop: Header=BB172_23 Depth=2
	s_or_b64 exec, exec, s[44:45]
	s_waitcnt vmcnt(0)
	v_mul_f32_e32 v27, v19, v24
	v_fmac_f32_e32 v27, v20, v23
	s_mov_b64 s[44:45], 0
	v_mov_b32_e32 v28, v22
	s_branch .LBB172_37
.LBB172_36:                             ;   in Loop: Header=BB172_37 Depth=3
	s_or_b64 exec, exec, s[46:47]
	s_xor_b64 s[46:47], s[48:49], -1
	s_and_b64 s[46:47], exec, s[46:47]
	s_or_b64 s[44:45], s[46:47], s[44:45]
	s_andn2_b64 exec, exec, s[44:45]
	s_cbranch_execz .LBB172_47
.LBB172_37:                             ;   Parent Loop BB172_20 Depth=1
                                        ;     Parent Loop BB172_23 Depth=2
                                        ; =>    This Inner Loop Header: Depth=3
	v_lshl_add_u32 v8, v28, 2, 0
	ds_read_b32 v29, v8
                                        ; implicit-def: $sgpr48_sgpr49
	s_waitcnt lgkmcnt(0)
	v_cmp_ne_u32_e32 vcc, v29, v21
	s_and_saveexec_b64 s[46:47], vcc
	s_xor_b64 s[46:47], exec, s[46:47]
	s_cbranch_execz .LBB172_45
; %bb.38:                               ;   in Loop: Header=BB172_37 Depth=3
	v_cmp_ne_u32_e32 vcc, s56, v29
                                        ; implicit-def: $sgpr48_sgpr49
	s_and_saveexec_b64 s[50:51], vcc
	s_xor_b64 s[50:51], exec, s[50:51]
; %bb.39:                               ;   in Loop: Header=BB172_37 Depth=3
	v_add_u32_e32 v8, 1, v28
	v_and_b32_e32 v28, 0xff, v8
	s_mov_b64 s[48:49], -1
                                        ; implicit-def: $vgpr8
; %bb.40:                               ;   in Loop: Header=BB172_37 Depth=3
	s_andn2_saveexec_b64 s[50:51], s[50:51]
	s_cbranch_execz .LBB172_44
; %bb.41:                               ;   in Loop: Header=BB172_37 Depth=3
	v_mov_b32_e32 v29, s56
	ds_cmpst_rtn_b32 v29, v8, v29, v21
	s_mov_b64 s[52:53], -1
	s_waitcnt lgkmcnt(0)
	v_cmp_eq_u32_e32 vcc, s56, v29
	s_and_saveexec_b64 s[54:55], vcc
	s_cbranch_execz .LBB172_43
; %bb.42:                               ;   in Loop: Header=BB172_37 Depth=3
	v_mad_u64_u32 v[30:31], s[52:53], v28, 12, v[8:9]
	ds_add_f32 v30, v27 offset:1028
	s_xor_b64 s[52:53], exec, -1
.LBB172_43:                             ;   in Loop: Header=BB172_37 Depth=3
	s_or_b64 exec, exec, s[54:55]
	s_andn2_b64 s[48:49], s[48:49], exec
	s_and_b64 s[52:53], s[52:53], exec
	s_or_b64 s[48:49], s[48:49], s[52:53]
.LBB172_44:                             ;   in Loop: Header=BB172_37 Depth=3
	s_or_b64 exec, exec, s[50:51]
	s_and_b64 s[48:49], s[48:49], exec
                                        ; implicit-def: $vgpr8
.LBB172_45:                             ;   in Loop: Header=BB172_37 Depth=3
	s_andn2_saveexec_b64 s[46:47], s[46:47]
	s_cbranch_execz .LBB172_36
; %bb.46:                               ;   in Loop: Header=BB172_37 Depth=3
	v_mad_u64_u32 v[30:31], s[50:51], v28, 12, v[8:9]
	ds_add_f32 v30, v27 offset:1028
	s_andn2_b64 s[48:49], s[48:49], exec
	s_branch .LBB172_36
.LBB172_47:                             ;   in Loop: Header=BB172_23 Depth=2
	s_or_b64 exec, exec, s[44:45]
	v_mul_f32_e32 v26, v9, v26
	v_fmac_f32_e32 v26, v18, v25
	s_mov_b64 s[44:45], 0
	v_mov_b32_e32 v25, v22
	s_branch .LBB172_49
.LBB172_48:                             ;   in Loop: Header=BB172_49 Depth=3
	s_or_b64 exec, exec, s[46:47]
	s_xor_b64 s[46:47], s[48:49], -1
	s_and_b64 s[46:47], exec, s[46:47]
	s_or_b64 s[44:45], s[46:47], s[44:45]
	s_andn2_b64 exec, exec, s[44:45]
	s_cbranch_execz .LBB172_59
.LBB172_49:                             ;   Parent Loop BB172_20 Depth=1
                                        ;     Parent Loop BB172_23 Depth=2
                                        ; =>    This Inner Loop Header: Depth=3
	v_lshl_add_u32 v8, v25, 2, 0
	ds_read_b32 v27, v8
                                        ; implicit-def: $sgpr48_sgpr49
	s_waitcnt lgkmcnt(0)
	v_cmp_ne_u32_e32 vcc, v27, v21
	s_and_saveexec_b64 s[46:47], vcc
	s_xor_b64 s[46:47], exec, s[46:47]
	s_cbranch_execz .LBB172_57
; %bb.50:                               ;   in Loop: Header=BB172_49 Depth=3
	v_cmp_ne_u32_e32 vcc, s56, v27
                                        ; implicit-def: $sgpr48_sgpr49
	s_and_saveexec_b64 s[50:51], vcc
	s_xor_b64 s[50:51], exec, s[50:51]
; %bb.51:                               ;   in Loop: Header=BB172_49 Depth=3
	v_add_u32_e32 v8, 1, v25
	v_and_b32_e32 v25, 0xff, v8
	s_mov_b64 s[48:49], -1
                                        ; implicit-def: $vgpr8
; %bb.52:                               ;   in Loop: Header=BB172_49 Depth=3
	s_andn2_saveexec_b64 s[50:51], s[50:51]
	s_cbranch_execz .LBB172_56
; %bb.53:                               ;   in Loop: Header=BB172_49 Depth=3
	v_mov_b32_e32 v27, s56
	ds_cmpst_rtn_b32 v27, v8, v27, v21
	s_mov_b64 s[52:53], -1
	s_waitcnt lgkmcnt(0)
	v_cmp_eq_u32_e32 vcc, s56, v27
	s_and_saveexec_b64 s[54:55], vcc
	s_cbranch_execz .LBB172_55
; %bb.54:                               ;   in Loop: Header=BB172_49 Depth=3
	v_mad_u64_u32 v[28:29], s[52:53], v25, 12, v[8:9]
	ds_add_f32 v28, v26 offset:1032
	s_xor_b64 s[52:53], exec, -1
.LBB172_55:                             ;   in Loop: Header=BB172_49 Depth=3
	s_or_b64 exec, exec, s[54:55]
	s_andn2_b64 s[48:49], s[48:49], exec
	s_and_b64 s[52:53], s[52:53], exec
	s_or_b64 s[48:49], s[48:49], s[52:53]
.LBB172_56:                             ;   in Loop: Header=BB172_49 Depth=3
	s_or_b64 exec, exec, s[50:51]
	s_and_b64 s[48:49], s[48:49], exec
                                        ; implicit-def: $vgpr8
.LBB172_57:                             ;   in Loop: Header=BB172_49 Depth=3
	s_andn2_saveexec_b64 s[46:47], s[46:47]
	s_cbranch_execz .LBB172_48
; %bb.58:                               ;   in Loop: Header=BB172_49 Depth=3
	v_mad_u64_u32 v[28:29], s[50:51], v25, 12, v[8:9]
	ds_add_f32 v28, v26 offset:1032
	s_andn2_b64 s[48:49], s[48:49], exec
	s_branch .LBB172_48
.LBB172_59:                             ;   in Loop: Header=BB172_23 Depth=2
	s_or_b64 exec, exec, s[44:45]
	v_mul_f32_e32 v24, v9, v24
	v_fmac_f32_e32 v24, v18, v23
	s_mov_b64 s[44:45], 0
	s_branch .LBB172_61
.LBB172_60:                             ;   in Loop: Header=BB172_61 Depth=3
	s_or_b64 exec, exec, s[46:47]
	s_xor_b64 s[46:47], s[48:49], -1
	s_and_b64 s[46:47], exec, s[46:47]
	s_or_b64 s[44:45], s[46:47], s[44:45]
	s_andn2_b64 exec, exec, s[44:45]
	s_cbranch_execz .LBB172_22
.LBB172_61:                             ;   Parent Loop BB172_20 Depth=1
                                        ;     Parent Loop BB172_23 Depth=2
                                        ; =>    This Inner Loop Header: Depth=3
	v_lshl_add_u32 v8, v22, 2, 0
	ds_read_b32 v23, v8
                                        ; implicit-def: $sgpr48_sgpr49
	s_waitcnt lgkmcnt(0)
	v_cmp_ne_u32_e32 vcc, v23, v21
	s_and_saveexec_b64 s[46:47], vcc
	s_xor_b64 s[46:47], exec, s[46:47]
	s_cbranch_execz .LBB172_69
; %bb.62:                               ;   in Loop: Header=BB172_61 Depth=3
	v_cmp_ne_u32_e32 vcc, s56, v23
                                        ; implicit-def: $sgpr48_sgpr49
	s_and_saveexec_b64 s[50:51], vcc
	s_xor_b64 s[50:51], exec, s[50:51]
; %bb.63:                               ;   in Loop: Header=BB172_61 Depth=3
	v_add_u32_e32 v8, 1, v22
	v_and_b32_e32 v22, 0xff, v8
	s_mov_b64 s[48:49], -1
                                        ; implicit-def: $vgpr8
; %bb.64:                               ;   in Loop: Header=BB172_61 Depth=3
	s_andn2_saveexec_b64 s[50:51], s[50:51]
	s_cbranch_execz .LBB172_68
; %bb.65:                               ;   in Loop: Header=BB172_61 Depth=3
	v_mov_b32_e32 v23, s56
	ds_cmpst_rtn_b32 v23, v8, v23, v21
	s_mov_b64 s[52:53], -1
	s_waitcnt lgkmcnt(0)
	v_cmp_eq_u32_e32 vcc, s56, v23
	s_and_saveexec_b64 s[54:55], vcc
	s_cbranch_execz .LBB172_67
; %bb.66:                               ;   in Loop: Header=BB172_61 Depth=3
	v_mad_u64_u32 v[26:27], s[52:53], v22, 12, v[8:9]
	ds_add_f32 v26, v24 offset:1036
	s_xor_b64 s[52:53], exec, -1
.LBB172_67:                             ;   in Loop: Header=BB172_61 Depth=3
	s_or_b64 exec, exec, s[54:55]
	s_andn2_b64 s[48:49], s[48:49], exec
	s_and_b64 s[52:53], s[52:53], exec
	s_or_b64 s[48:49], s[48:49], s[52:53]
.LBB172_68:                             ;   in Loop: Header=BB172_61 Depth=3
	s_or_b64 exec, exec, s[50:51]
	s_and_b64 s[48:49], s[48:49], exec
                                        ; implicit-def: $vgpr8
.LBB172_69:                             ;   in Loop: Header=BB172_61 Depth=3
	s_andn2_saveexec_b64 s[46:47], s[46:47]
	s_cbranch_execz .LBB172_60
; %bb.70:                               ;   in Loop: Header=BB172_61 Depth=3
	v_mad_u64_u32 v[26:27], s[50:51], v22, 12, v[8:9]
	ds_add_f32 v26, v24 offset:1036
	s_andn2_b64 s[48:49], s[48:49], exec
	s_branch .LBB172_60
.LBB172_71:
	s_or_b64 exec, exec, s[8:9]
.LBB172_72:
	s_andn2_b64 vcc, exec, s[2:3]
	s_waitcnt lgkmcnt(0)
	s_barrier
	s_cbranch_vccnz .LBB172_125
; %bb.73:
	s_lshl_b64 s[2:3], s[6:7], 3
	s_add_u32 s2, s12, s2
	s_addc_u32 s3, s13, s3
	s_load_dwordx4 s[8:11], s[2:3], 0x0
	v_subrev_co_u32_e32 v0, vcc, s39, v0
	v_subb_co_u32_e64 v1, s[2:3], 0, 0, vcc
	s_waitcnt lgkmcnt(0)
	s_sub_u32 s2, s10, s39
	v_mov_b32_e32 v2, s9
	v_add_co_u32_e32 v0, vcc, s8, v0
	s_subb_u32 s3, s11, 0
	v_addc_co_u32_e32 v1, vcc, v2, v1, vcc
	v_cmp_gt_i64_e32 vcc, s[2:3], v[0:1]
	s_and_saveexec_b64 s[4:5], vcc
	s_cbranch_execz .LBB172_124
; %bb.74:
	s_cmp_eq_u32 s33, 0
	s_cselect_b32 s34, 1, 2
	s_cselect_b32 s35, 2, 1
	s_mov_b64 s[8:9], 0
	v_mov_b32_e32 v3, s17
	v_mov_b32_e32 v4, s15
	s_movk_i32 s15, 0x89
	s_branch .LBB172_76
.LBB172_75:                             ;   in Loop: Header=BB172_76 Depth=1
	s_or_b64 exec, exec, s[10:11]
	v_add_co_u32_e32 v0, vcc, 0x100, v0
	v_addc_co_u32_e32 v1, vcc, 0, v1, vcc
	v_cmp_le_i64_e32 vcc, s[2:3], v[0:1]
	s_or_b64 s[8:9], vcc, s[8:9]
	s_andn2_b64 exec, exec, s[8:9]
	s_cbranch_execz .LBB172_124
.LBB172_76:                             ; =>This Loop Header: Depth=1
                                        ;     Child Loop BB172_78 Depth 2
                                        ;     Child Loop BB172_90 Depth 2
	;; [unrolled: 1-line block ×4, first 2 shown]
	v_lshlrev_b64 v[6:7], 2, v[0:1]
	v_lshlrev_b64 v[16:17], 4, v[0:1]
	v_or_b32_e32 v9, 0, v7
	v_or_b32_e32 v8, s34, v6
	v_add_co_u32_e32 v16, vcc, s16, v16
	v_addc_co_u32_e32 v17, vcc, v3, v17, vcc
	v_lshlrev_b64 v[8:9], 2, v[8:9]
	v_add_co_u32_e32 v18, vcc, s16, v8
	v_addc_co_u32_e32 v19, vcc, v3, v9, vcc
	v_or_b32_e32 v14, s35, v6
	v_add_co_u32_e32 v6, vcc, s14, v6
	v_or_b32_e32 v15, 0, v7
	v_addc_co_u32_e32 v7, vcc, v4, v7, vcc
	v_lshlrev_b64 v[8:9], 2, v[14:15]
	global_load_dword v5, v[6:7], off
	global_load_dword v2, v[16:17], off
	v_add_co_u32_e32 v14, vcc, s16, v8
	v_addc_co_u32_e32 v15, vcc, v3, v9, vcc
	global_load_dword v8, v[14:15], off
	global_load_dword v9, v[18:19], off
	global_load_dword v7, v[16:17], off offset:12
	s_mov_b64 s[10:11], 0
	s_waitcnt vmcnt(4)
	v_subrev_u32_e32 v5, s39, v5
	s_waitcnt vmcnt(3)
	v_mul_f32_e32 v13, v11, v2
	v_mul_lo_u32 v2, v5, s15
	v_and_b32_e32 v6, 0xff, v2
	v_mov_b32_e32 v14, v6
	s_branch .LBB172_78
.LBB172_77:                             ;   in Loop: Header=BB172_78 Depth=2
	s_or_b64 exec, exec, s[12:13]
	s_xor_b64 s[12:13], s[20:21], -1
	s_and_b64 s[12:13], exec, s[12:13]
	s_or_b64 s[10:11], s[12:13], s[10:11]
	s_andn2_b64 exec, exec, s[10:11]
	s_cbranch_execz .LBB172_88
.LBB172_78:                             ;   Parent Loop BB172_76 Depth=1
                                        ; =>  This Inner Loop Header: Depth=2
	v_lshl_add_u32 v2, v14, 2, 0
	ds_read_b32 v15, v2
                                        ; implicit-def: $sgpr20_sgpr21
	s_waitcnt lgkmcnt(0)
	v_cmp_ne_u32_e32 vcc, v15, v5
	s_and_saveexec_b64 s[12:13], vcc
	s_xor_b64 s[12:13], exec, s[12:13]
	s_cbranch_execz .LBB172_86
; %bb.79:                               ;   in Loop: Header=BB172_78 Depth=2
	v_cmp_ne_u32_e32 vcc, s56, v15
                                        ; implicit-def: $sgpr20_sgpr21
	s_and_saveexec_b64 s[22:23], vcc
	s_xor_b64 s[22:23], exec, s[22:23]
; %bb.80:                               ;   in Loop: Header=BB172_78 Depth=2
	v_add_u32_e32 v2, 1, v14
	v_and_b32_e32 v14, 0xff, v2
	s_mov_b64 s[20:21], -1
                                        ; implicit-def: $vgpr2
; %bb.81:                               ;   in Loop: Header=BB172_78 Depth=2
	s_andn2_saveexec_b64 s[22:23], s[22:23]
	s_cbranch_execz .LBB172_85
; %bb.82:                               ;   in Loop: Header=BB172_78 Depth=2
	v_mov_b32_e32 v15, s56
	ds_cmpst_rtn_b32 v15, v2, v15, v5
	s_mov_b64 s[24:25], -1
	s_waitcnt lgkmcnt(0)
	v_cmp_eq_u32_e32 vcc, s56, v15
	s_and_saveexec_b64 s[26:27], vcc
	s_cbranch_execz .LBB172_84
; %bb.83:                               ;   in Loop: Header=BB172_78 Depth=2
	v_mad_u64_u32 v[16:17], s[24:25], v14, 12, v[2:3]
	ds_add_f32 v16, v13 offset:1024
	s_xor_b64 s[24:25], exec, -1
.LBB172_84:                             ;   in Loop: Header=BB172_78 Depth=2
	s_or_b64 exec, exec, s[26:27]
	s_andn2_b64 s[20:21], s[20:21], exec
	s_and_b64 s[24:25], s[24:25], exec
	s_or_b64 s[20:21], s[20:21], s[24:25]
.LBB172_85:                             ;   in Loop: Header=BB172_78 Depth=2
	s_or_b64 exec, exec, s[22:23]
	s_and_b64 s[20:21], s[20:21], exec
                                        ; implicit-def: $vgpr2
.LBB172_86:                             ;   in Loop: Header=BB172_78 Depth=2
	s_andn2_saveexec_b64 s[12:13], s[12:13]
	s_cbranch_execz .LBB172_77
; %bb.87:                               ;   in Loop: Header=BB172_78 Depth=2
	v_mad_u64_u32 v[16:17], s[22:23], v14, 12, v[2:3]
	ds_add_f32 v16, v13 offset:1024
	s_andn2_b64 s[20:21], s[20:21], exec
	s_branch .LBB172_77
.LBB172_88:                             ;   in Loop: Header=BB172_76 Depth=1
	s_or_b64 exec, exec, s[10:11]
	s_waitcnt vmcnt(1)
	v_mul_f32_e32 v9, v11, v9
	s_mov_b64 s[10:11], 0
	v_mov_b32_e32 v13, v6
	s_branch .LBB172_90
.LBB172_89:                             ;   in Loop: Header=BB172_90 Depth=2
	s_or_b64 exec, exec, s[12:13]
	s_xor_b64 s[12:13], s[20:21], -1
	s_and_b64 s[12:13], exec, s[12:13]
	s_or_b64 s[10:11], s[12:13], s[10:11]
	s_andn2_b64 exec, exec, s[10:11]
	s_cbranch_execz .LBB172_100
.LBB172_90:                             ;   Parent Loop BB172_76 Depth=1
                                        ; =>  This Inner Loop Header: Depth=2
	v_lshl_add_u32 v2, v13, 2, 0
	ds_read_b32 v14, v2
                                        ; implicit-def: $sgpr20_sgpr21
	s_waitcnt lgkmcnt(0)
	v_cmp_ne_u32_e32 vcc, v14, v5
	s_and_saveexec_b64 s[12:13], vcc
	s_xor_b64 s[12:13], exec, s[12:13]
	s_cbranch_execz .LBB172_98
; %bb.91:                               ;   in Loop: Header=BB172_90 Depth=2
	v_cmp_ne_u32_e32 vcc, s56, v14
                                        ; implicit-def: $sgpr20_sgpr21
	s_and_saveexec_b64 s[22:23], vcc
	s_xor_b64 s[22:23], exec, s[22:23]
; %bb.92:                               ;   in Loop: Header=BB172_90 Depth=2
	v_add_u32_e32 v2, 1, v13
	v_and_b32_e32 v13, 0xff, v2
	s_mov_b64 s[20:21], -1
                                        ; implicit-def: $vgpr2
; %bb.93:                               ;   in Loop: Header=BB172_90 Depth=2
	s_andn2_saveexec_b64 s[22:23], s[22:23]
	s_cbranch_execz .LBB172_97
; %bb.94:                               ;   in Loop: Header=BB172_90 Depth=2
	v_mov_b32_e32 v14, s56
	ds_cmpst_rtn_b32 v14, v2, v14, v5
	s_mov_b64 s[24:25], -1
	s_waitcnt lgkmcnt(0)
	v_cmp_eq_u32_e32 vcc, s56, v14
	s_and_saveexec_b64 s[26:27], vcc
	s_cbranch_execz .LBB172_96
; %bb.95:                               ;   in Loop: Header=BB172_90 Depth=2
	v_mad_u64_u32 v[14:15], s[24:25], v13, 12, v[2:3]
	ds_add_f32 v14, v9 offset:1028
	s_xor_b64 s[24:25], exec, -1
.LBB172_96:                             ;   in Loop: Header=BB172_90 Depth=2
	s_or_b64 exec, exec, s[26:27]
	s_andn2_b64 s[20:21], s[20:21], exec
	s_and_b64 s[24:25], s[24:25], exec
	s_or_b64 s[20:21], s[20:21], s[24:25]
.LBB172_97:                             ;   in Loop: Header=BB172_90 Depth=2
	s_or_b64 exec, exec, s[22:23]
	s_and_b64 s[20:21], s[20:21], exec
                                        ; implicit-def: $vgpr2
.LBB172_98:                             ;   in Loop: Header=BB172_90 Depth=2
	s_andn2_saveexec_b64 s[12:13], s[12:13]
	s_cbranch_execz .LBB172_89
; %bb.99:                               ;   in Loop: Header=BB172_90 Depth=2
	v_mad_u64_u32 v[14:15], s[22:23], v13, 12, v[2:3]
	ds_add_f32 v14, v9 offset:1028
	s_andn2_b64 s[20:21], s[20:21], exec
	s_branch .LBB172_89
.LBB172_100:                            ;   in Loop: Header=BB172_76 Depth=1
	s_or_b64 exec, exec, s[10:11]
	v_mul_f32_e32 v8, v11, v8
	s_mov_b64 s[10:11], 0
	v_mov_b32_e32 v9, v6
	s_branch .LBB172_102
.LBB172_101:                            ;   in Loop: Header=BB172_102 Depth=2
	s_or_b64 exec, exec, s[12:13]
	s_xor_b64 s[12:13], s[20:21], -1
	s_and_b64 s[12:13], exec, s[12:13]
	s_or_b64 s[10:11], s[12:13], s[10:11]
	s_andn2_b64 exec, exec, s[10:11]
	s_cbranch_execz .LBB172_112
.LBB172_102:                            ;   Parent Loop BB172_76 Depth=1
                                        ; =>  This Inner Loop Header: Depth=2
	v_lshl_add_u32 v2, v9, 2, 0
	ds_read_b32 v13, v2
                                        ; implicit-def: $sgpr20_sgpr21
	s_waitcnt lgkmcnt(0)
	v_cmp_ne_u32_e32 vcc, v13, v5
	s_and_saveexec_b64 s[12:13], vcc
	s_xor_b64 s[12:13], exec, s[12:13]
	s_cbranch_execz .LBB172_110
; %bb.103:                              ;   in Loop: Header=BB172_102 Depth=2
	v_cmp_ne_u32_e32 vcc, s56, v13
                                        ; implicit-def: $sgpr20_sgpr21
	s_and_saveexec_b64 s[22:23], vcc
	s_xor_b64 s[22:23], exec, s[22:23]
; %bb.104:                              ;   in Loop: Header=BB172_102 Depth=2
	v_add_u32_e32 v2, 1, v9
	v_and_b32_e32 v9, 0xff, v2
	s_mov_b64 s[20:21], -1
                                        ; implicit-def: $vgpr2
; %bb.105:                              ;   in Loop: Header=BB172_102 Depth=2
	s_andn2_saveexec_b64 s[22:23], s[22:23]
	s_cbranch_execz .LBB172_109
; %bb.106:                              ;   in Loop: Header=BB172_102 Depth=2
	v_mov_b32_e32 v13, s56
	ds_cmpst_rtn_b32 v13, v2, v13, v5
	s_mov_b64 s[24:25], -1
	s_waitcnt lgkmcnt(0)
	v_cmp_eq_u32_e32 vcc, s56, v13
	s_and_saveexec_b64 s[26:27], vcc
	s_cbranch_execz .LBB172_108
; %bb.107:                              ;   in Loop: Header=BB172_102 Depth=2
	v_mad_u64_u32 v[14:15], s[24:25], v9, 12, v[2:3]
	ds_add_f32 v14, v8 offset:1032
	s_xor_b64 s[24:25], exec, -1
.LBB172_108:                            ;   in Loop: Header=BB172_102 Depth=2
	s_or_b64 exec, exec, s[26:27]
	s_andn2_b64 s[20:21], s[20:21], exec
	s_and_b64 s[24:25], s[24:25], exec
	s_or_b64 s[20:21], s[20:21], s[24:25]
.LBB172_109:                            ;   in Loop: Header=BB172_102 Depth=2
	s_or_b64 exec, exec, s[22:23]
	s_and_b64 s[20:21], s[20:21], exec
                                        ; implicit-def: $vgpr2
.LBB172_110:                            ;   in Loop: Header=BB172_102 Depth=2
	s_andn2_saveexec_b64 s[12:13], s[12:13]
	s_cbranch_execz .LBB172_101
; %bb.111:                              ;   in Loop: Header=BB172_102 Depth=2
	v_mad_u64_u32 v[14:15], s[22:23], v9, 12, v[2:3]
	ds_add_f32 v14, v8 offset:1032
	s_andn2_b64 s[20:21], s[20:21], exec
	s_branch .LBB172_101
.LBB172_112:                            ;   in Loop: Header=BB172_76 Depth=1
	s_or_b64 exec, exec, s[10:11]
	s_waitcnt vmcnt(0)
	v_mul_f32_e32 v7, v11, v7
	s_mov_b64 s[10:11], 0
	s_branch .LBB172_114
.LBB172_113:                            ;   in Loop: Header=BB172_114 Depth=2
	s_or_b64 exec, exec, s[12:13]
	s_xor_b64 s[12:13], s[20:21], -1
	s_and_b64 s[12:13], exec, s[12:13]
	s_or_b64 s[10:11], s[12:13], s[10:11]
	s_andn2_b64 exec, exec, s[10:11]
	s_cbranch_execz .LBB172_75
.LBB172_114:                            ;   Parent Loop BB172_76 Depth=1
                                        ; =>  This Inner Loop Header: Depth=2
	v_lshl_add_u32 v2, v6, 2, 0
	ds_read_b32 v8, v2
                                        ; implicit-def: $sgpr20_sgpr21
	s_waitcnt lgkmcnt(0)
	v_cmp_ne_u32_e32 vcc, v8, v5
	s_and_saveexec_b64 s[12:13], vcc
	s_xor_b64 s[12:13], exec, s[12:13]
	s_cbranch_execz .LBB172_122
; %bb.115:                              ;   in Loop: Header=BB172_114 Depth=2
	v_cmp_ne_u32_e32 vcc, s56, v8
                                        ; implicit-def: $sgpr20_sgpr21
	s_and_saveexec_b64 s[22:23], vcc
	s_xor_b64 s[22:23], exec, s[22:23]
; %bb.116:                              ;   in Loop: Header=BB172_114 Depth=2
	v_add_u32_e32 v2, 1, v6
	v_and_b32_e32 v6, 0xff, v2
	s_mov_b64 s[20:21], -1
                                        ; implicit-def: $vgpr2
; %bb.117:                              ;   in Loop: Header=BB172_114 Depth=2
	s_andn2_saveexec_b64 s[22:23], s[22:23]
	s_cbranch_execz .LBB172_121
; %bb.118:                              ;   in Loop: Header=BB172_114 Depth=2
	v_mov_b32_e32 v8, s56
	ds_cmpst_rtn_b32 v8, v2, v8, v5
	s_mov_b64 s[24:25], -1
	s_waitcnt lgkmcnt(0)
	v_cmp_eq_u32_e32 vcc, s56, v8
	s_and_saveexec_b64 s[26:27], vcc
	s_cbranch_execz .LBB172_120
; %bb.119:                              ;   in Loop: Header=BB172_114 Depth=2
	v_mad_u64_u32 v[8:9], s[24:25], v6, 12, v[2:3]
	ds_add_f32 v8, v7 offset:1036
	s_xor_b64 s[24:25], exec, -1
.LBB172_120:                            ;   in Loop: Header=BB172_114 Depth=2
	s_or_b64 exec, exec, s[26:27]
	s_andn2_b64 s[20:21], s[20:21], exec
	s_and_b64 s[24:25], s[24:25], exec
	s_or_b64 s[20:21], s[20:21], s[24:25]
.LBB172_121:                            ;   in Loop: Header=BB172_114 Depth=2
	s_or_b64 exec, exec, s[22:23]
	s_and_b64 s[20:21], s[20:21], exec
                                        ; implicit-def: $vgpr2
.LBB172_122:                            ;   in Loop: Header=BB172_114 Depth=2
	s_andn2_saveexec_b64 s[12:13], s[12:13]
	s_cbranch_execz .LBB172_113
; %bb.123:                              ;   in Loop: Header=BB172_114 Depth=2
	v_mad_u64_u32 v[8:9], s[22:23], v6, 12, v[2:3]
	ds_add_f32 v8, v7 offset:1036
	s_andn2_b64 s[20:21], s[20:21], exec
	s_branch .LBB172_113
.LBB172_124:
	s_or_b64 exec, exec, s[4:5]
.LBB172_125:
	s_waitcnt lgkmcnt(0)
	s_barrier
	s_and_saveexec_b64 s[2:3], s[0:1]
	s_cbranch_execz .LBB172_130
; %bb.126:
	ds_read_b32 v2, v12
	s_mov_b32 s0, 0
	s_waitcnt lgkmcnt(0)
	v_cmp_gt_i32_e32 vcc, s56, v2
	s_and_b64 exec, exec, vcc
	s_cbranch_execz .LBB172_130
; %bb.127:
	s_lshl_b64 s[2:3], s[6:7], 3
	s_add_u32 s2, s18, s2
	s_addc_u32 s3, s19, s3
	s_load_dwordx2 s[2:3], s[2:3], 0x0
	s_waitcnt lgkmcnt(0)
	s_sub_u32 s2, s2, s38
	s_subb_u32 s3, s3, 0
	v_pk_mov_b32 v[0:1], s[2:3], s[2:3] op_sel:[0,1]
.LBB172_128:                            ; =>This Inner Loop Header: Depth=1
	s_add_i32 s1, s0, 0
	v_mov_b32_e32 v3, s1
	ds_read2_b32 v[4:5], v3 offset1:1
	ds_read2_b32 v[6:7], v3 offset0:2 offset1:3
	ds_read2_b32 v[8:9], v3 offset0:4 offset1:5
	;; [unrolled: 1-line block ×7, first 2 shown]
	s_waitcnt lgkmcnt(7)
	v_cmp_gt_i32_e32 vcc, v2, v4
	v_cndmask_b32_e64 v3, 0, 1, vcc
	v_cmp_gt_i32_e32 vcc, v2, v5
	v_cndmask_b32_e64 v4, 0, 1, vcc
	s_waitcnt lgkmcnt(6)
	v_cmp_gt_i32_e32 vcc, v2, v6
	v_cndmask_b32_e64 v5, 0, 1, vcc
	v_cmp_gt_i32_e32 vcc, v2, v7
	v_cndmask_b32_e64 v6, 0, 1, vcc
	;; [unrolled: 5-line block ×8, first 2 shown]
	v_add_co_u32_e32 v0, vcc, v0, v3
	v_addc_co_u32_e32 v1, vcc, 0, v1, vcc
	v_add_co_u32_e32 v0, vcc, v0, v4
	v_addc_co_u32_e32 v1, vcc, 0, v1, vcc
	;; [unrolled: 2-line block ×15, first 2 shown]
	s_add_i32 s0, s0, 64
	v_add_co_u32_e32 v0, vcc, v0, v19
	s_cmpk_lg_i32 s0, 0x400
	v_addc_co_u32_e32 v1, vcc, 0, v1, vcc
	s_cbranch_scc1 .LBB172_128
; %bb.129:
	v_add_u32_e32 v4, s38, v2
	v_lshlrev_b64 v[2:3], 2, v[0:1]
	v_mov_b32_e32 v5, s29
	v_add_co_u32_e32 v2, vcc, s28, v2
	s_add_i32 s0, 0, 0x400
	v_addc_co_u32_e32 v3, vcc, v5, v3, vcc
	s_cmp_eq_u32 s33, 0
	global_store_dword v[2:3], v4, off
	v_lshlrev_b32_e32 v3, 2, v10
	v_add_u32_e32 v5, s0, v3
	s_cselect_b32 s0, 1, 2
	s_cselect_b32 s1, 2, 1
	v_add_u32_e32 v2, 0, v3
	v_or_b32_e32 v3, s0, v10
	v_or_b32_e32 v4, s1, v10
	v_lshl_add_u32 v3, v3, 2, 0
	v_lshl_add_u32 v4, v4, 2, 0
	ds_read_b32 v2, v2 offset:1024
	ds_read_b32 v4, v4 offset:1024
	;; [unrolled: 1-line block ×4, first 2 shown]
	v_lshlrev_b64 v[0:1], 4, v[0:1]
	v_mov_b32_e32 v6, s31
	v_add_co_u32_e32 v0, vcc, s30, v0
	v_addc_co_u32_e32 v1, vcc, v6, v1, vcc
	s_waitcnt lgkmcnt(0)
	global_store_dwordx4 v[0:1], v[2:5], off
.LBB172_130:
	s_endpgm
	.section	.rodata,"a",@progbits
	.p2align	6, 0x0
	.amdhsa_kernel _ZN9rocsparseL30bsrgemm_fill_block_per_row_2x2ILj256ELj16ELj256ELj137ElifEEv20rocsparse_direction_T4_S2_PKS2_S4_NS_24const_host_device_scalarIT5_EEPKT3_S4_PKS6_SA_S4_SC_S7_SA_S4_SC_SA_PS2_PS6_21rocsparse_index_base_SF_SF_SF_bbb
		.amdhsa_group_segment_fixed_size 0
		.amdhsa_private_segment_fixed_size 0
		.amdhsa_kernarg_size 164
		.amdhsa_user_sgpr_count 6
		.amdhsa_user_sgpr_private_segment_buffer 1
		.amdhsa_user_sgpr_dispatch_ptr 0
		.amdhsa_user_sgpr_queue_ptr 0
		.amdhsa_user_sgpr_kernarg_segment_ptr 1
		.amdhsa_user_sgpr_dispatch_id 0
		.amdhsa_user_sgpr_flat_scratch_init 0
		.amdhsa_user_sgpr_kernarg_preload_length 0
		.amdhsa_user_sgpr_kernarg_preload_offset 0
		.amdhsa_user_sgpr_private_segment_size 0
		.amdhsa_uses_dynamic_stack 0
		.amdhsa_system_sgpr_private_segment_wavefront_offset 0
		.amdhsa_system_sgpr_workgroup_id_x 1
		.amdhsa_system_sgpr_workgroup_id_y 0
		.amdhsa_system_sgpr_workgroup_id_z 0
		.amdhsa_system_sgpr_workgroup_info 0
		.amdhsa_system_vgpr_workitem_id 0
		.amdhsa_next_free_vgpr 32
		.amdhsa_next_free_sgpr 60
		.amdhsa_accum_offset 32
		.amdhsa_reserve_vcc 1
		.amdhsa_reserve_flat_scratch 0
		.amdhsa_float_round_mode_32 0
		.amdhsa_float_round_mode_16_64 0
		.amdhsa_float_denorm_mode_32 3
		.amdhsa_float_denorm_mode_16_64 3
		.amdhsa_dx10_clamp 1
		.amdhsa_ieee_mode 1
		.amdhsa_fp16_overflow 0
		.amdhsa_tg_split 0
		.amdhsa_exception_fp_ieee_invalid_op 0
		.amdhsa_exception_fp_denorm_src 0
		.amdhsa_exception_fp_ieee_div_zero 0
		.amdhsa_exception_fp_ieee_overflow 0
		.amdhsa_exception_fp_ieee_underflow 0
		.amdhsa_exception_fp_ieee_inexact 0
		.amdhsa_exception_int_div_zero 0
	.end_amdhsa_kernel
	.section	.text._ZN9rocsparseL30bsrgemm_fill_block_per_row_2x2ILj256ELj16ELj256ELj137ElifEEv20rocsparse_direction_T4_S2_PKS2_S4_NS_24const_host_device_scalarIT5_EEPKT3_S4_PKS6_SA_S4_SC_S7_SA_S4_SC_SA_PS2_PS6_21rocsparse_index_base_SF_SF_SF_bbb,"axG",@progbits,_ZN9rocsparseL30bsrgemm_fill_block_per_row_2x2ILj256ELj16ELj256ELj137ElifEEv20rocsparse_direction_T4_S2_PKS2_S4_NS_24const_host_device_scalarIT5_EEPKT3_S4_PKS6_SA_S4_SC_S7_SA_S4_SC_SA_PS2_PS6_21rocsparse_index_base_SF_SF_SF_bbb,comdat
.Lfunc_end172:
	.size	_ZN9rocsparseL30bsrgemm_fill_block_per_row_2x2ILj256ELj16ELj256ELj137ElifEEv20rocsparse_direction_T4_S2_PKS2_S4_NS_24const_host_device_scalarIT5_EEPKT3_S4_PKS6_SA_S4_SC_S7_SA_S4_SC_SA_PS2_PS6_21rocsparse_index_base_SF_SF_SF_bbb, .Lfunc_end172-_ZN9rocsparseL30bsrgemm_fill_block_per_row_2x2ILj256ELj16ELj256ELj137ElifEEv20rocsparse_direction_T4_S2_PKS2_S4_NS_24const_host_device_scalarIT5_EEPKT3_S4_PKS6_SA_S4_SC_S7_SA_S4_SC_SA_PS2_PS6_21rocsparse_index_base_SF_SF_SF_bbb
                                        ; -- End function
	.section	.AMDGPU.csdata,"",@progbits
; Kernel info:
; codeLenInByte = 3832
; NumSgprs: 64
; NumVgprs: 32
; NumAgprs: 0
; TotalNumVgprs: 32
; ScratchSize: 0
; MemoryBound: 0
; FloatMode: 240
; IeeeMode: 1
; LDSByteSize: 0 bytes/workgroup (compile time only)
; SGPRBlocks: 7
; VGPRBlocks: 3
; NumSGPRsForWavesPerEU: 64
; NumVGPRsForWavesPerEU: 32
; AccumOffset: 32
; Occupancy: 8
; WaveLimiterHint : 1
; COMPUTE_PGM_RSRC2:SCRATCH_EN: 0
; COMPUTE_PGM_RSRC2:USER_SGPR: 6
; COMPUTE_PGM_RSRC2:TRAP_HANDLER: 0
; COMPUTE_PGM_RSRC2:TGID_X_EN: 1
; COMPUTE_PGM_RSRC2:TGID_Y_EN: 0
; COMPUTE_PGM_RSRC2:TGID_Z_EN: 0
; COMPUTE_PGM_RSRC2:TIDIG_COMP_CNT: 0
; COMPUTE_PGM_RSRC3_GFX90A:ACCUM_OFFSET: 7
; COMPUTE_PGM_RSRC3_GFX90A:TG_SPLIT: 0
	.section	.text._ZN9rocsparseL30bsrgemm_fill_block_per_row_2x2ILj256ELj16ELj512ELj137ElifEEv20rocsparse_direction_T4_S2_PKS2_S4_NS_24const_host_device_scalarIT5_EEPKT3_S4_PKS6_SA_S4_SC_S7_SA_S4_SC_SA_PS2_PS6_21rocsparse_index_base_SF_SF_SF_bbb,"axG",@progbits,_ZN9rocsparseL30bsrgemm_fill_block_per_row_2x2ILj256ELj16ELj512ELj137ElifEEv20rocsparse_direction_T4_S2_PKS2_S4_NS_24const_host_device_scalarIT5_EEPKT3_S4_PKS6_SA_S4_SC_S7_SA_S4_SC_SA_PS2_PS6_21rocsparse_index_base_SF_SF_SF_bbb,comdat
	.globl	_ZN9rocsparseL30bsrgemm_fill_block_per_row_2x2ILj256ELj16ELj512ELj137ElifEEv20rocsparse_direction_T4_S2_PKS2_S4_NS_24const_host_device_scalarIT5_EEPKT3_S4_PKS6_SA_S4_SC_S7_SA_S4_SC_SA_PS2_PS6_21rocsparse_index_base_SF_SF_SF_bbb ; -- Begin function _ZN9rocsparseL30bsrgemm_fill_block_per_row_2x2ILj256ELj16ELj512ELj137ElifEEv20rocsparse_direction_T4_S2_PKS2_S4_NS_24const_host_device_scalarIT5_EEPKT3_S4_PKS6_SA_S4_SC_S7_SA_S4_SC_SA_PS2_PS6_21rocsparse_index_base_SF_SF_SF_bbb
	.p2align	8
	.type	_ZN9rocsparseL30bsrgemm_fill_block_per_row_2x2ILj256ELj16ELj512ELj137ElifEEv20rocsparse_direction_T4_S2_PKS2_S4_NS_24const_host_device_scalarIT5_EEPKT3_S4_PKS6_SA_S4_SC_S7_SA_S4_SC_SA_PS2_PS6_21rocsparse_index_base_SF_SF_SF_bbb,@function
_ZN9rocsparseL30bsrgemm_fill_block_per_row_2x2ILj256ELj16ELj512ELj137ElifEEv20rocsparse_direction_T4_S2_PKS2_S4_NS_24const_host_device_scalarIT5_EEPKT3_S4_PKS6_SA_S4_SC_S7_SA_S4_SC_SA_PS2_PS6_21rocsparse_index_base_SF_SF_SF_bbb: ; @_ZN9rocsparseL30bsrgemm_fill_block_per_row_2x2ILj256ELj16ELj512ELj137ElifEEv20rocsparse_direction_T4_S2_PKS2_S4_NS_24const_host_device_scalarIT5_EEPKT3_S4_PKS6_SA_S4_SC_S7_SA_S4_SC_SA_PS2_PS6_21rocsparse_index_base_SF_SF_SF_bbb
; %bb.0:
	s_load_dword s7, s[4:5], 0xa0
	s_load_dwordx2 s[2:3], s[4:5], 0x20
	s_load_dwordx2 s[0:1], s[4:5], 0x58
	s_waitcnt lgkmcnt(0)
	s_bitcmp1_b32 s7, 0
	s_cselect_b64 s[8:9], -1, 0
	s_bitcmp1_b32 s7, 16
	s_cselect_b64 s[10:11], -1, 0
	s_xor_b64 s[12:13], s[8:9], -1
	s_or_b64 s[12:13], s[12:13], s[10:11]
	s_and_b64 vcc, exec, s[12:13]
	s_cbranch_vccnz .LBB173_2
; %bb.1:
	s_load_dword s2, s[2:3], 0x0
	s_waitcnt lgkmcnt(0)
	v_mov_b32_e32 v10, s2
	s_branch .LBB173_3
.LBB173_2:
	v_mov_b32_e32 v1, s2
	v_cndmask_b32_e64 v10, 0, v1, s[8:9]
.LBB173_3:
	s_bitcmp1_b32 s7, 8
	s_cselect_b64 s[2:3], -1, 0
	s_xor_b64 s[12:13], s[2:3], -1
	s_or_b64 s[10:11], s[12:13], s[10:11]
	s_and_b64 vcc, exec, s[10:11]
	s_cbranch_vccnz .LBB173_5
; %bb.4:
	s_load_dword s0, s[0:1], 0x0
	s_waitcnt lgkmcnt(0)
	v_mov_b32_e32 v1, s0
	s_branch .LBB173_6
.LBB173_5:
	v_mov_b32_e32 v1, s0
	v_cndmask_b32_e64 v1, 0, v1, s[2:3]
.LBB173_6:
	s_load_dwordx4 s[28:31], s[4:5], 0x90
	s_load_dword s33, s[4:5], 0x8
	s_movk_i32 s0, 0x200
	s_movk_i32 s7, 0x1ff
	v_cmp_gt_u32_e64 s[0:1], s0, v0
	v_cmp_lt_u32_e32 vcc, s7, v0
	v_lshlrev_b32_e32 v2, 2, v0
	s_and_saveexec_b64 s[10:11], vcc
	s_xor_b64 s[10:11], exec, s[10:11]
; %bb.7:
	v_lshlrev_b32_e32 v2, 2, v0
; %bb.8:
	s_or_saveexec_b64 s[10:11], s[10:11]
	s_load_dwordx4 s[36:39], s[4:5], 0x80
	s_load_dwordx8 s[12:19], s[4:5], 0x60
	s_load_dwordx4 s[40:43], s[4:5], 0x48
	s_load_dwordx4 s[44:47], s[4:5], 0x10
	s_load_dwordx8 s[20:27], s[4:5], 0x28
	s_xor_b64 exec, exec, s[10:11]
	s_cbranch_execz .LBB173_16
; %bb.9:
	s_mov_b32 s7, 0
	v_add_u32_e32 v3, 0, v2
	s_mov_b64 s[34:35], 0
	s_branch .LBB173_11
.LBB173_10:                             ;   in Loop: Header=BB173_11 Depth=1
	s_or_b64 exec, exec, s[50:51]
	s_add_i32 s7, s7, 2
	v_cmp_eq_u32_e64 s[48:49], 2, s7
	s_or_b64 s[34:35], s[48:49], s[34:35]
	v_add_u32_e32 v3, 0x800, v3
	s_andn2_b64 exec, exec, s[34:35]
	s_cbranch_execz .LBB173_15
.LBB173_11:                             ; =>This Inner Loop Header: Depth=1
	s_or_b32 s48, s7, 1
	v_cmp_le_u32_e64 s[48:49], s48, 1
	v_cmp_le_u32_e64 s[52:53], s7, 1
	s_and_saveexec_b64 s[50:51], s[52:53]
	s_cbranch_execz .LBB173_13
; %bb.12:                               ;   in Loop: Header=BB173_11 Depth=1
	s_waitcnt lgkmcnt(0)
	v_mov_b32_e32 v4, s33
	ds_write_b32 v3, v4
.LBB173_13:                             ;   in Loop: Header=BB173_11 Depth=1
	s_or_b64 exec, exec, s[50:51]
	s_and_saveexec_b64 s[50:51], s[48:49]
	s_cbranch_execz .LBB173_10
; %bb.14:                               ;   in Loop: Header=BB173_11 Depth=1
	s_waitcnt lgkmcnt(0)
	v_mov_b32_e32 v4, s33
	ds_write_b32 v3, v4 offset:1024
	s_branch .LBB173_10
.LBB173_15:
	s_or_b64 exec, exec, s[34:35]
.LBB173_16:
	s_or_b64 exec, exec, s[10:11]
	v_add_u32_e32 v2, 0, v2
	s_mov_b32 s7, 0
	v_add_u32_e32 v2, 0x800, v2
	s_mov_b64 s[10:11], 0
	v_mov_b32_e32 v3, 0
	s_branch .LBB173_18
.LBB173_17:                             ;   in Loop: Header=BB173_18 Depth=1
	s_or_b64 exec, exec, s[48:49]
	s_add_i32 s7, s7, 2
	v_cmp_eq_u32_e64 s[34:35], 8, s7
	s_or_b64 s[10:11], s[34:35], s[10:11]
	v_add_u32_e32 v2, 0x800, v2
	s_andn2_b64 exec, exec, s[10:11]
	s_cbranch_execz .LBB173_22
.LBB173_18:                             ; =>This Inner Loop Header: Depth=1
	s_or_b32 s34, s7, 1
	v_cmp_le_u32_e64 s[34:35], s34, 7
	v_cmp_le_u32_e64 s[50:51], s7, 7
	s_and_saveexec_b64 s[48:49], s[50:51]
	s_cbranch_execz .LBB173_20
; %bb.19:                               ;   in Loop: Header=BB173_18 Depth=1
	ds_write_b32 v2, v3
.LBB173_20:                             ;   in Loop: Header=BB173_18 Depth=1
	s_or_b64 exec, exec, s[48:49]
	s_and_saveexec_b64 s[48:49], s[34:35]
	s_cbranch_execz .LBB173_17
; %bb.21:                               ;   in Loop: Header=BB173_18 Depth=1
	ds_write_b32 v2, v3 offset:1024
	s_branch .LBB173_17
.LBB173_22:
	s_or_b64 exec, exec, s[10:11]
	s_waitcnt lgkmcnt(0)
	s_cmp_eq_u64 s[46:47], 0
	s_barrier
	s_cbranch_scc1 .LBB173_24
; %bb.23:
	s_load_dword s7, s[44:45], 0x0
	s_waitcnt lgkmcnt(0)
	s_add_i32 s6, s7, s6
	s_mov_b32 s7, 0
	s_lshl_b64 s[6:7], s[6:7], 2
	s_add_u32 s6, s46, s6
	s_addc_u32 s7, s47, s7
	s_load_dword s6, s[6:7], 0x0
.LBB173_24:
	s_nop 0
	s_load_dword s56, s[4:5], 0x0
	s_andn2_b64 vcc, exec, s[8:9]
	s_waitcnt lgkmcnt(0)
	s_ashr_i32 s7, s6, 31
	s_cbranch_vccnz .LBB173_80
; %bb.25:
	s_lshl_b64 s[4:5], s[6:7], 3
	s_add_u32 s4, s20, s4
	s_addc_u32 s5, s21, s5
	s_load_dwordx4 s[8:11], s[4:5], 0x0
	v_lshrrev_b32_e32 v2, 4, v0
	v_subrev_co_u32_e32 v2, vcc, s28, v2
	s_mov_b32 s20, 0
	s_waitcnt lgkmcnt(0)
	s_sub_u32 s4, s10, s28
	s_subb_u32 s5, s11, 0
	v_subb_co_u32_e64 v3, s[10:11], 0, 0, vcc
	v_mov_b32_e32 v4, s9
	v_add_co_u32_e32 v2, vcc, s8, v2
	v_addc_co_u32_e32 v3, vcc, v4, v3, vcc
	v_cmp_gt_i64_e32 vcc, s[4:5], v[2:3]
	s_and_saveexec_b64 s[8:9], vcc
	s_cbranch_execz .LBB173_79
; %bb.26:
	v_and_b32_e32 v4, 15, v0
	v_subrev_co_u32_e32 v11, vcc, s29, v4
	s_cmp_eq_u32 s56, 0
	v_subb_co_u32_e64 v12, s[10:11], 0, 0, vcc
	s_mov_b32 s57, s29
	s_cselect_b32 s58, 1, 2
	s_cselect_b32 s59, 2, 1
	s_mov_b64 s[10:11], 0
	v_mov_b32_e32 v13, s23
	v_mov_b32_e32 v14, s27
	;; [unrolled: 1-line block ×3, first 2 shown]
	s_movk_i32 s23, 0x89
	s_branch .LBB173_28
.LBB173_27:                             ;   in Loop: Header=BB173_28 Depth=1
	s_or_b64 exec, exec, s[20:21]
	v_add_co_u32_e32 v2, vcc, 16, v2
	v_addc_co_u32_e32 v3, vcc, 0, v3, vcc
	v_cmp_le_i64_e32 vcc, s[4:5], v[2:3]
	s_or_b64 s[10:11], vcc, s[10:11]
	s_andn2_b64 exec, exec, s[10:11]
	s_cbranch_execz .LBB173_79
.LBB173_28:                             ; =>This Loop Header: Depth=1
                                        ;     Child Loop BB173_31 Depth 2
                                        ;       Child Loop BB173_33 Depth 3
                                        ;       Child Loop BB173_45 Depth 3
	;; [unrolled: 1-line block ×4, first 2 shown]
	v_lshlrev_b64 v[8:9], 2, v[2:3]
	v_add_co_u32_e32 v4, vcc, s22, v8
	v_addc_co_u32_e32 v5, vcc, v13, v9, vcc
	global_load_dword v4, v[4:5], off
	s_waitcnt vmcnt(0)
	v_subrev_u32_e32 v4, s28, v4
	v_ashrrev_i32_e32 v5, 31, v4
	v_lshlrev_b64 v[4:5], 3, v[4:5]
	v_add_co_u32_e32 v4, vcc, s26, v4
	v_addc_co_u32_e32 v5, vcc, v14, v5, vcc
	global_load_dwordx4 v[16:19], v[4:5], off
	s_waitcnt vmcnt(0)
	v_subrev_co_u32_e32 v4, vcc, s57, v18
	v_subb_co_u32_e32 v5, vcc, v19, v15, vcc
	v_add_co_u32_e32 v6, vcc, v16, v11
	v_addc_co_u32_e32 v7, vcc, v17, v12, vcc
	v_cmp_lt_i64_e32 vcc, v[6:7], v[4:5]
	s_and_saveexec_b64 s[20:21], vcc
	s_cbranch_execz .LBB173_27
; %bb.29:                               ;   in Loop: Header=BB173_28 Depth=1
	v_lshlrev_b64 v[18:19], 4, v[2:3]
	v_or_b32_e32 v17, 0, v9
	v_or_b32_e32 v16, s58, v8
	v_or_b32_e32 v9, 0, v9
	v_or_b32_e32 v8, s59, v8
	v_mov_b32_e32 v20, s25
	v_add_co_u32_e32 v18, vcc, s24, v18
	v_addc_co_u32_e32 v19, vcc, v20, v19, vcc
	v_lshlrev_b64 v[8:9], 2, v[8:9]
	v_add_co_u32_e32 v8, vcc, s24, v8
	v_addc_co_u32_e32 v9, vcc, v20, v9, vcc
	v_lshlrev_b64 v[16:17], 2, v[16:17]
	v_add_co_u32_e32 v16, vcc, s24, v16
	v_addc_co_u32_e32 v17, vcc, v20, v17, vcc
	global_load_dword v20, v[18:19], off offset:12
	global_load_dword v21, v[8:9], off
	global_load_dword v22, v[16:17], off
	global_load_dword v23, v[18:19], off
	s_mov_b64 s[34:35], 0
	s_waitcnt vmcnt(3)
	v_mul_f32_e32 v9, v10, v20
	s_waitcnt vmcnt(2)
	v_mul_f32_e32 v16, v10, v21
	;; [unrolled: 2-line block ×4, first 2 shown]
	s_branch .LBB173_31
.LBB173_30:                             ;   in Loop: Header=BB173_31 Depth=2
	s_or_b64 exec, exec, s[44:45]
	v_add_co_u32_e32 v6, vcc, 16, v6
	v_addc_co_u32_e32 v7, vcc, 0, v7, vcc
	v_cmp_ge_i64_e32 vcc, v[6:7], v[4:5]
	s_or_b64 s[34:35], vcc, s[34:35]
	s_andn2_b64 exec, exec, s[34:35]
	s_cbranch_execz .LBB173_27
.LBB173_31:                             ;   Parent Loop BB173_28 Depth=1
                                        ; =>  This Loop Header: Depth=2
                                        ;       Child Loop BB173_33 Depth 3
                                        ;       Child Loop BB173_45 Depth 3
	;; [unrolled: 1-line block ×4, first 2 shown]
	v_lshlrev_b64 v[20:21], 2, v[6:7]
	v_mov_b32_e32 v8, s41
	v_add_co_u32_e32 v22, vcc, s40, v20
	v_addc_co_u32_e32 v23, vcc, v8, v21, vcc
	global_load_dword v8, v[22:23], off
	v_lshlrev_b64 v[22:23], 4, v[6:7]
	v_or_b32_e32 v25, 0, v21
	v_or_b32_e32 v24, s58, v20
	;; [unrolled: 1-line block ×4, first 2 shown]
	v_mov_b32_e32 v19, s43
	v_add_co_u32_e32 v26, vcc, s42, v22
	v_addc_co_u32_e32 v27, vcc, v19, v23, vcc
	v_lshlrev_b64 v[20:21], 2, v[20:21]
	v_add_co_u32_e32 v20, vcc, s42, v20
	v_lshlrev_b64 v[28:29], 2, v[24:25]
	v_addc_co_u32_e32 v21, vcc, v19, v21, vcc
	global_load_dword v23, v[26:27], off
	global_load_dword v24, v[20:21], off
	v_add_co_u32_e32 v20, vcc, s42, v28
	v_addc_co_u32_e32 v21, vcc, v19, v29, vcc
	global_load_dword v21, v[20:21], off
	s_nop 0
	global_load_dword v22, v[26:27], off offset:12
	s_mov_b64 s[44:45], 0
	s_waitcnt vmcnt(4)
	v_subrev_u32_e32 v19, s29, v8
	v_mul_lo_u32 v8, v19, s23
	v_and_b32_e32 v20, 0x1ff, v8
	v_mov_b32_e32 v26, v20
	s_waitcnt vmcnt(2)
	v_mul_f32_e32 v25, v17, v24
	v_fmac_f32_e32 v25, v18, v23
	s_branch .LBB173_33
.LBB173_32:                             ;   in Loop: Header=BB173_33 Depth=3
	s_or_b64 exec, exec, s[46:47]
	s_xor_b64 s[46:47], s[48:49], -1
	s_and_b64 s[46:47], exec, s[46:47]
	s_or_b64 s[44:45], s[46:47], s[44:45]
	s_andn2_b64 exec, exec, s[44:45]
	s_cbranch_execz .LBB173_43
.LBB173_33:                             ;   Parent Loop BB173_28 Depth=1
                                        ;     Parent Loop BB173_31 Depth=2
                                        ; =>    This Inner Loop Header: Depth=3
	v_lshl_add_u32 v8, v26, 2, 0
	ds_read_b32 v27, v8
                                        ; implicit-def: $sgpr48_sgpr49
	s_waitcnt lgkmcnt(0)
	v_cmp_ne_u32_e32 vcc, v27, v19
	s_and_saveexec_b64 s[46:47], vcc
	s_xor_b64 s[46:47], exec, s[46:47]
	s_cbranch_execz .LBB173_41
; %bb.34:                               ;   in Loop: Header=BB173_33 Depth=3
	v_cmp_ne_u32_e32 vcc, s33, v27
                                        ; implicit-def: $sgpr48_sgpr49
	s_and_saveexec_b64 s[50:51], vcc
	s_xor_b64 s[50:51], exec, s[50:51]
; %bb.35:                               ;   in Loop: Header=BB173_33 Depth=3
	v_add_u32_e32 v8, 1, v26
	v_and_b32_e32 v26, 0x1ff, v8
	s_mov_b64 s[48:49], -1
                                        ; implicit-def: $vgpr8
; %bb.36:                               ;   in Loop: Header=BB173_33 Depth=3
	s_andn2_saveexec_b64 s[50:51], s[50:51]
	s_cbranch_execz .LBB173_40
; %bb.37:                               ;   in Loop: Header=BB173_33 Depth=3
	v_mov_b32_e32 v27, s33
	ds_cmpst_rtn_b32 v27, v8, v27, v19
	s_mov_b64 s[52:53], -1
	s_waitcnt lgkmcnt(0)
	v_cmp_eq_u32_e32 vcc, s33, v27
	s_and_saveexec_b64 s[54:55], vcc
	s_cbranch_execz .LBB173_39
; %bb.38:                               ;   in Loop: Header=BB173_33 Depth=3
	v_mad_u64_u32 v[28:29], s[52:53], v26, 12, v[8:9]
	ds_add_f32 v28, v25 offset:2048
	s_xor_b64 s[52:53], exec, -1
.LBB173_39:                             ;   in Loop: Header=BB173_33 Depth=3
	s_or_b64 exec, exec, s[54:55]
	s_andn2_b64 s[48:49], s[48:49], exec
	s_and_b64 s[52:53], s[52:53], exec
	s_or_b64 s[48:49], s[48:49], s[52:53]
.LBB173_40:                             ;   in Loop: Header=BB173_33 Depth=3
	s_or_b64 exec, exec, s[50:51]
	s_and_b64 s[48:49], s[48:49], exec
                                        ; implicit-def: $vgpr8
.LBB173_41:                             ;   in Loop: Header=BB173_33 Depth=3
	s_andn2_saveexec_b64 s[46:47], s[46:47]
	s_cbranch_execz .LBB173_32
; %bb.42:                               ;   in Loop: Header=BB173_33 Depth=3
	v_mad_u64_u32 v[28:29], s[50:51], v26, 12, v[8:9]
	ds_add_f32 v28, v25 offset:2048
	s_andn2_b64 s[48:49], s[48:49], exec
	s_branch .LBB173_32
.LBB173_43:                             ;   in Loop: Header=BB173_31 Depth=2
	s_or_b64 exec, exec, s[44:45]
	s_waitcnt vmcnt(0)
	v_mul_f32_e32 v25, v17, v22
	v_fmac_f32_e32 v25, v18, v21
	s_mov_b64 s[44:45], 0
	v_mov_b32_e32 v26, v20
	s_branch .LBB173_45
.LBB173_44:                             ;   in Loop: Header=BB173_45 Depth=3
	s_or_b64 exec, exec, s[46:47]
	s_xor_b64 s[46:47], s[48:49], -1
	s_and_b64 s[46:47], exec, s[46:47]
	s_or_b64 s[44:45], s[46:47], s[44:45]
	s_andn2_b64 exec, exec, s[44:45]
	s_cbranch_execz .LBB173_55
.LBB173_45:                             ;   Parent Loop BB173_28 Depth=1
                                        ;     Parent Loop BB173_31 Depth=2
                                        ; =>    This Inner Loop Header: Depth=3
	v_lshl_add_u32 v8, v26, 2, 0
	ds_read_b32 v27, v8
                                        ; implicit-def: $sgpr48_sgpr49
	s_waitcnt lgkmcnt(0)
	v_cmp_ne_u32_e32 vcc, v27, v19
	s_and_saveexec_b64 s[46:47], vcc
	s_xor_b64 s[46:47], exec, s[46:47]
	s_cbranch_execz .LBB173_53
; %bb.46:                               ;   in Loop: Header=BB173_45 Depth=3
	v_cmp_ne_u32_e32 vcc, s33, v27
                                        ; implicit-def: $sgpr48_sgpr49
	s_and_saveexec_b64 s[50:51], vcc
	s_xor_b64 s[50:51], exec, s[50:51]
; %bb.47:                               ;   in Loop: Header=BB173_45 Depth=3
	v_add_u32_e32 v8, 1, v26
	v_and_b32_e32 v26, 0x1ff, v8
	s_mov_b64 s[48:49], -1
                                        ; implicit-def: $vgpr8
; %bb.48:                               ;   in Loop: Header=BB173_45 Depth=3
	s_andn2_saveexec_b64 s[50:51], s[50:51]
	s_cbranch_execz .LBB173_52
; %bb.49:                               ;   in Loop: Header=BB173_45 Depth=3
	v_mov_b32_e32 v27, s33
	ds_cmpst_rtn_b32 v27, v8, v27, v19
	s_mov_b64 s[52:53], -1
	s_waitcnt lgkmcnt(0)
	v_cmp_eq_u32_e32 vcc, s33, v27
	s_and_saveexec_b64 s[54:55], vcc
	s_cbranch_execz .LBB173_51
; %bb.50:                               ;   in Loop: Header=BB173_45 Depth=3
	v_mad_u64_u32 v[28:29], s[52:53], v26, 12, v[8:9]
	ds_add_f32 v28, v25 offset:2052
	s_xor_b64 s[52:53], exec, -1
.LBB173_51:                             ;   in Loop: Header=BB173_45 Depth=3
	s_or_b64 exec, exec, s[54:55]
	s_andn2_b64 s[48:49], s[48:49], exec
	s_and_b64 s[52:53], s[52:53], exec
	s_or_b64 s[48:49], s[48:49], s[52:53]
.LBB173_52:                             ;   in Loop: Header=BB173_45 Depth=3
	s_or_b64 exec, exec, s[50:51]
	s_and_b64 s[48:49], s[48:49], exec
                                        ; implicit-def: $vgpr8
.LBB173_53:                             ;   in Loop: Header=BB173_45 Depth=3
	s_andn2_saveexec_b64 s[46:47], s[46:47]
	s_cbranch_execz .LBB173_44
; %bb.54:                               ;   in Loop: Header=BB173_45 Depth=3
	v_mad_u64_u32 v[28:29], s[50:51], v26, 12, v[8:9]
	ds_add_f32 v28, v25 offset:2052
	s_andn2_b64 s[48:49], s[48:49], exec
	s_branch .LBB173_44
.LBB173_55:                             ;   in Loop: Header=BB173_31 Depth=2
	s_or_b64 exec, exec, s[44:45]
	v_mul_f32_e32 v24, v9, v24
	v_fmac_f32_e32 v24, v16, v23
	s_mov_b64 s[44:45], 0
	v_mov_b32_e32 v23, v20
	s_branch .LBB173_57
.LBB173_56:                             ;   in Loop: Header=BB173_57 Depth=3
	s_or_b64 exec, exec, s[46:47]
	s_xor_b64 s[46:47], s[48:49], -1
	s_and_b64 s[46:47], exec, s[46:47]
	s_or_b64 s[44:45], s[46:47], s[44:45]
	s_andn2_b64 exec, exec, s[44:45]
	s_cbranch_execz .LBB173_67
.LBB173_57:                             ;   Parent Loop BB173_28 Depth=1
                                        ;     Parent Loop BB173_31 Depth=2
                                        ; =>    This Inner Loop Header: Depth=3
	v_lshl_add_u32 v8, v23, 2, 0
	ds_read_b32 v25, v8
                                        ; implicit-def: $sgpr48_sgpr49
	s_waitcnt lgkmcnt(0)
	v_cmp_ne_u32_e32 vcc, v25, v19
	s_and_saveexec_b64 s[46:47], vcc
	s_xor_b64 s[46:47], exec, s[46:47]
	s_cbranch_execz .LBB173_65
; %bb.58:                               ;   in Loop: Header=BB173_57 Depth=3
	v_cmp_ne_u32_e32 vcc, s33, v25
                                        ; implicit-def: $sgpr48_sgpr49
	s_and_saveexec_b64 s[50:51], vcc
	s_xor_b64 s[50:51], exec, s[50:51]
; %bb.59:                               ;   in Loop: Header=BB173_57 Depth=3
	v_add_u32_e32 v8, 1, v23
	v_and_b32_e32 v23, 0x1ff, v8
	s_mov_b64 s[48:49], -1
                                        ; implicit-def: $vgpr8
; %bb.60:                               ;   in Loop: Header=BB173_57 Depth=3
	s_andn2_saveexec_b64 s[50:51], s[50:51]
	s_cbranch_execz .LBB173_64
; %bb.61:                               ;   in Loop: Header=BB173_57 Depth=3
	v_mov_b32_e32 v25, s33
	ds_cmpst_rtn_b32 v25, v8, v25, v19
	s_mov_b64 s[52:53], -1
	s_waitcnt lgkmcnt(0)
	v_cmp_eq_u32_e32 vcc, s33, v25
	s_and_saveexec_b64 s[54:55], vcc
	s_cbranch_execz .LBB173_63
; %bb.62:                               ;   in Loop: Header=BB173_57 Depth=3
	v_mad_u64_u32 v[26:27], s[52:53], v23, 12, v[8:9]
	ds_add_f32 v26, v24 offset:2056
	s_xor_b64 s[52:53], exec, -1
.LBB173_63:                             ;   in Loop: Header=BB173_57 Depth=3
	s_or_b64 exec, exec, s[54:55]
	s_andn2_b64 s[48:49], s[48:49], exec
	s_and_b64 s[52:53], s[52:53], exec
	s_or_b64 s[48:49], s[48:49], s[52:53]
.LBB173_64:                             ;   in Loop: Header=BB173_57 Depth=3
	s_or_b64 exec, exec, s[50:51]
	s_and_b64 s[48:49], s[48:49], exec
                                        ; implicit-def: $vgpr8
.LBB173_65:                             ;   in Loop: Header=BB173_57 Depth=3
	s_andn2_saveexec_b64 s[46:47], s[46:47]
	s_cbranch_execz .LBB173_56
; %bb.66:                               ;   in Loop: Header=BB173_57 Depth=3
	v_mad_u64_u32 v[26:27], s[50:51], v23, 12, v[8:9]
	ds_add_f32 v26, v24 offset:2056
	s_andn2_b64 s[48:49], s[48:49], exec
	s_branch .LBB173_56
.LBB173_67:                             ;   in Loop: Header=BB173_31 Depth=2
	s_or_b64 exec, exec, s[44:45]
	v_mul_f32_e32 v22, v9, v22
	v_fmac_f32_e32 v22, v16, v21
	s_mov_b64 s[44:45], 0
	s_branch .LBB173_69
.LBB173_68:                             ;   in Loop: Header=BB173_69 Depth=3
	s_or_b64 exec, exec, s[46:47]
	s_xor_b64 s[46:47], s[48:49], -1
	s_and_b64 s[46:47], exec, s[46:47]
	s_or_b64 s[44:45], s[46:47], s[44:45]
	s_andn2_b64 exec, exec, s[44:45]
	s_cbranch_execz .LBB173_30
.LBB173_69:                             ;   Parent Loop BB173_28 Depth=1
                                        ;     Parent Loop BB173_31 Depth=2
                                        ; =>    This Inner Loop Header: Depth=3
	v_lshl_add_u32 v8, v20, 2, 0
	ds_read_b32 v21, v8
                                        ; implicit-def: $sgpr48_sgpr49
	s_waitcnt lgkmcnt(0)
	v_cmp_ne_u32_e32 vcc, v21, v19
	s_and_saveexec_b64 s[46:47], vcc
	s_xor_b64 s[46:47], exec, s[46:47]
	s_cbranch_execz .LBB173_77
; %bb.70:                               ;   in Loop: Header=BB173_69 Depth=3
	v_cmp_ne_u32_e32 vcc, s33, v21
                                        ; implicit-def: $sgpr48_sgpr49
	s_and_saveexec_b64 s[50:51], vcc
	s_xor_b64 s[50:51], exec, s[50:51]
; %bb.71:                               ;   in Loop: Header=BB173_69 Depth=3
	v_add_u32_e32 v8, 1, v20
	v_and_b32_e32 v20, 0x1ff, v8
	s_mov_b64 s[48:49], -1
                                        ; implicit-def: $vgpr8
; %bb.72:                               ;   in Loop: Header=BB173_69 Depth=3
	s_andn2_saveexec_b64 s[50:51], s[50:51]
	s_cbranch_execz .LBB173_76
; %bb.73:                               ;   in Loop: Header=BB173_69 Depth=3
	v_mov_b32_e32 v21, s33
	ds_cmpst_rtn_b32 v21, v8, v21, v19
	s_mov_b64 s[52:53], -1
	s_waitcnt lgkmcnt(0)
	v_cmp_eq_u32_e32 vcc, s33, v21
	s_and_saveexec_b64 s[54:55], vcc
	s_cbranch_execz .LBB173_75
; %bb.74:                               ;   in Loop: Header=BB173_69 Depth=3
	v_mad_u64_u32 v[24:25], s[52:53], v20, 12, v[8:9]
	ds_add_f32 v24, v22 offset:2060
	s_xor_b64 s[52:53], exec, -1
.LBB173_75:                             ;   in Loop: Header=BB173_69 Depth=3
	s_or_b64 exec, exec, s[54:55]
	s_andn2_b64 s[48:49], s[48:49], exec
	s_and_b64 s[52:53], s[52:53], exec
	s_or_b64 s[48:49], s[48:49], s[52:53]
.LBB173_76:                             ;   in Loop: Header=BB173_69 Depth=3
	s_or_b64 exec, exec, s[50:51]
	s_and_b64 s[48:49], s[48:49], exec
                                        ; implicit-def: $vgpr8
.LBB173_77:                             ;   in Loop: Header=BB173_69 Depth=3
	s_andn2_saveexec_b64 s[46:47], s[46:47]
	s_cbranch_execz .LBB173_68
; %bb.78:                               ;   in Loop: Header=BB173_69 Depth=3
	v_mad_u64_u32 v[24:25], s[50:51], v20, 12, v[8:9]
	ds_add_f32 v24, v22 offset:2060
	s_andn2_b64 s[48:49], s[48:49], exec
	s_branch .LBB173_68
.LBB173_79:
	s_or_b64 exec, exec, s[8:9]
.LBB173_80:
	s_andn2_b64 vcc, exec, s[2:3]
	s_waitcnt lgkmcnt(0)
	s_barrier
	s_cbranch_vccnz .LBB173_133
; %bb.81:
	s_lshl_b64 s[2:3], s[6:7], 3
	s_add_u32 s2, s12, s2
	s_addc_u32 s3, s13, s3
	s_load_dwordx4 s[8:11], s[2:3], 0x0
	v_subrev_co_u32_e32 v2, vcc, s31, v0
	v_subb_co_u32_e64 v3, s[2:3], 0, 0, vcc
	s_waitcnt lgkmcnt(0)
	s_sub_u32 s2, s10, s31
	v_mov_b32_e32 v4, s9
	v_add_co_u32_e32 v2, vcc, s8, v2
	s_subb_u32 s3, s11, 0
	v_addc_co_u32_e32 v3, vcc, v4, v3, vcc
	v_cmp_gt_i64_e32 vcc, s[2:3], v[2:3]
	s_and_saveexec_b64 s[4:5], vcc
	s_cbranch_execz .LBB173_132
; %bb.82:
	s_cmp_eq_u32 s56, 0
	s_cselect_b32 s28, 1, 2
	s_cselect_b32 s29, 2, 1
	s_mov_b64 s[8:9], 0
	v_mov_b32_e32 v5, s17
	v_mov_b32_e32 v6, s15
	s_movk_i32 s15, 0x89
	s_branch .LBB173_84
.LBB173_83:                             ;   in Loop: Header=BB173_84 Depth=1
	s_or_b64 exec, exec, s[10:11]
	v_add_co_u32_e32 v2, vcc, 0x100, v2
	v_addc_co_u32_e32 v3, vcc, 0, v3, vcc
	v_cmp_le_i64_e32 vcc, s[2:3], v[2:3]
	s_or_b64 s[8:9], vcc, s[8:9]
	s_andn2_b64 exec, exec, s[8:9]
	s_cbranch_execz .LBB173_132
.LBB173_84:                             ; =>This Loop Header: Depth=1
                                        ;     Child Loop BB173_86 Depth 2
                                        ;     Child Loop BB173_98 Depth 2
	;; [unrolled: 1-line block ×4, first 2 shown]
	v_lshlrev_b64 v[8:9], 2, v[2:3]
	v_lshlrev_b64 v[14:15], 4, v[2:3]
	v_or_b32_e32 v11, 0, v9
	v_or_b32_e32 v10, s28, v8
	v_add_co_u32_e32 v14, vcc, s16, v14
	v_addc_co_u32_e32 v15, vcc, v5, v15, vcc
	v_lshlrev_b64 v[10:11], 2, v[10:11]
	v_add_co_u32_e32 v16, vcc, s16, v10
	v_addc_co_u32_e32 v17, vcc, v5, v11, vcc
	v_or_b32_e32 v12, s29, v8
	v_add_co_u32_e32 v8, vcc, s14, v8
	v_or_b32_e32 v13, 0, v9
	v_addc_co_u32_e32 v9, vcc, v6, v9, vcc
	v_lshlrev_b64 v[10:11], 2, v[12:13]
	global_load_dword v7, v[8:9], off
	global_load_dword v4, v[14:15], off
	v_add_co_u32_e32 v12, vcc, s16, v10
	v_addc_co_u32_e32 v13, vcc, v5, v11, vcc
	global_load_dword v10, v[12:13], off
	global_load_dword v11, v[16:17], off
	global_load_dword v9, v[14:15], off offset:12
	s_mov_b64 s[10:11], 0
	s_waitcnt vmcnt(4)
	v_subrev_u32_e32 v7, s31, v7
	s_waitcnt vmcnt(3)
	v_mul_f32_e32 v12, v1, v4
	v_mul_lo_u32 v4, v7, s15
	v_and_b32_e32 v8, 0x1ff, v4
	v_mov_b32_e32 v13, v8
	s_branch .LBB173_86
.LBB173_85:                             ;   in Loop: Header=BB173_86 Depth=2
	s_or_b64 exec, exec, s[12:13]
	s_xor_b64 s[12:13], s[20:21], -1
	s_and_b64 s[12:13], exec, s[12:13]
	s_or_b64 s[10:11], s[12:13], s[10:11]
	s_andn2_b64 exec, exec, s[10:11]
	s_cbranch_execz .LBB173_96
.LBB173_86:                             ;   Parent Loop BB173_84 Depth=1
                                        ; =>  This Inner Loop Header: Depth=2
	v_lshl_add_u32 v4, v13, 2, 0
	ds_read_b32 v14, v4
                                        ; implicit-def: $sgpr20_sgpr21
	s_waitcnt lgkmcnt(0)
	v_cmp_ne_u32_e32 vcc, v14, v7
	s_and_saveexec_b64 s[12:13], vcc
	s_xor_b64 s[12:13], exec, s[12:13]
	s_cbranch_execz .LBB173_94
; %bb.87:                               ;   in Loop: Header=BB173_86 Depth=2
	v_cmp_ne_u32_e32 vcc, s33, v14
                                        ; implicit-def: $sgpr20_sgpr21
	s_and_saveexec_b64 s[22:23], vcc
	s_xor_b64 s[22:23], exec, s[22:23]
; %bb.88:                               ;   in Loop: Header=BB173_86 Depth=2
	v_add_u32_e32 v4, 1, v13
	v_and_b32_e32 v13, 0x1ff, v4
	s_mov_b64 s[20:21], -1
                                        ; implicit-def: $vgpr4
; %bb.89:                               ;   in Loop: Header=BB173_86 Depth=2
	s_andn2_saveexec_b64 s[22:23], s[22:23]
	s_cbranch_execz .LBB173_93
; %bb.90:                               ;   in Loop: Header=BB173_86 Depth=2
	v_mov_b32_e32 v14, s33
	ds_cmpst_rtn_b32 v14, v4, v14, v7
	s_mov_b64 s[24:25], -1
	s_waitcnt lgkmcnt(0)
	v_cmp_eq_u32_e32 vcc, s33, v14
	s_and_saveexec_b64 s[26:27], vcc
	s_cbranch_execz .LBB173_92
; %bb.91:                               ;   in Loop: Header=BB173_86 Depth=2
	v_mad_u64_u32 v[14:15], s[24:25], v13, 12, v[4:5]
	ds_add_f32 v14, v12 offset:2048
	s_xor_b64 s[24:25], exec, -1
.LBB173_92:                             ;   in Loop: Header=BB173_86 Depth=2
	s_or_b64 exec, exec, s[26:27]
	s_andn2_b64 s[20:21], s[20:21], exec
	s_and_b64 s[24:25], s[24:25], exec
	s_or_b64 s[20:21], s[20:21], s[24:25]
.LBB173_93:                             ;   in Loop: Header=BB173_86 Depth=2
	s_or_b64 exec, exec, s[22:23]
	s_and_b64 s[20:21], s[20:21], exec
                                        ; implicit-def: $vgpr4
.LBB173_94:                             ;   in Loop: Header=BB173_86 Depth=2
	s_andn2_saveexec_b64 s[12:13], s[12:13]
	s_cbranch_execz .LBB173_85
; %bb.95:                               ;   in Loop: Header=BB173_86 Depth=2
	v_mad_u64_u32 v[14:15], s[22:23], v13, 12, v[4:5]
	ds_add_f32 v14, v12 offset:2048
	s_andn2_b64 s[20:21], s[20:21], exec
	s_branch .LBB173_85
.LBB173_96:                             ;   in Loop: Header=BB173_84 Depth=1
	s_or_b64 exec, exec, s[10:11]
	s_waitcnt vmcnt(1)
	v_mul_f32_e32 v11, v1, v11
	s_mov_b64 s[10:11], 0
	v_mov_b32_e32 v12, v8
	s_branch .LBB173_98
.LBB173_97:                             ;   in Loop: Header=BB173_98 Depth=2
	s_or_b64 exec, exec, s[12:13]
	s_xor_b64 s[12:13], s[20:21], -1
	s_and_b64 s[12:13], exec, s[12:13]
	s_or_b64 s[10:11], s[12:13], s[10:11]
	s_andn2_b64 exec, exec, s[10:11]
	s_cbranch_execz .LBB173_108
.LBB173_98:                             ;   Parent Loop BB173_84 Depth=1
                                        ; =>  This Inner Loop Header: Depth=2
	v_lshl_add_u32 v4, v12, 2, 0
	ds_read_b32 v13, v4
                                        ; implicit-def: $sgpr20_sgpr21
	s_waitcnt lgkmcnt(0)
	v_cmp_ne_u32_e32 vcc, v13, v7
	s_and_saveexec_b64 s[12:13], vcc
	s_xor_b64 s[12:13], exec, s[12:13]
	s_cbranch_execz .LBB173_106
; %bb.99:                               ;   in Loop: Header=BB173_98 Depth=2
	v_cmp_ne_u32_e32 vcc, s33, v13
                                        ; implicit-def: $sgpr20_sgpr21
	s_and_saveexec_b64 s[22:23], vcc
	s_xor_b64 s[22:23], exec, s[22:23]
; %bb.100:                              ;   in Loop: Header=BB173_98 Depth=2
	v_add_u32_e32 v4, 1, v12
	v_and_b32_e32 v12, 0x1ff, v4
	s_mov_b64 s[20:21], -1
                                        ; implicit-def: $vgpr4
; %bb.101:                              ;   in Loop: Header=BB173_98 Depth=2
	s_andn2_saveexec_b64 s[22:23], s[22:23]
	s_cbranch_execz .LBB173_105
; %bb.102:                              ;   in Loop: Header=BB173_98 Depth=2
	v_mov_b32_e32 v13, s33
	ds_cmpst_rtn_b32 v13, v4, v13, v7
	s_mov_b64 s[24:25], -1
	s_waitcnt lgkmcnt(0)
	v_cmp_eq_u32_e32 vcc, s33, v13
	s_and_saveexec_b64 s[26:27], vcc
	s_cbranch_execz .LBB173_104
; %bb.103:                              ;   in Loop: Header=BB173_98 Depth=2
	v_mad_u64_u32 v[14:15], s[24:25], v12, 12, v[4:5]
	ds_add_f32 v14, v11 offset:2052
	s_xor_b64 s[24:25], exec, -1
.LBB173_104:                            ;   in Loop: Header=BB173_98 Depth=2
	s_or_b64 exec, exec, s[26:27]
	s_andn2_b64 s[20:21], s[20:21], exec
	s_and_b64 s[24:25], s[24:25], exec
	s_or_b64 s[20:21], s[20:21], s[24:25]
.LBB173_105:                            ;   in Loop: Header=BB173_98 Depth=2
	s_or_b64 exec, exec, s[22:23]
	s_and_b64 s[20:21], s[20:21], exec
                                        ; implicit-def: $vgpr4
.LBB173_106:                            ;   in Loop: Header=BB173_98 Depth=2
	s_andn2_saveexec_b64 s[12:13], s[12:13]
	s_cbranch_execz .LBB173_97
; %bb.107:                              ;   in Loop: Header=BB173_98 Depth=2
	v_mad_u64_u32 v[14:15], s[22:23], v12, 12, v[4:5]
	ds_add_f32 v14, v11 offset:2052
	s_andn2_b64 s[20:21], s[20:21], exec
	s_branch .LBB173_97
.LBB173_108:                            ;   in Loop: Header=BB173_84 Depth=1
	s_or_b64 exec, exec, s[10:11]
	v_mul_f32_e32 v10, v1, v10
	s_mov_b64 s[10:11], 0
	v_mov_b32_e32 v11, v8
	s_branch .LBB173_110
.LBB173_109:                            ;   in Loop: Header=BB173_110 Depth=2
	s_or_b64 exec, exec, s[12:13]
	s_xor_b64 s[12:13], s[20:21], -1
	s_and_b64 s[12:13], exec, s[12:13]
	s_or_b64 s[10:11], s[12:13], s[10:11]
	s_andn2_b64 exec, exec, s[10:11]
	s_cbranch_execz .LBB173_120
.LBB173_110:                            ;   Parent Loop BB173_84 Depth=1
                                        ; =>  This Inner Loop Header: Depth=2
	v_lshl_add_u32 v4, v11, 2, 0
	ds_read_b32 v12, v4
                                        ; implicit-def: $sgpr20_sgpr21
	s_waitcnt lgkmcnt(0)
	v_cmp_ne_u32_e32 vcc, v12, v7
	s_and_saveexec_b64 s[12:13], vcc
	s_xor_b64 s[12:13], exec, s[12:13]
	s_cbranch_execz .LBB173_118
; %bb.111:                              ;   in Loop: Header=BB173_110 Depth=2
	v_cmp_ne_u32_e32 vcc, s33, v12
                                        ; implicit-def: $sgpr20_sgpr21
	s_and_saveexec_b64 s[22:23], vcc
	s_xor_b64 s[22:23], exec, s[22:23]
; %bb.112:                              ;   in Loop: Header=BB173_110 Depth=2
	v_add_u32_e32 v4, 1, v11
	v_and_b32_e32 v11, 0x1ff, v4
	s_mov_b64 s[20:21], -1
                                        ; implicit-def: $vgpr4
; %bb.113:                              ;   in Loop: Header=BB173_110 Depth=2
	s_andn2_saveexec_b64 s[22:23], s[22:23]
	s_cbranch_execz .LBB173_117
; %bb.114:                              ;   in Loop: Header=BB173_110 Depth=2
	v_mov_b32_e32 v12, s33
	ds_cmpst_rtn_b32 v12, v4, v12, v7
	s_mov_b64 s[24:25], -1
	s_waitcnt lgkmcnt(0)
	v_cmp_eq_u32_e32 vcc, s33, v12
	s_and_saveexec_b64 s[26:27], vcc
	s_cbranch_execz .LBB173_116
; %bb.115:                              ;   in Loop: Header=BB173_110 Depth=2
	v_mad_u64_u32 v[12:13], s[24:25], v11, 12, v[4:5]
	ds_add_f32 v12, v10 offset:2056
	s_xor_b64 s[24:25], exec, -1
.LBB173_116:                            ;   in Loop: Header=BB173_110 Depth=2
	s_or_b64 exec, exec, s[26:27]
	s_andn2_b64 s[20:21], s[20:21], exec
	s_and_b64 s[24:25], s[24:25], exec
	s_or_b64 s[20:21], s[20:21], s[24:25]
.LBB173_117:                            ;   in Loop: Header=BB173_110 Depth=2
	s_or_b64 exec, exec, s[22:23]
	s_and_b64 s[20:21], s[20:21], exec
                                        ; implicit-def: $vgpr4
.LBB173_118:                            ;   in Loop: Header=BB173_110 Depth=2
	s_andn2_saveexec_b64 s[12:13], s[12:13]
	s_cbranch_execz .LBB173_109
; %bb.119:                              ;   in Loop: Header=BB173_110 Depth=2
	v_mad_u64_u32 v[12:13], s[22:23], v11, 12, v[4:5]
	ds_add_f32 v12, v10 offset:2056
	s_andn2_b64 s[20:21], s[20:21], exec
	s_branch .LBB173_109
.LBB173_120:                            ;   in Loop: Header=BB173_84 Depth=1
	s_or_b64 exec, exec, s[10:11]
	s_waitcnt vmcnt(0)
	v_mul_f32_e32 v9, v1, v9
	s_mov_b64 s[10:11], 0
	s_branch .LBB173_122
.LBB173_121:                            ;   in Loop: Header=BB173_122 Depth=2
	s_or_b64 exec, exec, s[12:13]
	s_xor_b64 s[12:13], s[20:21], -1
	s_and_b64 s[12:13], exec, s[12:13]
	s_or_b64 s[10:11], s[12:13], s[10:11]
	s_andn2_b64 exec, exec, s[10:11]
	s_cbranch_execz .LBB173_83
.LBB173_122:                            ;   Parent Loop BB173_84 Depth=1
                                        ; =>  This Inner Loop Header: Depth=2
	v_lshl_add_u32 v4, v8, 2, 0
	ds_read_b32 v10, v4
                                        ; implicit-def: $sgpr20_sgpr21
	s_waitcnt lgkmcnt(0)
	v_cmp_ne_u32_e32 vcc, v10, v7
	s_and_saveexec_b64 s[12:13], vcc
	s_xor_b64 s[12:13], exec, s[12:13]
	s_cbranch_execz .LBB173_130
; %bb.123:                              ;   in Loop: Header=BB173_122 Depth=2
	v_cmp_ne_u32_e32 vcc, s33, v10
                                        ; implicit-def: $sgpr20_sgpr21
	s_and_saveexec_b64 s[22:23], vcc
	s_xor_b64 s[22:23], exec, s[22:23]
; %bb.124:                              ;   in Loop: Header=BB173_122 Depth=2
	v_add_u32_e32 v4, 1, v8
	v_and_b32_e32 v8, 0x1ff, v4
	s_mov_b64 s[20:21], -1
                                        ; implicit-def: $vgpr4
; %bb.125:                              ;   in Loop: Header=BB173_122 Depth=2
	s_andn2_saveexec_b64 s[22:23], s[22:23]
	s_cbranch_execz .LBB173_129
; %bb.126:                              ;   in Loop: Header=BB173_122 Depth=2
	v_mov_b32_e32 v10, s33
	ds_cmpst_rtn_b32 v10, v4, v10, v7
	s_mov_b64 s[24:25], -1
	s_waitcnt lgkmcnt(0)
	v_cmp_eq_u32_e32 vcc, s33, v10
	s_and_saveexec_b64 s[26:27], vcc
	s_cbranch_execz .LBB173_128
; %bb.127:                              ;   in Loop: Header=BB173_122 Depth=2
	v_mad_u64_u32 v[10:11], s[24:25], v8, 12, v[4:5]
	ds_add_f32 v10, v9 offset:2060
	s_xor_b64 s[24:25], exec, -1
.LBB173_128:                            ;   in Loop: Header=BB173_122 Depth=2
	s_or_b64 exec, exec, s[26:27]
	s_andn2_b64 s[20:21], s[20:21], exec
	s_and_b64 s[24:25], s[24:25], exec
	s_or_b64 s[20:21], s[20:21], s[24:25]
.LBB173_129:                            ;   in Loop: Header=BB173_122 Depth=2
	s_or_b64 exec, exec, s[22:23]
	s_and_b64 s[20:21], s[20:21], exec
                                        ; implicit-def: $vgpr4
.LBB173_130:                            ;   in Loop: Header=BB173_122 Depth=2
	s_andn2_saveexec_b64 s[12:13], s[12:13]
	s_cbranch_execz .LBB173_121
; %bb.131:                              ;   in Loop: Header=BB173_122 Depth=2
	v_mad_u64_u32 v[10:11], s[22:23], v8, 12, v[4:5]
	ds_add_f32 v10, v9 offset:2060
	s_andn2_b64 s[20:21], s[20:21], exec
	s_branch .LBB173_121
.LBB173_132:
	s_or_b64 exec, exec, s[4:5]
.LBB173_133:
	s_waitcnt lgkmcnt(0)
	s_barrier
	s_and_saveexec_b64 s[2:3], s[0:1]
	s_cbranch_execz .LBB173_140
; %bb.134:
	s_lshl_b64 s[0:1], s[6:7], 3
	s_add_u32 s0, s18, s0
	s_addc_u32 s1, s19, s1
	s_load_dwordx2 s[2:3], s[0:1], 0x0
	s_mov_b64 s[0:1], 0
	s_movk_i32 s9, 0xff
	s_waitcnt lgkmcnt(0)
	s_sub_u32 s2, s2, s30
	s_subb_u32 s3, s3, 0
	s_cmp_eq_u32 s56, 0
	s_cselect_b32 s6, 1, 2
	s_cselect_b32 s7, 2, 1
	s_add_i32 s8, 0, 0x800
	s_branch .LBB173_136
.LBB173_135:                            ;   in Loop: Header=BB173_136 Depth=1
	s_or_b64 exec, exec, s[4:5]
	v_add_u32_e32 v1, 0x100, v0
	v_cmp_lt_u32_e32 vcc, s9, v0
	s_or_b64 s[0:1], vcc, s[0:1]
	v_mov_b32_e32 v0, v1
	s_andn2_b64 exec, exec, s[0:1]
	s_cbranch_execz .LBB173_140
.LBB173_136:                            ; =>This Loop Header: Depth=1
                                        ;     Child Loop BB173_138 Depth 2
	v_lshl_add_u32 v1, v0, 2, 0
	ds_read_b32 v1, v1
	s_waitcnt lgkmcnt(0)
	v_cmp_gt_i32_e32 vcc, s33, v1
	s_and_saveexec_b64 s[4:5], vcc
	s_cbranch_execz .LBB173_135
; %bb.137:                              ;   in Loop: Header=BB173_136 Depth=1
	s_mov_b32 s10, 0
	v_pk_mov_b32 v[2:3], s[2:3], s[2:3] op_sel:[0,1]
.LBB173_138:                            ;   Parent Loop BB173_136 Depth=1
                                        ; =>  This Inner Loop Header: Depth=2
	s_add_i32 s11, s10, 0
	v_mov_b32_e32 v18, s11
	ds_read2_b32 v[4:5], v18 offset1:1
	ds_read2_b32 v[6:7], v18 offset0:2 offset1:3
	ds_read2_b32 v[8:9], v18 offset0:4 offset1:5
	;; [unrolled: 1-line block ×7, first 2 shown]
	s_waitcnt lgkmcnt(7)
	v_cmp_gt_i32_e32 vcc, v1, v4
	v_cndmask_b32_e64 v4, 0, 1, vcc
	v_cmp_gt_i32_e32 vcc, v1, v5
	v_cndmask_b32_e64 v5, 0, 1, vcc
	s_waitcnt lgkmcnt(6)
	v_cmp_gt_i32_e32 vcc, v1, v6
	v_cndmask_b32_e64 v6, 0, 1, vcc
	v_cmp_gt_i32_e32 vcc, v1, v7
	v_cndmask_b32_e64 v7, 0, 1, vcc
	;; [unrolled: 5-line block ×8, first 2 shown]
	v_add_co_u32_e32 v2, vcc, v2, v4
	v_addc_co_u32_e32 v3, vcc, 0, v3, vcc
	v_add_co_u32_e32 v2, vcc, v2, v5
	v_addc_co_u32_e32 v3, vcc, 0, v3, vcc
	;; [unrolled: 2-line block ×15, first 2 shown]
	s_add_i32 s10, s10, 64
	v_add_co_u32_e32 v2, vcc, v2, v19
	s_cmpk_lg_i32 s10, 0x800
	v_addc_co_u32_e32 v3, vcc, 0, v3, vcc
	s_cbranch_scc1 .LBB173_138
; %bb.139:                              ;   in Loop: Header=BB173_136 Depth=1
	v_lshlrev_b64 v[4:5], 2, v[2:3]
	v_mov_b32_e32 v6, s37
	v_add_co_u32_e32 v4, vcc, s36, v4
	v_add_u32_e32 v1, s30, v1
	v_addc_co_u32_e32 v5, vcc, v6, v5, vcc
	global_store_dword v[4:5], v1, off
	v_lshlrev_b32_e32 v1, 2, v0
	v_lshlrev_b64 v[6:7], 4, v[2:3]
	v_or_b32_e32 v3, s6, v1
	v_lshl_add_u32 v3, v3, 2, s8
	v_or_b32_e32 v1, s7, v1
	v_lshl_add_u32 v5, v0, 4, s8
	v_lshl_add_u32 v1, v1, 2, s8
	ds_read_b32 v3, v3
	ds_read_b32 v4, v1
	ds_read2_b32 v[8:9], v5 offset1:3
	v_mov_b32_e32 v2, s39
	v_add_co_u32_e32 v6, vcc, s38, v6
	v_addc_co_u32_e32 v7, vcc, v2, v7, vcc
	s_waitcnt lgkmcnt(0)
	v_mov_b32_e32 v2, v8
	v_mov_b32_e32 v5, v9
	global_store_dwordx4 v[6:7], v[2:5], off
	s_branch .LBB173_135
.LBB173_140:
	s_endpgm
	.section	.rodata,"a",@progbits
	.p2align	6, 0x0
	.amdhsa_kernel _ZN9rocsparseL30bsrgemm_fill_block_per_row_2x2ILj256ELj16ELj512ELj137ElifEEv20rocsparse_direction_T4_S2_PKS2_S4_NS_24const_host_device_scalarIT5_EEPKT3_S4_PKS6_SA_S4_SC_S7_SA_S4_SC_SA_PS2_PS6_21rocsparse_index_base_SF_SF_SF_bbb
		.amdhsa_group_segment_fixed_size 0
		.amdhsa_private_segment_fixed_size 0
		.amdhsa_kernarg_size 164
		.amdhsa_user_sgpr_count 6
		.amdhsa_user_sgpr_private_segment_buffer 1
		.amdhsa_user_sgpr_dispatch_ptr 0
		.amdhsa_user_sgpr_queue_ptr 0
		.amdhsa_user_sgpr_kernarg_segment_ptr 1
		.amdhsa_user_sgpr_dispatch_id 0
		.amdhsa_user_sgpr_flat_scratch_init 0
		.amdhsa_user_sgpr_kernarg_preload_length 0
		.amdhsa_user_sgpr_kernarg_preload_offset 0
		.amdhsa_user_sgpr_private_segment_size 0
		.amdhsa_uses_dynamic_stack 0
		.amdhsa_system_sgpr_private_segment_wavefront_offset 0
		.amdhsa_system_sgpr_workgroup_id_x 1
		.amdhsa_system_sgpr_workgroup_id_y 0
		.amdhsa_system_sgpr_workgroup_id_z 0
		.amdhsa_system_sgpr_workgroup_info 0
		.amdhsa_system_vgpr_workitem_id 0
		.amdhsa_next_free_vgpr 30
		.amdhsa_next_free_sgpr 60
		.amdhsa_accum_offset 32
		.amdhsa_reserve_vcc 1
		.amdhsa_reserve_flat_scratch 0
		.amdhsa_float_round_mode_32 0
		.amdhsa_float_round_mode_16_64 0
		.amdhsa_float_denorm_mode_32 3
		.amdhsa_float_denorm_mode_16_64 3
		.amdhsa_dx10_clamp 1
		.amdhsa_ieee_mode 1
		.amdhsa_fp16_overflow 0
		.amdhsa_tg_split 0
		.amdhsa_exception_fp_ieee_invalid_op 0
		.amdhsa_exception_fp_denorm_src 0
		.amdhsa_exception_fp_ieee_div_zero 0
		.amdhsa_exception_fp_ieee_overflow 0
		.amdhsa_exception_fp_ieee_underflow 0
		.amdhsa_exception_fp_ieee_inexact 0
		.amdhsa_exception_int_div_zero 0
	.end_amdhsa_kernel
	.section	.text._ZN9rocsparseL30bsrgemm_fill_block_per_row_2x2ILj256ELj16ELj512ELj137ElifEEv20rocsparse_direction_T4_S2_PKS2_S4_NS_24const_host_device_scalarIT5_EEPKT3_S4_PKS6_SA_S4_SC_S7_SA_S4_SC_SA_PS2_PS6_21rocsparse_index_base_SF_SF_SF_bbb,"axG",@progbits,_ZN9rocsparseL30bsrgemm_fill_block_per_row_2x2ILj256ELj16ELj512ELj137ElifEEv20rocsparse_direction_T4_S2_PKS2_S4_NS_24const_host_device_scalarIT5_EEPKT3_S4_PKS6_SA_S4_SC_S7_SA_S4_SC_SA_PS2_PS6_21rocsparse_index_base_SF_SF_SF_bbb,comdat
.Lfunc_end173:
	.size	_ZN9rocsparseL30bsrgemm_fill_block_per_row_2x2ILj256ELj16ELj512ELj137ElifEEv20rocsparse_direction_T4_S2_PKS2_S4_NS_24const_host_device_scalarIT5_EEPKT3_S4_PKS6_SA_S4_SC_S7_SA_S4_SC_SA_PS2_PS6_21rocsparse_index_base_SF_SF_SF_bbb, .Lfunc_end173-_ZN9rocsparseL30bsrgemm_fill_block_per_row_2x2ILj256ELj16ELj512ELj137ElifEEv20rocsparse_direction_T4_S2_PKS2_S4_NS_24const_host_device_scalarIT5_EEPKT3_S4_PKS6_SA_S4_SC_S7_SA_S4_SC_SA_PS2_PS6_21rocsparse_index_base_SF_SF_SF_bbb
                                        ; -- End function
	.section	.AMDGPU.csdata,"",@progbits
; Kernel info:
; codeLenInByte = 4020
; NumSgprs: 64
; NumVgprs: 30
; NumAgprs: 0
; TotalNumVgprs: 30
; ScratchSize: 0
; MemoryBound: 0
; FloatMode: 240
; IeeeMode: 1
; LDSByteSize: 0 bytes/workgroup (compile time only)
; SGPRBlocks: 7
; VGPRBlocks: 3
; NumSGPRsForWavesPerEU: 64
; NumVGPRsForWavesPerEU: 30
; AccumOffset: 32
; Occupancy: 8
; WaveLimiterHint : 1
; COMPUTE_PGM_RSRC2:SCRATCH_EN: 0
; COMPUTE_PGM_RSRC2:USER_SGPR: 6
; COMPUTE_PGM_RSRC2:TRAP_HANDLER: 0
; COMPUTE_PGM_RSRC2:TGID_X_EN: 1
; COMPUTE_PGM_RSRC2:TGID_Y_EN: 0
; COMPUTE_PGM_RSRC2:TGID_Z_EN: 0
; COMPUTE_PGM_RSRC2:TIDIG_COMP_CNT: 0
; COMPUTE_PGM_RSRC3_GFX90A:ACCUM_OFFSET: 7
; COMPUTE_PGM_RSRC3_GFX90A:TG_SPLIT: 0
	.section	.text._ZN9rocsparseL38bsrgemm_block_per_row_atomic_multipassILj256ELj256ELj2ElifEEv20rocsparse_direction_T3_S2_PKS2_S4_NS_24const_host_device_scalarIT4_EEPKT2_S4_PKS6_SA_S4_SC_S7_SA_S4_SC_SA_PS2_PS6_PS8_21rocsparse_index_base_SG_SG_SG_bbb,"axG",@progbits,_ZN9rocsparseL38bsrgemm_block_per_row_atomic_multipassILj256ELj256ELj2ElifEEv20rocsparse_direction_T3_S2_PKS2_S4_NS_24const_host_device_scalarIT4_EEPKT2_S4_PKS6_SA_S4_SC_S7_SA_S4_SC_SA_PS2_PS6_PS8_21rocsparse_index_base_SG_SG_SG_bbb,comdat
	.globl	_ZN9rocsparseL38bsrgemm_block_per_row_atomic_multipassILj256ELj256ELj2ElifEEv20rocsparse_direction_T3_S2_PKS2_S4_NS_24const_host_device_scalarIT4_EEPKT2_S4_PKS6_SA_S4_SC_S7_SA_S4_SC_SA_PS2_PS6_PS8_21rocsparse_index_base_SG_SG_SG_bbb ; -- Begin function _ZN9rocsparseL38bsrgemm_block_per_row_atomic_multipassILj256ELj256ELj2ElifEEv20rocsparse_direction_T3_S2_PKS2_S4_NS_24const_host_device_scalarIT4_EEPKT2_S4_PKS6_SA_S4_SC_S7_SA_S4_SC_SA_PS2_PS6_PS8_21rocsparse_index_base_SG_SG_SG_bbb
	.p2align	8
	.type	_ZN9rocsparseL38bsrgemm_block_per_row_atomic_multipassILj256ELj256ELj2ElifEEv20rocsparse_direction_T3_S2_PKS2_S4_NS_24const_host_device_scalarIT4_EEPKT2_S4_PKS6_SA_S4_SC_S7_SA_S4_SC_SA_PS2_PS6_PS8_21rocsparse_index_base_SG_SG_SG_bbb,@function
_ZN9rocsparseL38bsrgemm_block_per_row_atomic_multipassILj256ELj256ELj2ElifEEv20rocsparse_direction_T3_S2_PKS2_S4_NS_24const_host_device_scalarIT4_EEPKT2_S4_PKS6_SA_S4_SC_S7_SA_S4_SC_SA_PS2_PS6_PS8_21rocsparse_index_base_SG_SG_SG_bbb: ; @_ZN9rocsparseL38bsrgemm_block_per_row_atomic_multipassILj256ELj256ELj2ElifEEv20rocsparse_direction_T3_S2_PKS2_S4_NS_24const_host_device_scalarIT4_EEPKT2_S4_PKS6_SA_S4_SC_S7_SA_S4_SC_SA_PS2_PS6_PS8_21rocsparse_index_base_SG_SG_SG_bbb
; %bb.0:
	s_load_dword s7, s[4:5], 0xa8
	s_load_dwordx4 s[52:55], s[4:5], 0x98
	s_load_dwordx2 s[0:1], s[4:5], 0x20
	s_load_dwordx2 s[8:9], s[4:5], 0x58
	s_waitcnt lgkmcnt(0)
	s_bitcmp1_b32 s7, 0
	s_cselect_b64 s[12:13], -1, 0
	s_bitcmp1_b32 s7, 16
	s_cselect_b64 s[10:11], -1, 0
	s_xor_b64 s[2:3], s[12:13], -1
	s_or_b64 s[2:3], s[2:3], s[10:11]
	s_and_b64 vcc, exec, s[2:3]
	s_cbranch_vccnz .LBB174_2
; %bb.1:
	s_load_dword s0, s[0:1], 0x0
	s_waitcnt lgkmcnt(0)
	v_mov_b32_e32 v28, s0
	s_branch .LBB174_3
.LBB174_2:
	v_mov_b32_e32 v1, s0
	v_cndmask_b32_e64 v28, 0, v1, s[12:13]
.LBB174_3:
	s_load_dwordx2 s[2:3], s[4:5], 0x18
	s_bitcmp1_b32 s7, 8
	s_cselect_b64 s[0:1], -1, 0
	s_xor_b64 s[14:15], s[0:1], -1
	s_or_b64 s[10:11], s[14:15], s[10:11]
	s_and_b64 vcc, exec, s[10:11]
	s_cbranch_vccnz .LBB174_5
; %bb.4:
	s_load_dword s7, s[8:9], 0x0
	s_waitcnt lgkmcnt(0)
	v_mov_b32_e32 v29, s7
	s_load_dwordx2 s[8:9], s[4:5], 0x28
	s_cmp_eq_u64 s[2:3], 0
	s_mov_b64 s[34:35], 0
	s_cbranch_scc0 .LBB174_6
	s_branch .LBB174_7
.LBB174_5:
	v_mov_b32_e32 v1, s8
	v_cndmask_b32_e64 v29, 0, v1, s[0:1]
	s_load_dwordx2 s[8:9], s[4:5], 0x28
	s_waitcnt lgkmcnt(0)
	s_cmp_eq_u64 s[2:3], 0
	s_mov_b64 s[34:35], 0
	s_cbranch_scc1 .LBB174_7
.LBB174_6:
	s_load_dwordx2 s[10:11], s[4:5], 0x10
	s_waitcnt lgkmcnt(0)
	s_load_dword s7, s[10:11], 0x0
	s_waitcnt lgkmcnt(0)
	s_add_i32 s6, s7, s6
	s_mov_b32 s7, 0
	s_lshl_b64 s[6:7], s[6:7], 2
	s_add_u32 s2, s2, s6
	s_addc_u32 s3, s3, s7
	s_load_dword s6, s[2:3], 0x0
.LBB174_7:
	v_cndmask_b32_e64 v1, 0, 1, s[12:13]
	v_cmp_ne_u32_e64 s[2:3], 1, v1
	s_andn2_b64 vcc, exec, s[12:13]
	s_cbranch_vccz .LBB174_10
; %bb.8:
	s_and_b64 vcc, exec, s[2:3]
	s_mov_b64 s[60:61], 0
	s_cbranch_vccz .LBB174_11
.LBB174_9:
	s_load_dwordx4 s[56:59], s[4:5], 0x0
	s_waitcnt lgkmcnt(0)
	s_cmp_lt_i32 s57, 1
	s_cbranch_scc0 .LBB174_12
	s_branch .LBB174_102
.LBB174_10:
	s_waitcnt lgkmcnt(0)
	s_ashr_i32 s7, s6, 31
	s_lshl_b64 s[10:11], s[6:7], 3
	s_add_u32 s10, s8, s10
	s_addc_u32 s11, s9, s11
	s_load_dwordx2 s[10:11], s[10:11], 0x0
	s_waitcnt lgkmcnt(0)
	s_sub_u32 s34, s10, s52
	s_subb_u32 s35, s11, 0
	s_and_b64 vcc, exec, s[2:3]
	s_mov_b64 s[60:61], 0
	s_cbranch_vccnz .LBB174_9
.LBB174_11:
	s_waitcnt lgkmcnt(0)
	s_ashr_i32 s7, s6, 31
	s_lshl_b64 s[2:3], s[6:7], 3
	s_add_u32 s2, s8, s2
	s_addc_u32 s3, s9, s3
	s_load_dwordx2 s[2:3], s[2:3], 0x8
	s_waitcnt lgkmcnt(0)
	s_sub_u32 s60, s2, s52
	s_subb_u32 s61, s3, 0
	s_load_dwordx4 s[56:59], s[4:5], 0x0
	s_waitcnt lgkmcnt(0)
	s_cmp_lt_i32 s57, 1
	s_cbranch_scc1 .LBB174_102
.LBB174_12:
	s_load_dwordx2 s[62:63], s[4:5], 0x90
	s_load_dwordx4 s[20:23], s[4:5], 0x80
	s_load_dwordx8 s[36:43], s[4:5], 0x60
	s_load_dwordx2 s[26:27], s[4:5], 0x50
	s_load_dwordx8 s[44:51], s[4:5], 0x30
	v_and_b32_e32 v30, 1, v0
	v_bfe_u32 v3, v0, 1, 1
	v_pk_mov_b32 v[4:5], s[60:61], s[60:61] op_sel:[0,1]
	s_ashr_i32 s7, s6, 31
	v_cmp_lt_i64_e32 vcc, s[34:35], v[4:5]
	v_max_i32_e32 v4, v30, v3
	s_lshl_b64 s[10:11], s[6:7], 3
	v_mov_b32_e32 v5, 0
	v_cmp_gt_i32_e64 s[6:7], s58, v4
	v_mul_lo_u32 v4, v3, s58
	v_lshlrev_b64 v[6:7], 2, v[4:5]
	s_waitcnt lgkmcnt(0)
	v_mov_b32_e32 v4, s47
	v_add_co_u32_e64 v8, s[8:9], s46, v6
	v_addc_co_u32_e64 v4, s[8:9], v4, v7, s[8:9]
	v_lshlrev_b32_e32 v10, 2, v30
	v_add_co_u32_e64 v33, s[8:9], v8, v10
	v_addc_co_u32_e64 v34, s[8:9], 0, v4, s[8:9]
	v_mul_lo_u32 v4, v30, s58
	v_lshlrev_b64 v[8:9], 2, v[4:5]
	v_mov_b32_e32 v4, s23
	v_add_co_u32_e64 v11, s[8:9], s22, v8
	v_lshlrev_b32_e32 v3, 2, v3
	v_addc_co_u32_e64 v12, s[8:9], v4, v9, s[8:9]
	v_add_co_u32_e64 v11, s[8:9], v11, v3
	v_addc_co_u32_e64 v12, s[8:9], 0, v12, s[8:9]
	v_add_co_u32_e64 v13, s[8:9], s22, v6
	s_add_u32 s2, s42, s10
	v_addc_co_u32_e64 v4, s[8:9], v4, v7, s[8:9]
	s_addc_u32 s3, s43, s11
	v_add_co_u32_e64 v13, s[8:9], v13, v10
	s_load_dwordx2 s[2:3], s[2:3], 0x0
	v_lshrrev_b32_e32 v2, 2, v0
	v_addc_co_u32_e64 v4, s[8:9], 0, v4, s[8:9]
	v_subrev_co_u32_e64 v36, s[8:9], s55, v2
	v_subb_co_u32_e64 v37, s[8:9], 0, 0, s[8:9]
	v_mov_b32_e32 v14, s41
	v_add_co_u32_e64 v15, s[8:9], s40, v8
	v_addc_co_u32_e64 v16, s[8:9], v14, v9, s[8:9]
	s_waitcnt lgkmcnt(0)
	s_sub_u32 s28, s2, s54
	v_add_co_u32_e64 v15, s[8:9], v15, v3
	s_subb_u32 s29, s3, 0
	v_addc_co_u32_e64 v16, s[8:9], 0, v16, s[8:9]
	s_cmp_eq_u32 s56, 0
	v_add_co_u32_e64 v6, s[8:9], s40, v6
	s_cselect_b64 s[24:25], -1, 0
	s_cmp_lg_u32 s56, 0
	v_addc_co_u32_e64 v7, s[8:9], v14, v7, s[8:9]
	s_cselect_b64 s[46:47], -1, 0
	s_cmp_gt_i32 s58, 0
	v_add_co_u32_e64 v6, s[8:9], v6, v10
	v_and_b32_e32 v1, 3, v0
	s_cselect_b64 s[64:65], -1, 0
	s_add_u32 s36, s36, s10
	v_addc_co_u32_e64 v7, s[8:9], 0, v7, s[8:9]
	s_addc_u32 s37, s37, s11
	v_cmp_eq_u32_e64 s[8:9], 3, v1
	v_add_co_u32_e64 v1, s[10:11], -1, v0
	v_mov_b32_e32 v14, 0x1000
	s_and_b64 s[40:41], s[12:13], vcc
	v_lshl_add_u32 v39, v1, 2, v14
	s_add_u32 s91, s48, 8
	v_cndmask_b32_e64 v1, v12, v4, s[24:25]
	v_cndmask_b32_e64 v4, v11, v13, s[24:25]
	v_mov_b32_e32 v11, s27
	v_add_co_u32_e32 v8, vcc, s26, v8
	s_addc_u32 s92, s49, 0
	v_addc_co_u32_e32 v9, vcc, v11, v9, vcc
	s_movk_i32 s2, 0x100
	v_lshlrev_b32_e32 v31, 2, v0
	s_movk_i32 s30, 0x1400
	s_add_u32 s93, s20, -4
	v_add_co_u32_e32 v10, vcc, s26, v10
	s_movk_i32 s26, 0x7f
	v_lshlrev_b32_e32 v12, 4, v2
	s_mov_b32 s43, 0
	v_cmp_gt_u32_e64 s[2:3], s2, v0
	v_cmp_eq_u32_e64 s[4:5], 0, v0
	v_and_b32_e32 v35, 2, v0
	v_cmp_ne_u32_e64 s[12:13], 0, v0
	v_cmp_lt_u32_e64 s[14:15], 1, v0
	v_cmp_lt_u32_e64 s[16:17], 3, v0
	;; [unrolled: 1-line block ×3, first 2 shown]
	s_addc_u32 s94, s21, -1
	v_cmp_lt_u32_e64 s[20:21], 15, v0
	v_cmp_lt_u32_e64 s[22:23], 31, v0
	v_cndmask_b32_e64 v7, v16, v7, s[24:25]
	v_cndmask_b32_e64 v6, v15, v6, s[24:25]
	v_cmp_lt_u32_e64 s[24:25], 63, v0
	v_addc_co_u32_e32 v11, vcc, 0, v11, vcc
	v_cmp_lt_u32_e64 s[26:27], s26, v0
	v_or3_b32 v49, v12, v3, s30
	v_and_b32_e32 v3, 0x3f8, v31
	v_and_b32_e32 v0, 0xfc, v0
	s_mul_i32 s42, s58, s58
	v_add_co_u32_e32 v46, vcc, 64, v36
	s_mov_b32 s59, s43
	v_or_b32_e32 v50, 0x1400, v3
	v_or3_b32 v3, v0, v35, v30
	v_or_b32_e32 v32, 0x1400, v31
	s_mov_b32 s33, s53
	s_mov_b32 s90, s43
	;; [unrolled: 1-line block ×3, first 2 shown]
	v_or_b32_e32 v38, 0x1000, v31
	v_add_u32_e32 v40, 0xff8, v31
	v_add_u32_e32 v41, 0xff0, v31
	;; [unrolled: 1-line block ×6, first 2 shown]
	v_addc_co_u32_e32 v47, vcc, 0, v37, vcc
	v_add_u32_e32 v48, 0xe00, v31
	v_pk_mov_b32 v[12:13], s[28:29], s[28:29] op_sel:[0,1]
	s_lshl_b64 s[66:67], s[42:43], 2
	s_lshl_b64 s[68:69], s[58:59], 2
	v_lshlrev_b32_e32 v51, 2, v3
	v_or_b32_e32 v52, 0x1000, v0
	v_mov_b32_e32 v0, 0x100
	v_mov_b32_e32 v53, 1
	s_movk_i32 s59, 0xbf
	s_lshl_b64 s[70:71], s[42:43], 8
	s_branch .LBB174_14
.LBB174_13:                             ;   in Loop: Header=BB174_14 Depth=1
	s_or_b64 exec, exec, s[28:29]
	s_barrier
	ds_read_b32 v3, v5 offset:6144
	v_ashrrev_i32_e32 v0, 31, v14
	v_add_co_u32_e32 v12, vcc, v12, v14
	v_addc_co_u32_e32 v13, vcc, v13, v0, vcc
	s_waitcnt lgkmcnt(0)
	v_cmp_le_i32_e32 vcc, s57, v3
	v_readfirstlane_b32 s43, v3
	v_add_u32_e32 v0, 0x100, v3
	s_barrier
	s_cbranch_vccnz .LBB174_102
.LBB174_14:                             ; =>This Loop Header: Depth=1
                                        ;     Child Loop BB174_18 Depth 2
                                        ;     Child Loop BB174_27 Depth 2
                                        ;       Child Loop BB174_40 Depth 3
                                        ;         Child Loop BB174_49 Depth 4
                                        ;         Child Loop BB174_54 Depth 4
                                        ;     Child Loop BB174_65 Depth 2
                                        ;     Child Loop BB174_74 Depth 2
	;; [unrolled: 1-line block ×3, first 2 shown]
	s_and_saveexec_b64 s[28:29], s[2:3]
	s_cbranch_execz .LBB174_16
; %bb.15:                               ;   in Loop: Header=BB174_14 Depth=1
	ds_write_b32 v38, v5
.LBB174_16:                             ;   in Loop: Header=BB174_14 Depth=1
	s_or_b64 exec, exec, s[28:29]
	s_mov_b32 s74, 0
	s_mov_b64 s[28:29], 0
	v_mov_b32_e32 v3, v31
	s_branch .LBB174_18
.LBB174_17:                             ;   in Loop: Header=BB174_18 Depth=2
	s_or_b64 exec, exec, s[72:73]
	s_add_i32 s74, s74, 2
	v_cmp_eq_u32_e64 s[30:31], 4, s74
	s_or_b64 s[28:29], s[30:31], s[28:29]
	v_add_u32_e32 v3, 0x800, v3
	s_andn2_b64 exec, exec, s[28:29]
	s_cbranch_execz .LBB174_22
.LBB174_18:                             ;   Parent Loop BB174_14 Depth=1
                                        ; =>  This Inner Loop Header: Depth=2
	s_or_b32 s30, s74, 1
	v_cmp_le_u32_e64 s[30:31], s30, 3
	v_cmp_le_u32_e64 s[76:77], s74, 3
	s_and_saveexec_b64 s[72:73], s[76:77]
	s_cbranch_execz .LBB174_20
; %bb.19:                               ;   in Loop: Header=BB174_18 Depth=2
	ds_write_b32 v3, v5
.LBB174_20:                             ;   in Loop: Header=BB174_18 Depth=2
	s_or_b64 exec, exec, s[72:73]
	s_and_saveexec_b64 s[72:73], s[30:31]
	s_cbranch_execz .LBB174_17
; %bb.21:                               ;   in Loop: Header=BB174_18 Depth=2
	ds_write_b32 v3, v5 offset:1024
	s_branch .LBB174_17
.LBB174_22:                             ;   in Loop: Header=BB174_14 Depth=1
	s_or_b64 exec, exec, s[28:29]
	s_and_saveexec_b64 s[28:29], s[4:5]
	s_cbranch_execz .LBB174_24
; %bb.23:                               ;   in Loop: Header=BB174_14 Depth=1
	v_mov_b32_e32 v3, s57
	ds_write_b32 v5, v3 offset:6144
.LBB174_24:                             ;   in Loop: Header=BB174_14 Depth=1
	s_or_b64 exec, exec, s[28:29]
	s_andn2_b64 vcc, exec, s[40:41]
	v_mov_b32_e32 v3, s57
	s_waitcnt lgkmcnt(0)
	s_barrier
	s_cbranch_vccnz .LBB174_60
; %bb.25:                               ;   in Loop: Header=BB174_14 Depth=1
	s_cmp_lg_u32 s43, 0
	s_cselect_b64 s[72:73], -1, 0
	v_mov_b32_e32 v3, s57
	s_mov_b64 s[74:75], s[34:35]
	s_branch .LBB174_27
.LBB174_26:                             ;   in Loop: Header=BB174_27 Depth=2
	s_or_b64 exec, exec, s[30:31]
	s_add_u32 s74, s74, 64
	s_addc_u32 s75, s75, 0
	v_pk_mov_b32 v[14:15], s[60:61], s[60:61] op_sel:[0,1]
	v_cmp_lt_i64_e32 vcc, s[74:75], v[14:15]
	s_cbranch_vccz .LBB174_60
.LBB174_27:                             ;   Parent Loop BB174_14 Depth=1
                                        ; =>  This Loop Header: Depth=2
                                        ;       Child Loop BB174_40 Depth 3
                                        ;         Child Loop BB174_49 Depth 4
                                        ;         Child Loop BB174_54 Depth 4
	v_mov_b32_e32 v15, s75
	v_add_co_u32_e32 v14, vcc, s74, v2
	v_addc_co_u32_e32 v15, vcc, 0, v15, vcc
	v_cmp_gt_i64_e64 s[28:29], s[60:61], v[14:15]
	s_barrier
	s_and_saveexec_b64 s[30:31], s[28:29]
	s_cbranch_execz .LBB174_31
; %bb.28:                               ;   in Loop: Header=BB174_27 Depth=2
	v_mov_b32_e32 v16, 0
	s_and_saveexec_b64 s[76:77], s[6:7]
	s_cbranch_execz .LBB174_30
; %bb.29:                               ;   in Loop: Header=BB174_27 Depth=2
	v_mad_u64_u32 v[16:17], s[78:79], v14, s42, 0
	v_mov_b32_e32 v18, v17
	v_mad_u64_u32 v[18:19], s[78:79], v15, s42, v[18:19]
	v_mov_b32_e32 v17, v18
	v_lshlrev_b64 v[16:17], 2, v[16:17]
	v_add_co_u32_e32 v16, vcc, v33, v16
	v_addc_co_u32_e32 v17, vcc, v34, v17, vcc
	global_load_dword v16, v[16:17], off
.LBB174_30:                             ;   in Loop: Header=BB174_27 Depth=2
	s_or_b64 exec, exec, s[76:77]
	s_waitcnt vmcnt(0)
	ds_write_b32 v32, v16
.LBB174_31:                             ;   in Loop: Header=BB174_27 Depth=2
	s_or_b64 exec, exec, s[30:31]
	v_pk_mov_b32 v[16:17], 0, 0
	s_waitcnt lgkmcnt(0)
	s_barrier
	s_and_saveexec_b64 s[76:77], s[28:29]
	s_cbranch_execz .LBB174_57
; %bb.32:                               ;   in Loop: Header=BB174_27 Depth=2
	v_lshlrev_b64 v[16:17], 2, v[14:15]
	v_mov_b32_e32 v18, s45
	v_add_co_u32_e32 v16, vcc, s44, v16
	v_addc_co_u32_e32 v17, vcc, v18, v17, vcc
	global_load_dword v16, v[16:17], off
	s_and_b64 vcc, exec, s[72:73]
	s_waitcnt vmcnt(0)
	v_subrev_u32_e32 v18, s52, v16
	v_ashrrev_i32_e32 v19, 31, v18
	s_cbranch_vccz .LBB174_59
; %bb.33:                               ;   in Loop: Header=BB174_27 Depth=2
	v_lshlrev_b64 v[16:17], 3, v[14:15]
	v_mov_b32_e32 v20, s63
	v_add_co_u32_e32 v16, vcc, s62, v16
	v_addc_co_u32_e32 v17, vcc, v20, v17, vcc
	global_load_dwordx2 v[16:17], v[16:17], off
	s_cbranch_execnz .LBB174_35
.LBB174_34:                             ;   in Loop: Header=BB174_27 Depth=2
	s_waitcnt vmcnt(0)
	v_lshlrev_b64 v[16:17], 3, v[18:19]
	v_mov_b32_e32 v20, s49
	v_add_co_u32_e32 v16, vcc, s48, v16
	v_addc_co_u32_e32 v17, vcc, v20, v17, vcc
	global_load_dwordx2 v[16:17], v[16:17], off
	v_mov_b32_e32 v20, s90
	s_waitcnt vmcnt(0)
	v_subrev_co_u32_e32 v16, vcc, s33, v16
	v_subb_co_u32_e32 v17, vcc, v17, v20, vcc
.LBB174_35:                             ;   in Loop: Header=BB174_27 Depth=2
	v_lshlrev_b64 v[18:19], 3, v[18:19]
	v_mov_b32_e32 v20, s92
	v_add_co_u32_e32 v18, vcc, s91, v18
	v_addc_co_u32_e32 v19, vcc, v20, v19, vcc
	global_load_dwordx2 v[18:19], v[18:19], off
	v_mov_b32_e32 v20, s90
	s_waitcnt vmcnt(0)
	v_subrev_co_u32_e32 v18, vcc, s33, v18
	v_subb_co_u32_e32 v19, vcc, v19, v20, vcc
	v_cmp_lt_i64_e32 vcc, v[16:17], v[18:19]
	s_and_saveexec_b64 s[78:79], vcc
	s_cbranch_execz .LBB174_56
; %bb.36:                               ;   in Loop: Header=BB174_27 Depth=2
	v_mad_u64_u32 v[20:21], s[30:31], s66, v16, v[8:9]
	v_mul_lo_u32 v24, s66, v17
	v_mul_lo_u32 v25, s67, v16
	v_mad_u64_u32 v[22:23], s[30:31], s66, v16, v[10:11]
	v_add3_u32 v21, v25, v21, v24
	v_add3_u32 v23, v25, v23, v24
	s_mov_b64 s[80:81], 0
	v_pk_mov_b32 v[24:25], v[16:17], v[16:17] op_sel:[0,1]
	s_branch .LBB174_40
.LBB174_37:                             ;   in Loop: Header=BB174_40 Depth=3
	v_or3_b32 v26, v54, v35, v30
	v_lshlrev_b32_e32 v26, 2, v26
	v_mul_f32_e32 v27, v28, v55
	ds_add_f32 v26, v27
.LBB174_38:                             ;   in Loop: Header=BB174_40 Depth=3
	s_or_b64 exec, exec, s[86:87]
	s_or_b64 s[82:83], s[82:83], exec
.LBB174_39:                             ;   in Loop: Header=BB174_40 Depth=3
	s_or_b64 exec, exec, s[84:85]
	v_add_co_u32_e32 v16, vcc, 1, v16
	v_addc_co_u32_e32 v17, vcc, 0, v17, vcc
	v_cmp_ge_i64_e32 vcc, v[16:17], v[18:19]
	s_xor_b64 s[30:31], s[82:83], -1
	s_or_b64 s[30:31], s[30:31], vcc
	v_mov_b32_e32 v26, s67
	v_add_co_u32_e32 v20, vcc, s66, v20
	v_addc_co_u32_e32 v21, vcc, v21, v26, vcc
	s_and_b64 s[30:31], exec, s[30:31]
	v_add_co_u32_e32 v22, vcc, s66, v22
	s_or_b64 s[80:81], s[30:31], s[80:81]
	v_addc_co_u32_e32 v23, vcc, v23, v26, vcc
	s_andn2_b64 exec, exec, s[80:81]
	s_cbranch_execz .LBB174_55
.LBB174_40:                             ;   Parent Loop BB174_14 Depth=1
                                        ;     Parent Loop BB174_27 Depth=2
                                        ; =>    This Loop Header: Depth=3
                                        ;         Child Loop BB174_49 Depth 4
                                        ;         Child Loop BB174_54 Depth 4
	v_lshlrev_b64 v[26:27], 2, v[16:17]
	v_mov_b32_e32 v54, s51
	v_add_co_u32_e32 v26, vcc, s50, v26
	v_addc_co_u32_e32 v27, vcc, v54, v27, vcc
	global_load_dword v26, v[26:27], off
                                        ; implicit-def: $sgpr82_sgpr83
	s_waitcnt vmcnt(0)
	v_subrev_u32_e32 v26, s53, v26
	v_cmp_gt_i32_e64 s[30:31], s43, v26
	v_cmp_ge_i32_e32 vcc, v26, v0
	s_or_b64 s[30:31], s[30:31], vcc
	s_and_saveexec_b64 s[84:85], s[30:31]
	s_xor_b64 s[30:31], exec, s[84:85]
	s_cbranch_execz .LBB174_44
; %bb.41:                               ;   in Loop: Header=BB174_40 Depth=3
	s_mov_b64 s[82:83], -1
	s_and_saveexec_b64 s[84:85], vcc
; %bb.42:                               ;   in Loop: Header=BB174_40 Depth=3
	v_min_i32_e32 v3, v26, v3
	s_xor_b64 s[82:83], exec, -1
	v_pk_mov_b32 v[24:25], v[16:17], v[16:17] op_sel:[0,1]
; %bb.43:                               ;   in Loop: Header=BB174_40 Depth=3
	s_or_b64 exec, exec, s[84:85]
	s_and_b64 s[82:83], s[82:83], exec
                                        ; implicit-def: $vgpr26
.LBB174_44:                             ;   in Loop: Header=BB174_40 Depth=3
	s_andn2_saveexec_b64 s[84:85], s[30:31]
	s_cbranch_execz .LBB174_39
; %bb.45:                               ;   in Loop: Header=BB174_40 Depth=3
	v_subrev_u32_e32 v26, s43, v26
	v_lshlrev_b32_e32 v54, 2, v26
	ds_write_b32 v54, v53 offset:4096
	s_and_saveexec_b64 s[86:87], s[6:7]
	s_cbranch_execz .LBB174_38
; %bb.46:                               ;   in Loop: Header=BB174_40 Depth=3
	v_cndmask_b32_e64 v26, 0, 1, s[64:65]
	s_andn2_b64 vcc, exec, s[46:47]
	v_cmp_ne_u32_e64 s[30:31], 1, v26
	s_cbranch_vccnz .LBB174_51
; %bb.47:                               ;   in Loop: Header=BB174_40 Depth=3
	v_mov_b32_e32 v55, 0
	s_and_b64 vcc, exec, s[30:31]
	s_cbranch_vccnz .LBB174_50
; %bb.48:                               ;   in Loop: Header=BB174_40 Depth=3
	v_pk_mov_b32 v[26:27], v[20:21], v[20:21] op_sel:[0,1]
	s_mov_b32 s88, s58
	v_mov_b32_e32 v56, v49
.LBB174_49:                             ;   Parent Loop BB174_14 Depth=1
                                        ;     Parent Loop BB174_27 Depth=2
                                        ;       Parent Loop BB174_40 Depth=3
                                        ; =>      This Inner Loop Header: Depth=4
	global_load_dword v57, v[26:27], off
	ds_read_b32 v58, v56
	s_add_i32 s88, s88, -1
	v_add_co_u32_e32 v26, vcc, 4, v26
	v_add_u32_e32 v56, 8, v56
	v_addc_co_u32_e32 v27, vcc, 0, v27, vcc
	s_cmp_lg_u32 s88, 0
	s_waitcnt vmcnt(0) lgkmcnt(0)
	v_fmac_f32_e32 v55, v58, v57
	s_cbranch_scc1 .LBB174_49
.LBB174_50:                             ;   in Loop: Header=BB174_40 Depth=3
	s_cbranch_execnz .LBB174_37
	s_branch .LBB174_52
.LBB174_51:                             ;   in Loop: Header=BB174_40 Depth=3
                                        ; implicit-def: $vgpr55
.LBB174_52:                             ;   in Loop: Header=BB174_40 Depth=3
	v_mov_b32_e32 v55, 0
	s_and_b64 vcc, exec, s[30:31]
	s_cbranch_vccnz .LBB174_37
; %bb.53:                               ;   in Loop: Header=BB174_40 Depth=3
	v_mov_b32_e32 v56, v50
	v_pk_mov_b32 v[26:27], v[22:23], v[22:23] op_sel:[0,1]
	s_mov_b32 s30, s58
.LBB174_54:                             ;   Parent Loop BB174_14 Depth=1
                                        ;     Parent Loop BB174_27 Depth=2
                                        ;       Parent Loop BB174_40 Depth=3
                                        ; =>      This Inner Loop Header: Depth=4
	global_load_dword v57, v[26:27], off
	ds_read_b32 v58, v56
	s_add_i32 s30, s30, -1
	v_mov_b32_e32 v59, s69
	v_add_co_u32_e32 v26, vcc, s68, v26
	v_add_u32_e32 v56, 4, v56
	v_addc_co_u32_e32 v27, vcc, v27, v59, vcc
	s_cmp_eq_u32 s30, 0
	s_waitcnt vmcnt(0) lgkmcnt(0)
	v_fmac_f32_e32 v55, v58, v57
	s_cbranch_scc0 .LBB174_54
	s_branch .LBB174_37
.LBB174_55:                             ;   in Loop: Header=BB174_27 Depth=2
	s_or_b64 exec, exec, s[80:81]
	v_pk_mov_b32 v[16:17], v[24:25], v[24:25] op_sel:[0,1]
.LBB174_56:                             ;   in Loop: Header=BB174_27 Depth=2
	s_or_b64 exec, exec, s[78:79]
.LBB174_57:                             ;   in Loop: Header=BB174_27 Depth=2
	s_or_b64 exec, exec, s[76:77]
	s_waitcnt lgkmcnt(0)
	s_barrier
	s_and_saveexec_b64 s[30:31], s[28:29]
	s_cbranch_execz .LBB174_26
; %bb.58:                               ;   in Loop: Header=BB174_27 Depth=2
	v_lshlrev_b64 v[14:15], 3, v[14:15]
	v_mov_b32_e32 v18, s63
	v_add_co_u32_e32 v14, vcc, s62, v14
	v_addc_co_u32_e32 v15, vcc, v18, v15, vcc
	global_store_dwordx2 v[14:15], v[16:17], off
	s_branch .LBB174_26
.LBB174_59:                             ;   in Loop: Header=BB174_27 Depth=2
                                        ; implicit-def: $vgpr16_vgpr17
	s_branch .LBB174_34
.LBB174_60:                             ;   in Loop: Header=BB174_14 Depth=1
	s_andn2_b64 vcc, exec, s[0:1]
	s_cbranch_vccnz .LBB174_72
; %bb.61:                               ;   in Loop: Header=BB174_14 Depth=1
	s_load_dwordx4 s[28:31], s[36:37], 0x0
	s_waitcnt lgkmcnt(0)
	s_sub_u32 s72, s30, s56
	v_mov_b32_e32 v14, s29
	v_add_co_u32_e32 v18, vcc, s28, v36
	s_subb_u32 s73, s31, 0
	v_addc_co_u32_e32 v19, vcc, v14, v37, vcc
	v_cmp_gt_i64_e32 vcc, s[72:73], v[18:19]
	s_and_saveexec_b64 s[74:75], vcc
	s_cbranch_execz .LBB174_71
; %bb.62:                               ;   in Loop: Header=BB174_14 Depth=1
	v_lshlrev_b64 v[14:15], 2, v[18:19]
	v_mov_b32_e32 v16, s39
	v_add_co_u32_e32 v14, vcc, s38, v14
	v_addc_co_u32_e32 v15, vcc, v16, v15, vcc
	v_mad_u64_u32 v[16:17], s[30:31], s66, v18, v[6:7]
	v_mul_lo_u32 v19, s66, v19
	v_mul_lo_u32 v18, s67, v18
	v_add3_u32 v17, v18, v17, v19
	v_mov_b32_e32 v19, s29
	v_add_co_u32_e32 v18, vcc, s28, v46
	v_addc_co_u32_e32 v19, vcc, v47, v19, vcc
	s_mov_b64 s[76:77], 0
	s_branch .LBB174_65
.LBB174_63:                             ;   in Loop: Header=BB174_65 Depth=2
	s_or_b64 exec, exec, s[78:79]
	s_or_b64 s[28:29], s[28:29], exec
.LBB174_64:                             ;   in Loop: Header=BB174_65 Depth=2
	s_or_b64 exec, exec, s[30:31]
	v_cmp_le_i64_e32 vcc, s[72:73], v[18:19]
	s_xor_b64 s[28:29], s[28:29], -1
	s_or_b64 s[28:29], s[28:29], vcc
	v_add_co_u32_e32 v14, vcc, 0x100, v14
	v_addc_co_u32_e32 v15, vcc, 0, v15, vcc
	v_mov_b32_e32 v20, s71
	v_add_co_u32_e32 v16, vcc, s70, v16
	v_addc_co_u32_e32 v17, vcc, v17, v20, vcc
	s_and_b64 s[28:29], exec, s[28:29]
	v_add_co_u32_e32 v18, vcc, 64, v18
	s_or_b64 s[76:77], s[28:29], s[76:77]
	v_addc_co_u32_e32 v19, vcc, 0, v19, vcc
	s_andn2_b64 exec, exec, s[76:77]
	s_cbranch_execz .LBB174_70
.LBB174_65:                             ;   Parent Loop BB174_14 Depth=1
                                        ; =>  This Inner Loop Header: Depth=2
	global_load_dword v20, v[14:15], off
	s_waitcnt vmcnt(0)
	v_subrev_u32_e32 v20, s55, v20
	v_cmp_gt_i32_e64 s[28:29], s43, v20
	v_cmp_ge_i32_e64 s[30:31], v20, v0
	v_cmp_lt_i32_e32 vcc, v20, v0
	s_or_b64 s[30:31], s[28:29], s[30:31]
                                        ; implicit-def: $sgpr28_sgpr29
	s_and_saveexec_b64 s[78:79], s[30:31]
	s_xor_b64 s[30:31], exec, s[78:79]
; %bb.66:                               ;   in Loop: Header=BB174_65 Depth=2
	v_min_i32_e32 v20, v20, v3
	v_cndmask_b32_e32 v3, v20, v3, vcc
	s_and_b64 s[28:29], vcc, exec
                                        ; implicit-def: $vgpr20
; %bb.67:                               ;   in Loop: Header=BB174_65 Depth=2
	s_andn2_saveexec_b64 s[30:31], s[30:31]
	s_cbranch_execz .LBB174_64
; %bb.68:                               ;   in Loop: Header=BB174_65 Depth=2
	v_subrev_u32_e32 v20, s43, v20
	v_lshlrev_b32_e32 v20, 2, v20
	ds_write_b32 v20, v53 offset:4096
	s_and_saveexec_b64 s[78:79], s[6:7]
	s_cbranch_execz .LBB174_63
; %bb.69:                               ;   in Loop: Header=BB174_65 Depth=2
	global_load_dword v21, v[16:17], off
	v_or3_b32 v20, v20, v35, v30
	v_lshlrev_b32_e32 v20, 2, v20
	s_waitcnt vmcnt(0)
	v_mul_f32_e32 v21, v29, v21
	ds_add_f32 v20, v21
	s_branch .LBB174_63
.LBB174_70:                             ;   in Loop: Header=BB174_14 Depth=1
	s_or_b64 exec, exec, s[76:77]
.LBB174_71:                             ;   in Loop: Header=BB174_14 Depth=1
	s_or_b64 exec, exec, s[74:75]
.LBB174_72:                             ;   in Loop: Header=BB174_14 Depth=1
	s_and_saveexec_b64 s[28:29], s[8:9]
	s_cbranch_execz .LBB174_77
; %bb.73:                               ;   in Loop: Header=BB174_14 Depth=1
	s_mov_b64 s[30:31], exec
	s_brev_b32 s72, -2
.LBB174_74:                             ;   Parent Loop BB174_14 Depth=1
                                        ; =>  This Inner Loop Header: Depth=2
	s_ff1_i32_b64 s73, s[30:31]
	v_readlane_b32 s76, v3, s73
	s_lshl_b64 s[74:75], 1, s73
	s_min_i32 s72, s72, s76
	s_andn2_b64 s[30:31], s[30:31], s[74:75]
	s_cmp_lg_u64 s[30:31], 0
	s_cbranch_scc1 .LBB174_74
; %bb.75:                               ;   in Loop: Header=BB174_14 Depth=1
	v_mbcnt_lo_u32_b32 v0, exec_lo, 0
	v_mbcnt_hi_u32_b32 v0, exec_hi, v0
	v_cmp_eq_u32_e32 vcc, 0, v0
	s_and_saveexec_b64 s[30:31], vcc
	s_xor_b64 s[30:31], exec, s[30:31]
	s_cbranch_execz .LBB174_77
; %bb.76:                               ;   in Loop: Header=BB174_14 Depth=1
	v_mov_b32_e32 v0, s72
	ds_min_i32 v5, v0 offset:6144
.LBB174_77:                             ;   in Loop: Header=BB174_14 Depth=1
	s_or_b64 exec, exec, s[28:29]
	s_waitcnt lgkmcnt(0)
	s_barrier
	ds_read_b32 v0, v38
	s_waitcnt lgkmcnt(0)
	s_barrier
	s_and_saveexec_b64 s[28:29], s[12:13]
	s_cbranch_execz .LBB174_79
; %bb.78:                               ;   in Loop: Header=BB174_14 Depth=1
	ds_read_b32 v3, v39
	s_waitcnt lgkmcnt(0)
	v_add_u32_e32 v0, v3, v0
.LBB174_79:                             ;   in Loop: Header=BB174_14 Depth=1
	s_or_b64 exec, exec, s[28:29]
	s_barrier
	ds_write_b32 v38, v0
	s_waitcnt lgkmcnt(0)
	s_barrier
	s_and_saveexec_b64 s[28:29], s[14:15]
	s_cbranch_execz .LBB174_81
; %bb.80:                               ;   in Loop: Header=BB174_14 Depth=1
	ds_read_b32 v3, v40
	s_waitcnt lgkmcnt(0)
	v_add_u32_e32 v0, v3, v0
.LBB174_81:                             ;   in Loop: Header=BB174_14 Depth=1
	s_or_b64 exec, exec, s[28:29]
	s_barrier
	ds_write_b32 v38, v0
	;; [unrolled: 12-line block ×8, first 2 shown]
	s_waitcnt lgkmcnt(0)
	s_barrier
	ds_read_b32 v14, v5 offset:5116
	v_mov_b32_e32 v3, 0
	s_and_saveexec_b64 s[28:29], s[10:11]
	s_cbranch_execz .LBB174_95
; %bb.94:                               ;   in Loop: Header=BB174_14 Depth=1
	ds_read_b32 v3, v39
.LBB174_95:                             ;   in Loop: Header=BB174_14 Depth=1
	s_or_b64 exec, exec, s[28:29]
	s_waitcnt lgkmcnt(0)
	v_cmp_eq_u32_e32 vcc, v0, v3
	s_and_b64 s[30:31], s[10:11], vcc
	s_barrier
	s_and_saveexec_b64 s[28:29], s[30:31]
	s_cbranch_execz .LBB174_97
; %bb.96:                               ;   in Loop: Header=BB174_14 Depth=1
	ds_write_b32 v38, v5
.LBB174_97:                             ;   in Loop: Header=BB174_14 Depth=1
	s_or_b64 exec, exec, s[28:29]
	v_add_co_u32_e32 v15, vcc, -1, v12
	v_addc_co_u32_e32 v16, vcc, -1, v13, vcc
	s_add_i32 s43, s54, s43
	s_mov_b64 s[28:29], 0
	v_mov_b32_e32 v17, v52
	v_mov_b32_e32 v18, v51
	;; [unrolled: 1-line block ×3, first 2 shown]
	s_waitcnt lgkmcnt(0)
	s_barrier
	s_branch .LBB174_99
.LBB174_98:                             ;   in Loop: Header=BB174_99 Depth=2
	s_or_b64 exec, exec, s[30:31]
	v_add_u32_e32 v0, 64, v19
	v_cmp_lt_u32_e32 vcc, s59, v19
	v_add_u32_e32 v18, 0x400, v18
	v_add_u32_e32 v17, 0x100, v17
	s_or_b64 s[28:29], vcc, s[28:29]
	v_mov_b32_e32 v19, v0
	s_andn2_b64 exec, exec, s[28:29]
	s_cbranch_execz .LBB174_13
.LBB174_99:                             ;   Parent Loop BB174_14 Depth=1
                                        ; =>  This Inner Loop Header: Depth=2
	ds_read_b32 v0, v17
	s_waitcnt lgkmcnt(0)
	v_cmp_ne_u32_e32 vcc, 0, v0
	s_and_saveexec_b64 s[30:31], vcc
	s_cbranch_execz .LBB174_98
; %bb.100:                              ;   in Loop: Header=BB174_99 Depth=2
	v_ashrrev_i32_e32 v3, 31, v0
	v_add_co_u32_e32 v20, vcc, v12, v0
	v_addc_co_u32_e32 v21, vcc, v13, v3, vcc
	v_lshlrev_b64 v[20:21], 2, v[20:21]
	v_mov_b32_e32 v23, s94
	v_add_co_u32_e32 v20, vcc, s93, v20
	v_add_u32_e32 v22, s43, v19
	v_addc_co_u32_e32 v21, vcc, v23, v21, vcc
	global_store_dword v[20:21], v22, off
	s_and_b64 exec, exec, s[6:7]
	s_cbranch_execz .LBB174_98
; %bb.101:                              ;   in Loop: Header=BB174_99 Depth=2
	v_add_co_u32_e32 v0, vcc, v15, v0
	v_mad_u64_u32 v[20:21], s[72:73], v0, s42, 0
	v_addc_co_u32_e32 v3, vcc, v16, v3, vcc
	v_mov_b32_e32 v0, v21
	ds_read_b32 v24, v18
	v_mad_u64_u32 v[22:23], s[72:73], v3, s42, v[0:1]
	v_mov_b32_e32 v21, v22
	v_lshlrev_b64 v[20:21], 2, v[20:21]
	v_add_co_u32_e32 v20, vcc, v4, v20
	v_addc_co_u32_e32 v21, vcc, v1, v21, vcc
	s_waitcnt lgkmcnt(0)
	global_store_dword v[20:21], v24, off
	s_branch .LBB174_98
.LBB174_102:
	s_endpgm
	.section	.rodata,"a",@progbits
	.p2align	6, 0x0
	.amdhsa_kernel _ZN9rocsparseL38bsrgemm_block_per_row_atomic_multipassILj256ELj256ELj2ElifEEv20rocsparse_direction_T3_S2_PKS2_S4_NS_24const_host_device_scalarIT4_EEPKT2_S4_PKS6_SA_S4_SC_S7_SA_S4_SC_SA_PS2_PS6_PS8_21rocsparse_index_base_SG_SG_SG_bbb
		.amdhsa_group_segment_fixed_size 6148
		.amdhsa_private_segment_fixed_size 0
		.amdhsa_kernarg_size 172
		.amdhsa_user_sgpr_count 6
		.amdhsa_user_sgpr_private_segment_buffer 1
		.amdhsa_user_sgpr_dispatch_ptr 0
		.amdhsa_user_sgpr_queue_ptr 0
		.amdhsa_user_sgpr_kernarg_segment_ptr 1
		.amdhsa_user_sgpr_dispatch_id 0
		.amdhsa_user_sgpr_flat_scratch_init 0
		.amdhsa_user_sgpr_kernarg_preload_length 0
		.amdhsa_user_sgpr_kernarg_preload_offset 0
		.amdhsa_user_sgpr_private_segment_size 0
		.amdhsa_uses_dynamic_stack 0
		.amdhsa_system_sgpr_private_segment_wavefront_offset 0
		.amdhsa_system_sgpr_workgroup_id_x 1
		.amdhsa_system_sgpr_workgroup_id_y 0
		.amdhsa_system_sgpr_workgroup_id_z 0
		.amdhsa_system_sgpr_workgroup_info 0
		.amdhsa_system_vgpr_workitem_id 0
		.amdhsa_next_free_vgpr 60
		.amdhsa_next_free_sgpr 95
		.amdhsa_accum_offset 60
		.amdhsa_reserve_vcc 1
		.amdhsa_reserve_flat_scratch 0
		.amdhsa_float_round_mode_32 0
		.amdhsa_float_round_mode_16_64 0
		.amdhsa_float_denorm_mode_32 3
		.amdhsa_float_denorm_mode_16_64 3
		.amdhsa_dx10_clamp 1
		.amdhsa_ieee_mode 1
		.amdhsa_fp16_overflow 0
		.amdhsa_tg_split 0
		.amdhsa_exception_fp_ieee_invalid_op 0
		.amdhsa_exception_fp_denorm_src 0
		.amdhsa_exception_fp_ieee_div_zero 0
		.amdhsa_exception_fp_ieee_overflow 0
		.amdhsa_exception_fp_ieee_underflow 0
		.amdhsa_exception_fp_ieee_inexact 0
		.amdhsa_exception_int_div_zero 0
	.end_amdhsa_kernel
	.section	.text._ZN9rocsparseL38bsrgemm_block_per_row_atomic_multipassILj256ELj256ELj2ElifEEv20rocsparse_direction_T3_S2_PKS2_S4_NS_24const_host_device_scalarIT4_EEPKT2_S4_PKS6_SA_S4_SC_S7_SA_S4_SC_SA_PS2_PS6_PS8_21rocsparse_index_base_SG_SG_SG_bbb,"axG",@progbits,_ZN9rocsparseL38bsrgemm_block_per_row_atomic_multipassILj256ELj256ELj2ElifEEv20rocsparse_direction_T3_S2_PKS2_S4_NS_24const_host_device_scalarIT4_EEPKT2_S4_PKS6_SA_S4_SC_S7_SA_S4_SC_SA_PS2_PS6_PS8_21rocsparse_index_base_SG_SG_SG_bbb,comdat
.Lfunc_end174:
	.size	_ZN9rocsparseL38bsrgemm_block_per_row_atomic_multipassILj256ELj256ELj2ElifEEv20rocsparse_direction_T3_S2_PKS2_S4_NS_24const_host_device_scalarIT4_EEPKT2_S4_PKS6_SA_S4_SC_S7_SA_S4_SC_SA_PS2_PS6_PS8_21rocsparse_index_base_SG_SG_SG_bbb, .Lfunc_end174-_ZN9rocsparseL38bsrgemm_block_per_row_atomic_multipassILj256ELj256ELj2ElifEEv20rocsparse_direction_T3_S2_PKS2_S4_NS_24const_host_device_scalarIT4_EEPKT2_S4_PKS6_SA_S4_SC_S7_SA_S4_SC_SA_PS2_PS6_PS8_21rocsparse_index_base_SG_SG_SG_bbb
                                        ; -- End function
	.section	.AMDGPU.csdata,"",@progbits
; Kernel info:
; codeLenInByte = 3520
; NumSgprs: 99
; NumVgprs: 60
; NumAgprs: 0
; TotalNumVgprs: 60
; ScratchSize: 0
; MemoryBound: 0
; FloatMode: 240
; IeeeMode: 1
; LDSByteSize: 6148 bytes/workgroup (compile time only)
; SGPRBlocks: 12
; VGPRBlocks: 7
; NumSGPRsForWavesPerEU: 99
; NumVGPRsForWavesPerEU: 60
; AccumOffset: 60
; Occupancy: 8
; WaveLimiterHint : 1
; COMPUTE_PGM_RSRC2:SCRATCH_EN: 0
; COMPUTE_PGM_RSRC2:USER_SGPR: 6
; COMPUTE_PGM_RSRC2:TRAP_HANDLER: 0
; COMPUTE_PGM_RSRC2:TGID_X_EN: 1
; COMPUTE_PGM_RSRC2:TGID_Y_EN: 0
; COMPUTE_PGM_RSRC2:TGID_Z_EN: 0
; COMPUTE_PGM_RSRC2:TIDIG_COMP_CNT: 0
; COMPUTE_PGM_RSRC3_GFX90A:ACCUM_OFFSET: 14
; COMPUTE_PGM_RSRC3_GFX90A:TG_SPLIT: 0
	.section	.text._ZN9rocsparseL23bsrgemm_fill_wf_per_rowILj256ELj64ELj8ELj137ELj4ElifEEv20rocsparse_direction_T5_S2_S2_PKS2_S4_NS_24const_host_device_scalarIT6_EEPKT4_S4_PKS6_SA_S4_SC_S7_SA_S4_SC_SA_PS2_PS6_21rocsparse_index_base_SF_SF_SF_bbb,"axG",@progbits,_ZN9rocsparseL23bsrgemm_fill_wf_per_rowILj256ELj64ELj8ELj137ELj4ElifEEv20rocsparse_direction_T5_S2_S2_PKS2_S4_NS_24const_host_device_scalarIT6_EEPKT4_S4_PKS6_SA_S4_SC_S7_SA_S4_SC_SA_PS2_PS6_21rocsparse_index_base_SF_SF_SF_bbb,comdat
	.globl	_ZN9rocsparseL23bsrgemm_fill_wf_per_rowILj256ELj64ELj8ELj137ELj4ElifEEv20rocsparse_direction_T5_S2_S2_PKS2_S4_NS_24const_host_device_scalarIT6_EEPKT4_S4_PKS6_SA_S4_SC_S7_SA_S4_SC_SA_PS2_PS6_21rocsparse_index_base_SF_SF_SF_bbb ; -- Begin function _ZN9rocsparseL23bsrgemm_fill_wf_per_rowILj256ELj64ELj8ELj137ELj4ElifEEv20rocsparse_direction_T5_S2_S2_PKS2_S4_NS_24const_host_device_scalarIT6_EEPKT4_S4_PKS6_SA_S4_SC_S7_SA_S4_SC_SA_PS2_PS6_21rocsparse_index_base_SF_SF_SF_bbb
	.p2align	8
	.type	_ZN9rocsparseL23bsrgemm_fill_wf_per_rowILj256ELj64ELj8ELj137ELj4ElifEEv20rocsparse_direction_T5_S2_S2_PKS2_S4_NS_24const_host_device_scalarIT6_EEPKT4_S4_PKS6_SA_S4_SC_S7_SA_S4_SC_SA_PS2_PS6_21rocsparse_index_base_SF_SF_SF_bbb,@function
_ZN9rocsparseL23bsrgemm_fill_wf_per_rowILj256ELj64ELj8ELj137ELj4ElifEEv20rocsparse_direction_T5_S2_S2_PKS2_S4_NS_24const_host_device_scalarIT6_EEPKT4_S4_PKS6_SA_S4_SC_S7_SA_S4_SC_SA_PS2_PS6_21rocsparse_index_base_SF_SF_SF_bbb: ; @_ZN9rocsparseL23bsrgemm_fill_wf_per_rowILj256ELj64ELj8ELj137ELj4ElifEEv20rocsparse_direction_T5_S2_S2_PKS2_S4_NS_24const_host_device_scalarIT6_EEPKT4_S4_PKS6_SA_S4_SC_S7_SA_S4_SC_SA_PS2_PS6_21rocsparse_index_base_SF_SF_SF_bbb
; %bb.0:
	s_load_dword s7, s[4:5], 0xa0
	s_load_dwordx2 s[0:1], s[4:5], 0x20
	s_load_dwordx2 s[8:9], s[4:5], 0x58
	s_waitcnt lgkmcnt(0)
	s_bitcmp1_b32 s7, 0
	s_cselect_b64 s[2:3], -1, 0
	s_bitcmp1_b32 s7, 16
	s_cselect_b64 s[10:11], -1, 0
	s_xor_b64 s[12:13], s[2:3], -1
	s_or_b64 s[12:13], s[12:13], s[10:11]
	s_and_b64 vcc, exec, s[12:13]
	s_cbranch_vccnz .LBB175_2
; %bb.1:
	s_load_dword s0, s[0:1], 0x0
	s_waitcnt lgkmcnt(0)
	v_mov_b32_e32 v1, s0
	s_branch .LBB175_3
.LBB175_2:
	v_mov_b32_e32 v1, s0
	v_cndmask_b32_e64 v1, 0, v1, s[2:3]
.LBB175_3:
	s_bitcmp1_b32 s7, 8
	s_cselect_b64 s[0:1], -1, 0
	s_xor_b64 s[12:13], s[0:1], -1
	s_or_b64 s[10:11], s[12:13], s[10:11]
	s_and_b64 vcc, exec, s[10:11]
	s_cbranch_vccnz .LBB175_5
; %bb.4:
	s_load_dword s7, s[8:9], 0x0
	s_waitcnt lgkmcnt(0)
	v_mov_b32_e32 v30, s7
	s_branch .LBB175_6
.LBB175_5:
	v_mov_b32_e32 v2, s8
	v_cndmask_b32_e64 v30, 0, v2, s[0:1]
.LBB175_6:
	s_load_dwordx4 s[16:19], s[4:5], 0x0
	v_and_b32_e32 v3, 63, v0
	v_lshrrev_b32_e32 v29, 6, v0
	v_mov_b32_e32 v2, 0x800
	v_lshl_or_b32 v28, v29, 5, v2
	v_cmp_gt_u32_e32 vcc, 8, v3
	s_and_saveexec_b64 s[8:9], vcc
	s_cbranch_execz .LBB175_8
; %bb.7:
	v_lshl_add_u32 v2, v3, 2, v28
	s_waitcnt lgkmcnt(0)
	v_mov_b32_e32 v4, s18
	ds_write_b32 v2, v4
.LBB175_8:
	s_or_b64 exec, exec, s[8:9]
	v_lshl_or_b32 v2, s6, 2, v29
	v_lshlrev_b32_e32 v34, 9, v29
	v_lshl_or_b32 v4, v3, 2, v34
	v_mov_b32_e32 v5, 0
	s_waitcnt lgkmcnt(0)
	v_cmp_gt_i32_e32 vcc, s17, v2
	ds_write2st64_b32 v4, v5, v5 offset1:1
	s_waitcnt lgkmcnt(0)
	s_barrier
	s_and_saveexec_b64 s[6:7], vcc
	s_cbranch_execz .LBB175_64
; %bb.9:
	s_load_dwordx2 s[6:7], s[4:5], 0x18
	s_load_dwordx4 s[20:23], s[4:5], 0x90
	s_waitcnt lgkmcnt(0)
	s_cmp_eq_u64 s[6:7], 0
	s_cbranch_scc1 .LBB175_11
; %bb.10:
	s_load_dwordx2 s[8:9], s[4:5], 0x10
	v_mov_b32_e32 v6, s7
	s_waitcnt lgkmcnt(0)
	s_load_dword s8, s[8:9], 0x0
	s_waitcnt lgkmcnt(0)
	v_add_u32_e32 v4, s8, v2
	v_ashrrev_i32_e32 v5, 31, v4
	v_lshlrev_b64 v[4:5], 2, v[4:5]
	v_add_co_u32_e32 v4, vcc, s6, v4
	v_addc_co_u32_e32 v5, vcc, v6, v5, vcc
	global_load_dword v2, v[4:5], off
.LBB175_11:
	s_load_dwordx2 s[26:27], s[4:5], 0x88
	s_load_dwordx2 s[28:29], s[4:5], 0x78
	v_lshrrev_b32_e32 v31, 4, v3
	s_waitcnt vmcnt(0)
	v_ashrrev_i32_e32 v3, 31, v2
	v_and_b32_e32 v32, 3, v0
	v_bfe_u32 v33, v0, 2, 2
	s_andn2_b64 vcc, exec, s[2:3]
	s_mul_i32 s24, s19, s19
	v_lshlrev_b64 v[6:7], 3, v[2:3]
	s_cbranch_vccnz .LBB175_41
; %bb.12:
	s_load_dwordx2 s[2:3], s[4:5], 0x28
	s_mov_b32 s17, 0
	s_waitcnt lgkmcnt(0)
	v_mov_b32_e32 v3, s3
	v_add_co_u32_e32 v2, vcc, s2, v6
	v_addc_co_u32_e32 v3, vcc, v3, v7, vcc
	global_load_dwordx4 v[2:5], v[2:3], off
	v_subrev_co_u32_e32 v10, vcc, s20, v31
	v_subb_co_u32_e64 v11, s[2:3], 0, 0, vcc
	s_waitcnt vmcnt(0)
	v_subrev_co_u32_e32 v8, vcc, s20, v4
	v_subbrev_co_u32_e32 v9, vcc, 0, v5, vcc
	v_add_co_u32_e32 v10, vcc, v2, v10
	v_addc_co_u32_e32 v11, vcc, v3, v11, vcc
	v_cmp_lt_i64_e32 vcc, v[10:11], v[8:9]
	s_and_saveexec_b64 s[30:31], vcc
	s_cbranch_execz .LBB175_40
; %bb.13:
	s_load_dwordx2 s[6:7], s[4:5], 0x50
	s_load_dwordx8 s[8:15], s[4:5], 0x30
	v_max_i32_e32 v2, v32, v33
	v_cmp_gt_i32_e64 s[2:3], s19, v2
	v_mul_lo_u32 v2, v32, s19
	v_mov_b32_e32 v3, 0
	v_mov_b32_e32 v5, v3
	v_lshlrev_b64 v[2:3], 2, v[2:3]
	s_waitcnt lgkmcnt(0)
	v_mov_b32_e32 v17, s7
	v_add_co_u32_e32 v12, vcc, s6, v2
	v_addc_co_u32_e32 v13, vcc, v17, v3, vcc
	v_mad_u64_u32 v[2:3], s[40:41], v10, s24, 0
	v_mov_b32_e32 v14, v3
	v_mad_u64_u32 v[14:15], s[40:41], v11, s24, v[14:15]
	v_mov_b32_e32 v3, v14
	v_lshlrev_b64 v[2:3], 2, v[2:3]
	v_lshlrev_b32_e32 v14, 2, v33
	v_add_co_u32_e32 v14, vcc, v2, v14
	v_addc_co_u32_e32 v15, vcc, 0, v3, vcc
	v_mov_b32_e32 v19, s11
	v_add_co_u32_e32 v14, vcc, s10, v14
	v_addc_co_u32_e32 v15, vcc, v19, v15, vcc
	v_lshlrev_b32_e32 v16, 2, v32
	v_mul_lo_u32 v4, v33, s19
	v_add_co_u32_e32 v16, vcc, s6, v16
	v_addc_co_u32_e32 v17, vcc, 0, v17, vcc
	v_lshlrev_b64 v[4:5], 2, v[4:5]
	v_add_co_u32_e32 v2, vcc, v2, v4
	s_cmp_lg_u32 s16, 0
	v_addc_co_u32_e32 v3, vcc, v3, v5, vcc
	s_cselect_b64 s[34:35], -1, 0
	s_cmp_gt_i32 s19, 0
	s_mov_b32 s25, s17
	s_mov_b32 s42, s19
	s_mov_b32 s43, s17
	v_add_co_u32_e32 v18, vcc, s10, v2
	s_mov_b32 s33, s21
	s_cselect_b64 s[36:37], -1, 0
	v_and_b32_e32 v35, 15, v0
	s_lshl_b64 s[38:39], s[24:25], 2
	s_lshl_b64 s[40:41], s[24:25], 4
	;; [unrolled: 1-line block ×3, first 2 shown]
	v_addc_co_u32_e32 v19, vcc, v19, v3, vcc
	s_mov_b64 s[10:11], 0
	v_mov_b32_e32 v36, s9
	v_mov_b32_e32 v37, s13
	s_branch .LBB175_15
.LBB175_14:                             ;   in Loop: Header=BB175_15 Depth=1
	s_or_b64 exec, exec, s[44:45]
	v_add_co_u32_e32 v10, vcc, 4, v10
	v_addc_co_u32_e32 v11, vcc, 0, v11, vcc
	v_mov_b32_e32 v2, s41
	v_add_co_u32_e32 v14, vcc, s40, v14
	v_addc_co_u32_e32 v15, vcc, v15, v2, vcc
	v_cmp_ge_i64_e32 vcc, v[10:11], v[8:9]
	s_or_b64 s[10:11], vcc, s[10:11]
	v_add_co_u32_e32 v18, vcc, s40, v18
	v_addc_co_u32_e32 v19, vcc, v19, v2, vcc
	s_andn2_b64 exec, exec, s[10:11]
	s_cbranch_execz .LBB175_40
.LBB175_15:                             ; =>This Loop Header: Depth=1
                                        ;     Child Loop BB175_18 Depth 2
                                        ;       Child Loop BB175_22 Depth 3
                                        ;       Child Loop BB175_27 Depth 3
	;; [unrolled: 1-line block ×3, first 2 shown]
	v_lshlrev_b64 v[2:3], 2, v[10:11]
	v_add_co_u32_e32 v2, vcc, s8, v2
	v_addc_co_u32_e32 v3, vcc, v36, v3, vcc
	global_load_dword v2, v[2:3], off
	s_waitcnt vmcnt(0)
	v_subrev_u32_e32 v2, s20, v2
	v_ashrrev_i32_e32 v3, 31, v2
	v_lshlrev_b64 v[2:3], 3, v[2:3]
	v_add_co_u32_e32 v2, vcc, s12, v2
	v_addc_co_u32_e32 v3, vcc, v37, v3, vcc
	global_load_dwordx4 v[2:5], v[2:3], off
	s_waitcnt vmcnt(0)
	v_cmp_lt_i64_e32 vcc, v[2:3], v[4:5]
	s_and_saveexec_b64 s[44:45], vcc
	s_cbranch_execz .LBB175_14
; %bb.16:                               ;   in Loop: Header=BB175_15 Depth=1
	v_mov_b32_e32 v20, s17
	v_subrev_co_u32_e32 v4, vcc, s33, v4
	v_subb_co_u32_e32 v5, vcc, v5, v20, vcc
	v_subrev_co_u32_e32 v2, vcc, s33, v2
	v_subb_co_u32_e32 v3, vcc, v3, v20, vcc
	v_mad_u64_u32 v[20:21], s[6:7], s38, v2, v[12:13]
	v_mul_lo_u32 v24, s38, v3
	v_mul_lo_u32 v25, s39, v2
	v_mad_u64_u32 v[22:23], s[6:7], s38, v2, v[16:17]
	v_add3_u32 v21, v25, v21, v24
	v_add3_u32 v23, v25, v23, v24
	s_mov_b64 s[46:47], 0
	s_branch .LBB175_18
.LBB175_17:                             ;   in Loop: Header=BB175_18 Depth=2
	s_or_b64 exec, exec, s[48:49]
	v_add_co_u32_e32 v2, vcc, 1, v2
	v_addc_co_u32_e32 v3, vcc, 0, v3, vcc
	v_mov_b32_e32 v24, s39
	v_add_co_u32_e32 v20, vcc, s38, v20
	v_addc_co_u32_e32 v21, vcc, v21, v24, vcc
	v_cmp_ge_i64_e32 vcc, v[2:3], v[4:5]
	s_or_b64 s[46:47], vcc, s[46:47]
	v_add_co_u32_e32 v22, vcc, s38, v22
	v_addc_co_u32_e32 v23, vcc, v23, v24, vcc
	s_andn2_b64 exec, exec, s[46:47]
	s_cbranch_execz .LBB175_14
.LBB175_18:                             ;   Parent Loop BB175_15 Depth=1
                                        ; =>  This Loop Header: Depth=2
                                        ;       Child Loop BB175_22 Depth 3
                                        ;       Child Loop BB175_27 Depth 3
	;; [unrolled: 1-line block ×3, first 2 shown]
	s_and_saveexec_b64 s[48:49], s[2:3]
	s_cbranch_execz .LBB175_17
; %bb.19:                               ;   in Loop: Header=BB175_18 Depth=2
	v_lshlrev_b64 v[24:25], 2, v[2:3]
	v_mov_b32_e32 v26, s15
	v_add_co_u32_e32 v24, vcc, s14, v24
	v_addc_co_u32_e32 v25, vcc, v26, v25, vcc
	global_load_dword v38, v[24:25], off
	v_cndmask_b32_e64 v24, 0, 1, s[36:37]
	s_andn2_b64 vcc, exec, s[34:35]
	v_cmp_ne_u32_e64 s[6:7], 1, v24
	s_cbranch_vccnz .LBB175_24
; %bb.20:                               ;   in Loop: Header=BB175_18 Depth=2
	v_mov_b32_e32 v39, 0
	s_and_b64 vcc, exec, s[6:7]
	s_cbranch_vccnz .LBB175_23
; %bb.21:                               ;   in Loop: Header=BB175_18 Depth=2
	v_pk_mov_b32 v[24:25], v[14:15], v[14:15] op_sel:[0,1]
	v_pk_mov_b32 v[26:27], v[20:21], v[20:21] op_sel:[0,1]
	s_mov_b32 s9, s19
.LBB175_22:                             ;   Parent Loop BB175_15 Depth=1
                                        ;     Parent Loop BB175_18 Depth=2
                                        ; =>    This Inner Loop Header: Depth=3
	global_load_dword v40, v[24:25], off
	global_load_dword v41, v[26:27], off
	v_add_co_u32_e32 v26, vcc, 4, v26
	v_addc_co_u32_e32 v27, vcc, 0, v27, vcc
	s_add_i32 s9, s9, -1
	v_mov_b32_e32 v42, s43
	v_add_co_u32_e32 v24, vcc, s42, v24
	v_addc_co_u32_e32 v25, vcc, v25, v42, vcc
	s_cmp_lg_u32 s9, 0
	s_waitcnt vmcnt(0)
	v_fmac_f32_e32 v39, v40, v41
	s_cbranch_scc1 .LBB175_22
.LBB175_23:                             ;   in Loop: Header=BB175_18 Depth=2
	s_cbranch_execz .LBB175_25
	s_branch .LBB175_28
.LBB175_24:                             ;   in Loop: Header=BB175_18 Depth=2
                                        ; implicit-def: $vgpr39
.LBB175_25:                             ;   in Loop: Header=BB175_18 Depth=2
	v_mov_b32_e32 v39, 0
	s_and_b64 vcc, exec, s[6:7]
	s_cbranch_vccnz .LBB175_28
; %bb.26:                               ;   in Loop: Header=BB175_18 Depth=2
	v_pk_mov_b32 v[24:25], v[18:19], v[18:19] op_sel:[0,1]
	v_pk_mov_b32 v[26:27], v[22:23], v[22:23] op_sel:[0,1]
	s_mov_b32 s6, s19
.LBB175_27:                             ;   Parent Loop BB175_15 Depth=1
                                        ;     Parent Loop BB175_18 Depth=2
                                        ; =>    This Inner Loop Header: Depth=3
	global_load_dword v40, v[24:25], off
	global_load_dword v41, v[26:27], off
	v_add_co_u32_e32 v24, vcc, 4, v24
	v_addc_co_u32_e32 v25, vcc, 0, v25, vcc
	s_add_i32 s6, s6, -1
	v_mov_b32_e32 v42, s43
	v_add_co_u32_e32 v26, vcc, s42, v26
	v_addc_co_u32_e32 v27, vcc, v27, v42, vcc
	s_cmp_eq_u32 s6, 0
	s_waitcnt vmcnt(0)
	v_fmac_f32_e32 v39, v40, v41
	s_cbranch_scc0 .LBB175_27
.LBB175_28:                             ;   in Loop: Header=BB175_18 Depth=2
	s_waitcnt vmcnt(0)
	v_subrev_u32_e32 v24, s21, v38
	v_mul_f32_e32 v25, v1, v39
	v_and_b32_e32 v26, 7, v24
	s_mov_b64 s[6:7], 0
	s_branch .LBB175_30
.LBB175_29:                             ;   in Loop: Header=BB175_30 Depth=3
	s_or_b64 exec, exec, s[50:51]
	s_xor_b64 s[50:51], s[52:53], -1
	s_and_b64 s[50:51], exec, s[50:51]
	s_or_b64 s[6:7], s[50:51], s[6:7]
	s_andn2_b64 exec, exec, s[6:7]
	s_cbranch_execz .LBB175_17
.LBB175_30:                             ;   Parent Loop BB175_15 Depth=1
                                        ;     Parent Loop BB175_18 Depth=2
                                        ; =>    This Inner Loop Header: Depth=3
	v_lshl_add_u32 v27, v26, 2, v28
	ds_read_b32 v38, v27
                                        ; implicit-def: $sgpr52_sgpr53
	s_waitcnt lgkmcnt(0)
	v_cmp_ne_u32_e32 vcc, v38, v24
	s_and_saveexec_b64 s[50:51], vcc
	s_xor_b64 s[50:51], exec, s[50:51]
	s_cbranch_execz .LBB175_38
; %bb.31:                               ;   in Loop: Header=BB175_30 Depth=3
	v_cmp_ne_u32_e32 vcc, s18, v38
                                        ; implicit-def: $sgpr52_sgpr53
	s_and_saveexec_b64 s[54:55], vcc
	s_xor_b64 s[54:55], exec, s[54:55]
; %bb.32:                               ;   in Loop: Header=BB175_30 Depth=3
	v_add_u32_e32 v26, 1, v26
	v_and_b32_e32 v26, 7, v26
	s_mov_b64 s[52:53], -1
                                        ; implicit-def: $vgpr27
; %bb.33:                               ;   in Loop: Header=BB175_30 Depth=3
	s_andn2_saveexec_b64 s[54:55], s[54:55]
	s_cbranch_execz .LBB175_37
; %bb.34:                               ;   in Loop: Header=BB175_30 Depth=3
	v_mov_b32_e32 v38, s18
	ds_cmpst_rtn_b32 v27, v27, v38, v24
	s_mov_b64 s[58:59], -1
	s_waitcnt lgkmcnt(0)
	v_cmp_eq_u32_e32 vcc, s18, v27
	s_and_saveexec_b64 s[56:57], vcc
	s_cbranch_execz .LBB175_36
; %bb.35:                               ;   in Loop: Header=BB175_30 Depth=3
	v_lshlrev_b32_e32 v27, 2, v35
	v_lshl_or_b32 v27, v26, 6, v27
	v_add_u32_e32 v27, v34, v27
	ds_add_f32 v27, v25
	s_xor_b64 s[58:59], exec, -1
.LBB175_36:                             ;   in Loop: Header=BB175_30 Depth=3
	s_or_b64 exec, exec, s[56:57]
	s_andn2_b64 s[52:53], s[52:53], exec
	s_and_b64 s[56:57], s[58:59], exec
	s_or_b64 s[52:53], s[52:53], s[56:57]
.LBB175_37:                             ;   in Loop: Header=BB175_30 Depth=3
	s_or_b64 exec, exec, s[54:55]
	s_and_b64 s[52:53], s[52:53], exec
.LBB175_38:                             ;   in Loop: Header=BB175_30 Depth=3
	s_andn2_saveexec_b64 s[50:51], s[50:51]
	s_cbranch_execz .LBB175_29
; %bb.39:                               ;   in Loop: Header=BB175_30 Depth=3
	v_lshlrev_b32_e32 v27, 2, v35
	v_lshl_or_b32 v27, v26, 6, v27
	v_add_u32_e32 v27, v34, v27
	ds_add_f32 v27, v25
	s_andn2_b64 s[52:53], s[52:53], exec
	s_branch .LBB175_29
.LBB175_40:
	s_or_b64 exec, exec, s[30:31]
.LBB175_41:
	s_load_dwordx2 s[8:9], s[4:5], 0x80
	s_andn2_b64 vcc, exec, s[0:1]
	s_waitcnt lgkmcnt(0)
	s_barrier
	s_cbranch_vccnz .LBB175_59
; %bb.42:
	s_load_dwordx2 s[0:1], s[4:5], 0x60
	s_waitcnt lgkmcnt(0)
	v_mov_b32_e32 v1, s1
	v_add_co_u32_e32 v2, vcc, s0, v6
	v_addc_co_u32_e32 v3, vcc, v1, v7, vcc
	global_load_dwordx4 v[8:11], v[2:3], off
	v_subrev_co_u32_e32 v1, vcc, s23, v31
	v_subb_co_u32_e64 v5, s[0:1], 0, 0, vcc
	s_waitcnt vmcnt(0)
	v_subrev_co_u32_e32 v2, vcc, s23, v10
	v_subbrev_co_u32_e32 v3, vcc, 0, v11, vcc
	v_add_co_u32_e32 v4, vcc, v8, v1
	v_addc_co_u32_e32 v5, vcc, v9, v5, vcc
	v_cmp_lt_i64_e32 vcc, v[4:5], v[2:3]
	s_and_saveexec_b64 s[2:3], vcc
	s_cbranch_execz .LBB175_58
; %bb.43:
	s_load_dwordx4 s[4:7], s[4:5], 0x68
	v_mul_lo_u32 v8, v32, s19
	v_mov_b32_e32 v9, 0
	v_max_i32_e32 v1, v32, v33
	v_lshlrev_b64 v[10:11], 2, v[8:9]
	v_cmp_gt_i32_e32 vcc, s19, v1
	s_waitcnt lgkmcnt(0)
	v_mov_b32_e32 v1, s7
	v_add_co_u32_e64 v8, s[0:1], s6, v10
	v_addc_co_u32_e64 v10, s[0:1], v1, v11, s[0:1]
	v_lshlrev_b32_e32 v11, 2, v33
	v_add_co_u32_e64 v11, s[0:1], v8, v11
	v_mul_lo_u32 v8, v33, s19
	v_addc_co_u32_e64 v10, s[0:1], 0, v10, s[0:1]
	v_lshlrev_b64 v[8:9], 2, v[8:9]
	v_add_co_u32_e64 v8, s[0:1], s6, v8
	v_addc_co_u32_e64 v1, s[0:1], v1, v9, s[0:1]
	v_lshlrev_b32_e32 v9, 2, v32
	v_add_co_u32_e64 v8, s[0:1], v8, v9
	s_cmp_eq_u32 s16, 0
	v_addc_co_u32_e64 v1, s[0:1], 0, v1, s[0:1]
	v_and_b32_e32 v9, 15, v0
	s_cselect_b64 s[0:1], -1, 0
	v_cndmask_b32_e64 v1, v10, v1, s[0:1]
	v_cndmask_b32_e64 v0, v11, v8, s[0:1]
	s_mov_b64 s[6:7], 0
	v_lshlrev_b32_e32 v8, 2, v9
	s_branch .LBB175_45
.LBB175_44:                             ;   in Loop: Header=BB175_45 Depth=1
	s_or_b64 exec, exec, s[10:11]
	v_add_co_u32_e64 v4, s[0:1], 4, v4
	v_addc_co_u32_e64 v5, s[0:1], 0, v5, s[0:1]
	v_cmp_ge_i64_e64 s[0:1], v[4:5], v[2:3]
	s_or_b64 s[6:7], s[0:1], s[6:7]
	s_andn2_b64 exec, exec, s[6:7]
	s_cbranch_execz .LBB175_58
.LBB175_45:                             ; =>This Loop Header: Depth=1
                                        ;     Child Loop BB175_48 Depth 2
	s_and_saveexec_b64 s[10:11], vcc
	s_cbranch_execz .LBB175_44
; %bb.46:                               ;   in Loop: Header=BB175_45 Depth=1
	v_lshlrev_b64 v[10:11], 2, v[4:5]
	v_mov_b32_e32 v9, s5
	v_add_co_u32_e64 v10, s[0:1], s4, v10
	v_addc_co_u32_e64 v11, s[0:1], v9, v11, s[0:1]
	global_load_dword v9, v[10:11], off
	v_mad_u64_u32 v[10:11], s[0:1], v4, s24, 0
	v_mov_b32_e32 v12, v11
	v_mad_u64_u32 v[12:13], s[0:1], v5, s24, v[12:13]
	v_mov_b32_e32 v11, v12
	v_lshlrev_b64 v[10:11], 2, v[10:11]
	v_add_co_u32_e64 v10, s[0:1], v0, v10
	v_addc_co_u32_e64 v11, s[0:1], v1, v11, s[0:1]
	global_load_dword v10, v[10:11], off
	s_mov_b64 s[12:13], 0
	s_waitcnt vmcnt(1)
	v_subrev_u32_e32 v9, s23, v9
	v_and_b32_e32 v11, 7, v9
	s_waitcnt vmcnt(0)
	v_mul_f32_e32 v10, v30, v10
	s_branch .LBB175_48
.LBB175_47:                             ;   in Loop: Header=BB175_48 Depth=2
	s_or_b64 exec, exec, s[0:1]
	s_xor_b64 s[0:1], s[20:21], -1
	s_and_b64 s[0:1], exec, s[0:1]
	s_or_b64 s[12:13], s[0:1], s[12:13]
	s_andn2_b64 exec, exec, s[12:13]
	s_cbranch_execz .LBB175_44
.LBB175_48:                             ;   Parent Loop BB175_45 Depth=1
                                        ; =>  This Inner Loop Header: Depth=2
	v_lshl_add_u32 v12, v11, 2, v28
	ds_read_b32 v13, v12
                                        ; implicit-def: $sgpr20_sgpr21
	s_waitcnt lgkmcnt(0)
	v_cmp_ne_u32_e64 s[0:1], v13, v9
	s_and_saveexec_b64 s[14:15], s[0:1]
	s_xor_b64 s[14:15], exec, s[14:15]
	s_cbranch_execz .LBB175_56
; %bb.49:                               ;   in Loop: Header=BB175_48 Depth=2
	v_cmp_ne_u32_e64 s[0:1], s18, v13
                                        ; implicit-def: $sgpr20_sgpr21
	s_and_saveexec_b64 s[30:31], s[0:1]
	s_xor_b64 s[0:1], exec, s[30:31]
; %bb.50:                               ;   in Loop: Header=BB175_48 Depth=2
	v_add_u32_e32 v11, 1, v11
	v_and_b32_e32 v11, 7, v11
	s_mov_b64 s[20:21], -1
                                        ; implicit-def: $vgpr12
; %bb.51:                               ;   in Loop: Header=BB175_48 Depth=2
	s_andn2_saveexec_b64 s[30:31], s[0:1]
	s_cbranch_execz .LBB175_55
; %bb.52:                               ;   in Loop: Header=BB175_48 Depth=2
	v_mov_b32_e32 v13, s18
	ds_cmpst_rtn_b32 v12, v12, v13, v9
	s_mov_b64 s[34:35], -1
	s_waitcnt lgkmcnt(0)
	v_cmp_eq_u32_e64 s[0:1], s18, v12
	s_and_saveexec_b64 s[36:37], s[0:1]
	s_cbranch_execz .LBB175_54
; %bb.53:                               ;   in Loop: Header=BB175_48 Depth=2
	v_lshl_or_b32 v12, v11, 6, v8
	v_add_u32_e32 v12, v34, v12
	ds_add_f32 v12, v10
	s_xor_b64 s[34:35], exec, -1
.LBB175_54:                             ;   in Loop: Header=BB175_48 Depth=2
	s_or_b64 exec, exec, s[36:37]
	s_andn2_b64 s[0:1], s[20:21], exec
	s_and_b64 s[20:21], s[34:35], exec
	s_or_b64 s[20:21], s[0:1], s[20:21]
.LBB175_55:                             ;   in Loop: Header=BB175_48 Depth=2
	s_or_b64 exec, exec, s[30:31]
	s_and_b64 s[20:21], s[20:21], exec
.LBB175_56:                             ;   in Loop: Header=BB175_48 Depth=2
	s_andn2_saveexec_b64 s[0:1], s[14:15]
	s_cbranch_execz .LBB175_47
; %bb.57:                               ;   in Loop: Header=BB175_48 Depth=2
	v_lshl_or_b32 v12, v11, 6, v8
	v_add_u32_e32 v12, v34, v12
	ds_add_f32 v12, v10
	s_andn2_b64 s[20:21], s[20:21], exec
	s_branch .LBB175_47
.LBB175_58:
	s_or_b64 exec, exec, s[2:3]
.LBB175_59:
	v_mov_b32_e32 v1, s29
	v_add_co_u32_e32 v0, vcc, s28, v6
	v_addc_co_u32_e32 v1, vcc, v1, v7, vcc
	s_waitcnt lgkmcnt(0)
	s_barrier
	global_load_dwordx2 v[0:1], v[0:1], off
	v_mul_lo_u32 v4, v33, s19
	v_mov_b32_e32 v5, 0
	v_max_i32_e32 v3, v32, v33
	s_cmp_eq_u32 s16, 0
	v_lshlrev_b32_e32 v8, 5, v29
	v_lshlrev_b32_e32 v9, 2, v31
	s_movk_i32 s2, 0x800
	v_lshlrev_b64 v[4:5], 2, v[4:5]
	v_mov_b32_e32 v6, s27
	v_cmp_gt_i32_e32 vcc, s19, v3
	s_cselect_b64 s[0:1], -1, 0
	v_or3_b32 v3, v8, v9, s2
	v_add_co_u32_e64 v4, s[2:3], s26, v4
	v_lshlrev_b32_e32 v7, 2, v32
	v_addc_co_u32_e64 v5, s[2:3], v6, v5, s[2:3]
	v_cndmask_b32_e64 v6, v33, v32, s[0:1]
	v_cndmask_b32_e64 v10, v32, v33, s[0:1]
	v_add_co_u32_e64 v4, s[0:1], v4, v7
	v_lshlrev_b32_e32 v6, 2, v6
	v_addc_co_u32_e64 v5, s[0:1], 0, v5, s[0:1]
	v_lshl_or_b32 v6, v31, 6, v6
	v_lshl_or_b32 v6, v10, 4, v6
	v_or_b32_e32 v2, -4, v31
	v_lshl_or_b32 v6, v29, 9, v6
	s_mov_b64 s[2:3], 0
	s_waitcnt vmcnt(0)
	v_subrev_co_u32_e64 v7, s[0:1], s22, v0
	v_subbrev_co_u32_e64 v8, s[0:1], 0, v1, s[0:1]
	s_branch .LBB175_61
.LBB175_60:                             ;   in Loop: Header=BB175_61 Depth=1
	s_or_b64 exec, exec, s[4:5]
	v_add_co_u32_e64 v2, s[0:1], 4, v2
	s_xor_b64 s[0:1], s[0:1], -1
	s_and_b64 s[0:1], exec, s[0:1]
	v_add_u32_e32 v6, 0x100, v6
	s_or_b64 s[2:3], s[0:1], s[2:3]
	v_add_u32_e32 v3, 16, v3
	s_andn2_b64 exec, exec, s[2:3]
	s_cbranch_execz .LBB175_64
.LBB175_61:                             ; =>This Inner Loop Header: Depth=1
	ds_read_b32 v9, v3
	s_waitcnt lgkmcnt(0)
	v_cmp_gt_i32_e64 s[0:1], s18, v9
	s_and_saveexec_b64 s[4:5], s[0:1]
	s_cbranch_execz .LBB175_60
; %bb.62:                               ;   in Loop: Header=BB175_61 Depth=1
	ds_read_b128 v[10:13], v28
	ds_read_b128 v[14:17], v28 offset:16
	s_waitcnt lgkmcnt(1)
	v_cmp_gt_i32_e64 s[0:1], v9, v10
	v_cndmask_b32_e64 v0, 0, 1, s[0:1]
	v_add_co_u32_e64 v0, s[0:1], v7, v0
	v_addc_co_u32_e64 v1, s[0:1], 0, v8, s[0:1]
	v_cmp_gt_i32_e64 s[0:1], v9, v11
	v_cndmask_b32_e64 v10, 0, 1, s[0:1]
	v_add_co_u32_e64 v0, s[0:1], v0, v10
	v_addc_co_u32_e64 v1, s[0:1], 0, v1, s[0:1]
	;; [unrolled: 4-line block ×4, first 2 shown]
	s_waitcnt lgkmcnt(0)
	v_cmp_gt_i32_e64 s[0:1], v9, v14
	v_cndmask_b32_e64 v10, 0, 1, s[0:1]
	v_add_co_u32_e64 v0, s[0:1], v0, v10
	v_addc_co_u32_e64 v1, s[0:1], 0, v1, s[0:1]
	v_cmp_gt_i32_e64 s[0:1], v9, v15
	v_cndmask_b32_e64 v10, 0, 1, s[0:1]
	v_add_co_u32_e64 v0, s[0:1], v0, v10
	v_addc_co_u32_e64 v1, s[0:1], 0, v1, s[0:1]
	;; [unrolled: 4-line block ×4, first 2 shown]
	v_lshlrev_b64 v[10:11], 2, v[0:1]
	v_mov_b32_e32 v12, s9
	v_add_co_u32_e64 v10, s[0:1], s8, v10
	v_add_u32_e32 v9, s22, v9
	v_addc_co_u32_e64 v11, s[0:1], v12, v11, s[0:1]
	global_store_dword v[10:11], v9, off
	s_and_b64 exec, exec, vcc
	s_cbranch_execz .LBB175_60
; %bb.63:                               ;   in Loop: Header=BB175_61 Depth=1
	v_mad_u64_u32 v[10:11], s[0:1], v0, s24, 0
	v_mov_b32_e32 v0, v11
	v_mad_u64_u32 v[0:1], s[0:1], v1, s24, v[0:1]
	ds_read_b32 v9, v6
	v_mov_b32_e32 v11, v0
	v_lshlrev_b64 v[0:1], 2, v[10:11]
	v_add_co_u32_e64 v0, s[0:1], v4, v0
	v_addc_co_u32_e64 v1, s[0:1], v5, v1, s[0:1]
	s_waitcnt lgkmcnt(0)
	global_store_dword v[0:1], v9, off
	s_branch .LBB175_60
.LBB175_64:
	s_endpgm
	.section	.rodata,"a",@progbits
	.p2align	6, 0x0
	.amdhsa_kernel _ZN9rocsparseL23bsrgemm_fill_wf_per_rowILj256ELj64ELj8ELj137ELj4ElifEEv20rocsparse_direction_T5_S2_S2_PKS2_S4_NS_24const_host_device_scalarIT6_EEPKT4_S4_PKS6_SA_S4_SC_S7_SA_S4_SC_SA_PS2_PS6_21rocsparse_index_base_SF_SF_SF_bbb
		.amdhsa_group_segment_fixed_size 2176
		.amdhsa_private_segment_fixed_size 0
		.amdhsa_kernarg_size 164
		.amdhsa_user_sgpr_count 6
		.amdhsa_user_sgpr_private_segment_buffer 1
		.amdhsa_user_sgpr_dispatch_ptr 0
		.amdhsa_user_sgpr_queue_ptr 0
		.amdhsa_user_sgpr_kernarg_segment_ptr 1
		.amdhsa_user_sgpr_dispatch_id 0
		.amdhsa_user_sgpr_flat_scratch_init 0
		.amdhsa_user_sgpr_kernarg_preload_length 0
		.amdhsa_user_sgpr_kernarg_preload_offset 0
		.amdhsa_user_sgpr_private_segment_size 0
		.amdhsa_uses_dynamic_stack 0
		.amdhsa_system_sgpr_private_segment_wavefront_offset 0
		.amdhsa_system_sgpr_workgroup_id_x 1
		.amdhsa_system_sgpr_workgroup_id_y 0
		.amdhsa_system_sgpr_workgroup_id_z 0
		.amdhsa_system_sgpr_workgroup_info 0
		.amdhsa_system_vgpr_workitem_id 0
		.amdhsa_next_free_vgpr 43
		.amdhsa_next_free_sgpr 60
		.amdhsa_accum_offset 44
		.amdhsa_reserve_vcc 1
		.amdhsa_reserve_flat_scratch 0
		.amdhsa_float_round_mode_32 0
		.amdhsa_float_round_mode_16_64 0
		.amdhsa_float_denorm_mode_32 3
		.amdhsa_float_denorm_mode_16_64 3
		.amdhsa_dx10_clamp 1
		.amdhsa_ieee_mode 1
		.amdhsa_fp16_overflow 0
		.amdhsa_tg_split 0
		.amdhsa_exception_fp_ieee_invalid_op 0
		.amdhsa_exception_fp_denorm_src 0
		.amdhsa_exception_fp_ieee_div_zero 0
		.amdhsa_exception_fp_ieee_overflow 0
		.amdhsa_exception_fp_ieee_underflow 0
		.amdhsa_exception_fp_ieee_inexact 0
		.amdhsa_exception_int_div_zero 0
	.end_amdhsa_kernel
	.section	.text._ZN9rocsparseL23bsrgemm_fill_wf_per_rowILj256ELj64ELj8ELj137ELj4ElifEEv20rocsparse_direction_T5_S2_S2_PKS2_S4_NS_24const_host_device_scalarIT6_EEPKT4_S4_PKS6_SA_S4_SC_S7_SA_S4_SC_SA_PS2_PS6_21rocsparse_index_base_SF_SF_SF_bbb,"axG",@progbits,_ZN9rocsparseL23bsrgemm_fill_wf_per_rowILj256ELj64ELj8ELj137ELj4ElifEEv20rocsparse_direction_T5_S2_S2_PKS2_S4_NS_24const_host_device_scalarIT6_EEPKT4_S4_PKS6_SA_S4_SC_S7_SA_S4_SC_SA_PS2_PS6_21rocsparse_index_base_SF_SF_SF_bbb,comdat
.Lfunc_end175:
	.size	_ZN9rocsparseL23bsrgemm_fill_wf_per_rowILj256ELj64ELj8ELj137ELj4ElifEEv20rocsparse_direction_T5_S2_S2_PKS2_S4_NS_24const_host_device_scalarIT6_EEPKT4_S4_PKS6_SA_S4_SC_S7_SA_S4_SC_SA_PS2_PS6_21rocsparse_index_base_SF_SF_SF_bbb, .Lfunc_end175-_ZN9rocsparseL23bsrgemm_fill_wf_per_rowILj256ELj64ELj8ELj137ELj4ElifEEv20rocsparse_direction_T5_S2_S2_PKS2_S4_NS_24const_host_device_scalarIT6_EEPKT4_S4_PKS6_SA_S4_SC_S7_SA_S4_SC_SA_PS2_PS6_21rocsparse_index_base_SF_SF_SF_bbb
                                        ; -- End function
	.section	.AMDGPU.csdata,"",@progbits
; Kernel info:
; codeLenInByte = 2812
; NumSgprs: 64
; NumVgprs: 43
; NumAgprs: 0
; TotalNumVgprs: 43
; ScratchSize: 0
; MemoryBound: 0
; FloatMode: 240
; IeeeMode: 1
; LDSByteSize: 2176 bytes/workgroup (compile time only)
; SGPRBlocks: 7
; VGPRBlocks: 5
; NumSGPRsForWavesPerEU: 64
; NumVGPRsForWavesPerEU: 43
; AccumOffset: 44
; Occupancy: 8
; WaveLimiterHint : 1
; COMPUTE_PGM_RSRC2:SCRATCH_EN: 0
; COMPUTE_PGM_RSRC2:USER_SGPR: 6
; COMPUTE_PGM_RSRC2:TRAP_HANDLER: 0
; COMPUTE_PGM_RSRC2:TGID_X_EN: 1
; COMPUTE_PGM_RSRC2:TGID_Y_EN: 0
; COMPUTE_PGM_RSRC2:TGID_Z_EN: 0
; COMPUTE_PGM_RSRC2:TIDIG_COMP_CNT: 0
; COMPUTE_PGM_RSRC3_GFX90A:ACCUM_OFFSET: 10
; COMPUTE_PGM_RSRC3_GFX90A:TG_SPLIT: 0
	.section	.text._ZN9rocsparseL23bsrgemm_fill_wf_per_rowILj256ELj64ELj16ELj137ELj4ElifEEv20rocsparse_direction_T5_S2_S2_PKS2_S4_NS_24const_host_device_scalarIT6_EEPKT4_S4_PKS6_SA_S4_SC_S7_SA_S4_SC_SA_PS2_PS6_21rocsparse_index_base_SF_SF_SF_bbb,"axG",@progbits,_ZN9rocsparseL23bsrgemm_fill_wf_per_rowILj256ELj64ELj16ELj137ELj4ElifEEv20rocsparse_direction_T5_S2_S2_PKS2_S4_NS_24const_host_device_scalarIT6_EEPKT4_S4_PKS6_SA_S4_SC_S7_SA_S4_SC_SA_PS2_PS6_21rocsparse_index_base_SF_SF_SF_bbb,comdat
	.globl	_ZN9rocsparseL23bsrgemm_fill_wf_per_rowILj256ELj64ELj16ELj137ELj4ElifEEv20rocsparse_direction_T5_S2_S2_PKS2_S4_NS_24const_host_device_scalarIT6_EEPKT4_S4_PKS6_SA_S4_SC_S7_SA_S4_SC_SA_PS2_PS6_21rocsparse_index_base_SF_SF_SF_bbb ; -- Begin function _ZN9rocsparseL23bsrgemm_fill_wf_per_rowILj256ELj64ELj16ELj137ELj4ElifEEv20rocsparse_direction_T5_S2_S2_PKS2_S4_NS_24const_host_device_scalarIT6_EEPKT4_S4_PKS6_SA_S4_SC_S7_SA_S4_SC_SA_PS2_PS6_21rocsparse_index_base_SF_SF_SF_bbb
	.p2align	8
	.type	_ZN9rocsparseL23bsrgemm_fill_wf_per_rowILj256ELj64ELj16ELj137ELj4ElifEEv20rocsparse_direction_T5_S2_S2_PKS2_S4_NS_24const_host_device_scalarIT6_EEPKT4_S4_PKS6_SA_S4_SC_S7_SA_S4_SC_SA_PS2_PS6_21rocsparse_index_base_SF_SF_SF_bbb,@function
_ZN9rocsparseL23bsrgemm_fill_wf_per_rowILj256ELj64ELj16ELj137ELj4ElifEEv20rocsparse_direction_T5_S2_S2_PKS2_S4_NS_24const_host_device_scalarIT6_EEPKT4_S4_PKS6_SA_S4_SC_S7_SA_S4_SC_SA_PS2_PS6_21rocsparse_index_base_SF_SF_SF_bbb: ; @_ZN9rocsparseL23bsrgemm_fill_wf_per_rowILj256ELj64ELj16ELj137ELj4ElifEEv20rocsparse_direction_T5_S2_S2_PKS2_S4_NS_24const_host_device_scalarIT6_EEPKT4_S4_PKS6_SA_S4_SC_S7_SA_S4_SC_SA_PS2_PS6_21rocsparse_index_base_SF_SF_SF_bbb
; %bb.0:
	s_load_dword s7, s[4:5], 0xa0
	s_load_dwordx2 s[0:1], s[4:5], 0x20
	s_load_dwordx2 s[8:9], s[4:5], 0x58
	s_waitcnt lgkmcnt(0)
	s_bitcmp1_b32 s7, 0
	s_cselect_b64 s[2:3], -1, 0
	s_bitcmp1_b32 s7, 16
	s_cselect_b64 s[10:11], -1, 0
	s_xor_b64 s[12:13], s[2:3], -1
	s_or_b64 s[12:13], s[12:13], s[10:11]
	s_and_b64 vcc, exec, s[12:13]
	s_cbranch_vccnz .LBB176_2
; %bb.1:
	s_load_dword s0, s[0:1], 0x0
	s_waitcnt lgkmcnt(0)
	v_mov_b32_e32 v1, s0
	s_branch .LBB176_3
.LBB176_2:
	v_mov_b32_e32 v1, s0
	v_cndmask_b32_e64 v1, 0, v1, s[2:3]
.LBB176_3:
	s_bitcmp1_b32 s7, 8
	s_cselect_b64 s[0:1], -1, 0
	s_xor_b64 s[12:13], s[0:1], -1
	s_or_b64 s[10:11], s[12:13], s[10:11]
	s_and_b64 vcc, exec, s[10:11]
	s_cbranch_vccnz .LBB176_5
; %bb.4:
	s_load_dword s7, s[8:9], 0x0
	s_waitcnt lgkmcnt(0)
	v_mov_b32_e32 v30, s7
	s_branch .LBB176_6
.LBB176_5:
	v_mov_b32_e32 v2, s8
	v_cndmask_b32_e64 v30, 0, v2, s[0:1]
.LBB176_6:
	s_load_dwordx4 s[16:19], s[4:5], 0x0
	v_and_b32_e32 v3, 63, v0
	v_and_b32_e32 v2, 0xc0, v0
	v_lshrrev_b32_e32 v29, 6, v0
	v_or_b32_e32 v28, 0x1000, v2
	v_cmp_gt_u32_e32 vcc, 16, v3
	s_and_saveexec_b64 s[8:9], vcc
	s_cbranch_execz .LBB176_8
; %bb.7:
	v_lshl_add_u32 v2, v3, 2, v28
	s_waitcnt lgkmcnt(0)
	v_mov_b32_e32 v4, s18
	ds_write_b32 v2, v4
.LBB176_8:
	s_or_b64 exec, exec, s[8:9]
	v_lshl_or_b32 v2, s6, 2, v29
	v_lshlrev_b32_e32 v34, 10, v29
	v_lshl_or_b32 v4, v3, 2, v34
	v_mov_b32_e32 v5, 0
	s_waitcnt lgkmcnt(0)
	v_cmp_gt_i32_e32 vcc, s17, v2
	ds_write2st64_b32 v4, v5, v5 offset1:1
	ds_write2st64_b32 v4, v5, v5 offset0:2 offset1:3
	s_waitcnt lgkmcnt(0)
	s_barrier
	s_and_saveexec_b64 s[6:7], vcc
	s_cbranch_execz .LBB176_64
; %bb.9:
	s_load_dwordx2 s[6:7], s[4:5], 0x18
	s_load_dwordx4 s[20:23], s[4:5], 0x90
	s_waitcnt lgkmcnt(0)
	s_cmp_eq_u64 s[6:7], 0
	s_cbranch_scc1 .LBB176_11
; %bb.10:
	s_load_dwordx2 s[8:9], s[4:5], 0x10
	v_mov_b32_e32 v6, s7
	s_waitcnt lgkmcnt(0)
	s_load_dword s8, s[8:9], 0x0
	s_waitcnt lgkmcnt(0)
	v_add_u32_e32 v4, s8, v2
	v_ashrrev_i32_e32 v5, 31, v4
	v_lshlrev_b64 v[4:5], 2, v[4:5]
	v_add_co_u32_e32 v4, vcc, s6, v4
	v_addc_co_u32_e32 v5, vcc, v6, v5, vcc
	global_load_dword v2, v[4:5], off
.LBB176_11:
	s_load_dwordx2 s[26:27], s[4:5], 0x88
	s_load_dwordx2 s[28:29], s[4:5], 0x78
	v_lshrrev_b32_e32 v31, 4, v3
	s_waitcnt vmcnt(0)
	v_ashrrev_i32_e32 v3, 31, v2
	v_and_b32_e32 v32, 3, v0
	v_bfe_u32 v33, v0, 2, 2
	s_andn2_b64 vcc, exec, s[2:3]
	s_mul_i32 s24, s19, s19
	v_lshlrev_b64 v[6:7], 3, v[2:3]
	s_cbranch_vccnz .LBB176_41
; %bb.12:
	s_load_dwordx2 s[2:3], s[4:5], 0x28
	s_mov_b32 s17, 0
	s_waitcnt lgkmcnt(0)
	v_mov_b32_e32 v3, s3
	v_add_co_u32_e32 v2, vcc, s2, v6
	v_addc_co_u32_e32 v3, vcc, v3, v7, vcc
	global_load_dwordx4 v[2:5], v[2:3], off
	v_subrev_co_u32_e32 v10, vcc, s20, v31
	v_subb_co_u32_e64 v11, s[2:3], 0, 0, vcc
	s_waitcnt vmcnt(0)
	v_subrev_co_u32_e32 v8, vcc, s20, v4
	v_subbrev_co_u32_e32 v9, vcc, 0, v5, vcc
	v_add_co_u32_e32 v10, vcc, v2, v10
	v_addc_co_u32_e32 v11, vcc, v3, v11, vcc
	v_cmp_lt_i64_e32 vcc, v[10:11], v[8:9]
	s_and_saveexec_b64 s[30:31], vcc
	s_cbranch_execz .LBB176_40
; %bb.13:
	s_load_dwordx2 s[6:7], s[4:5], 0x50
	s_load_dwordx8 s[8:15], s[4:5], 0x30
	v_max_i32_e32 v2, v32, v33
	v_cmp_gt_i32_e64 s[2:3], s19, v2
	v_mul_lo_u32 v2, v32, s19
	v_mov_b32_e32 v3, 0
	v_mov_b32_e32 v5, v3
	v_lshlrev_b64 v[2:3], 2, v[2:3]
	s_waitcnt lgkmcnt(0)
	v_mov_b32_e32 v17, s7
	v_add_co_u32_e32 v12, vcc, s6, v2
	v_addc_co_u32_e32 v13, vcc, v17, v3, vcc
	v_mad_u64_u32 v[2:3], s[40:41], v10, s24, 0
	v_mov_b32_e32 v14, v3
	v_mad_u64_u32 v[14:15], s[40:41], v11, s24, v[14:15]
	v_mov_b32_e32 v3, v14
	v_lshlrev_b64 v[2:3], 2, v[2:3]
	v_lshlrev_b32_e32 v14, 2, v33
	v_add_co_u32_e32 v14, vcc, v2, v14
	v_addc_co_u32_e32 v15, vcc, 0, v3, vcc
	v_mov_b32_e32 v19, s11
	v_add_co_u32_e32 v14, vcc, s10, v14
	v_addc_co_u32_e32 v15, vcc, v19, v15, vcc
	v_lshlrev_b32_e32 v16, 2, v32
	v_mul_lo_u32 v4, v33, s19
	v_add_co_u32_e32 v16, vcc, s6, v16
	v_addc_co_u32_e32 v17, vcc, 0, v17, vcc
	v_lshlrev_b64 v[4:5], 2, v[4:5]
	v_add_co_u32_e32 v2, vcc, v2, v4
	s_cmp_lg_u32 s16, 0
	v_addc_co_u32_e32 v3, vcc, v3, v5, vcc
	s_cselect_b64 s[34:35], -1, 0
	s_cmp_gt_i32 s19, 0
	s_mov_b32 s25, s17
	s_mov_b32 s42, s19
	;; [unrolled: 1-line block ×3, first 2 shown]
	v_add_co_u32_e32 v18, vcc, s10, v2
	s_mov_b32 s33, s21
	s_cselect_b64 s[36:37], -1, 0
	v_and_b32_e32 v35, 15, v0
	s_lshl_b64 s[38:39], s[24:25], 2
	s_lshl_b64 s[40:41], s[24:25], 4
	;; [unrolled: 1-line block ×3, first 2 shown]
	v_addc_co_u32_e32 v19, vcc, v19, v3, vcc
	s_mov_b64 s[10:11], 0
	v_mov_b32_e32 v36, s9
	v_mov_b32_e32 v37, s13
	s_branch .LBB176_15
.LBB176_14:                             ;   in Loop: Header=BB176_15 Depth=1
	s_or_b64 exec, exec, s[44:45]
	v_add_co_u32_e32 v10, vcc, 4, v10
	v_addc_co_u32_e32 v11, vcc, 0, v11, vcc
	v_mov_b32_e32 v2, s41
	v_add_co_u32_e32 v14, vcc, s40, v14
	v_addc_co_u32_e32 v15, vcc, v15, v2, vcc
	v_cmp_ge_i64_e32 vcc, v[10:11], v[8:9]
	s_or_b64 s[10:11], vcc, s[10:11]
	v_add_co_u32_e32 v18, vcc, s40, v18
	v_addc_co_u32_e32 v19, vcc, v19, v2, vcc
	s_andn2_b64 exec, exec, s[10:11]
	s_cbranch_execz .LBB176_40
.LBB176_15:                             ; =>This Loop Header: Depth=1
                                        ;     Child Loop BB176_18 Depth 2
                                        ;       Child Loop BB176_22 Depth 3
                                        ;       Child Loop BB176_27 Depth 3
	;; [unrolled: 1-line block ×3, first 2 shown]
	v_lshlrev_b64 v[2:3], 2, v[10:11]
	v_add_co_u32_e32 v2, vcc, s8, v2
	v_addc_co_u32_e32 v3, vcc, v36, v3, vcc
	global_load_dword v2, v[2:3], off
	s_waitcnt vmcnt(0)
	v_subrev_u32_e32 v2, s20, v2
	v_ashrrev_i32_e32 v3, 31, v2
	v_lshlrev_b64 v[2:3], 3, v[2:3]
	v_add_co_u32_e32 v2, vcc, s12, v2
	v_addc_co_u32_e32 v3, vcc, v37, v3, vcc
	global_load_dwordx4 v[2:5], v[2:3], off
	s_waitcnt vmcnt(0)
	v_cmp_lt_i64_e32 vcc, v[2:3], v[4:5]
	s_and_saveexec_b64 s[44:45], vcc
	s_cbranch_execz .LBB176_14
; %bb.16:                               ;   in Loop: Header=BB176_15 Depth=1
	v_mov_b32_e32 v20, s17
	v_subrev_co_u32_e32 v4, vcc, s33, v4
	v_subb_co_u32_e32 v5, vcc, v5, v20, vcc
	v_subrev_co_u32_e32 v2, vcc, s33, v2
	v_subb_co_u32_e32 v3, vcc, v3, v20, vcc
	v_mad_u64_u32 v[20:21], s[6:7], s38, v2, v[12:13]
	v_mul_lo_u32 v24, s38, v3
	v_mul_lo_u32 v25, s39, v2
	v_mad_u64_u32 v[22:23], s[6:7], s38, v2, v[16:17]
	v_add3_u32 v21, v25, v21, v24
	v_add3_u32 v23, v25, v23, v24
	s_mov_b64 s[46:47], 0
	s_branch .LBB176_18
.LBB176_17:                             ;   in Loop: Header=BB176_18 Depth=2
	s_or_b64 exec, exec, s[48:49]
	v_add_co_u32_e32 v2, vcc, 1, v2
	v_addc_co_u32_e32 v3, vcc, 0, v3, vcc
	v_mov_b32_e32 v24, s39
	v_add_co_u32_e32 v20, vcc, s38, v20
	v_addc_co_u32_e32 v21, vcc, v21, v24, vcc
	v_cmp_ge_i64_e32 vcc, v[2:3], v[4:5]
	s_or_b64 s[46:47], vcc, s[46:47]
	v_add_co_u32_e32 v22, vcc, s38, v22
	v_addc_co_u32_e32 v23, vcc, v23, v24, vcc
	s_andn2_b64 exec, exec, s[46:47]
	s_cbranch_execz .LBB176_14
.LBB176_18:                             ;   Parent Loop BB176_15 Depth=1
                                        ; =>  This Loop Header: Depth=2
                                        ;       Child Loop BB176_22 Depth 3
                                        ;       Child Loop BB176_27 Depth 3
	;; [unrolled: 1-line block ×3, first 2 shown]
	s_and_saveexec_b64 s[48:49], s[2:3]
	s_cbranch_execz .LBB176_17
; %bb.19:                               ;   in Loop: Header=BB176_18 Depth=2
	v_lshlrev_b64 v[24:25], 2, v[2:3]
	v_mov_b32_e32 v26, s15
	v_add_co_u32_e32 v24, vcc, s14, v24
	v_addc_co_u32_e32 v25, vcc, v26, v25, vcc
	global_load_dword v38, v[24:25], off
	v_cndmask_b32_e64 v24, 0, 1, s[36:37]
	s_andn2_b64 vcc, exec, s[34:35]
	v_cmp_ne_u32_e64 s[6:7], 1, v24
	s_cbranch_vccnz .LBB176_24
; %bb.20:                               ;   in Loop: Header=BB176_18 Depth=2
	v_mov_b32_e32 v39, 0
	s_and_b64 vcc, exec, s[6:7]
	s_cbranch_vccnz .LBB176_23
; %bb.21:                               ;   in Loop: Header=BB176_18 Depth=2
	v_pk_mov_b32 v[24:25], v[14:15], v[14:15] op_sel:[0,1]
	v_pk_mov_b32 v[26:27], v[20:21], v[20:21] op_sel:[0,1]
	s_mov_b32 s9, s19
.LBB176_22:                             ;   Parent Loop BB176_15 Depth=1
                                        ;     Parent Loop BB176_18 Depth=2
                                        ; =>    This Inner Loop Header: Depth=3
	global_load_dword v40, v[24:25], off
	global_load_dword v41, v[26:27], off
	v_add_co_u32_e32 v26, vcc, 4, v26
	v_addc_co_u32_e32 v27, vcc, 0, v27, vcc
	s_add_i32 s9, s9, -1
	v_mov_b32_e32 v42, s43
	v_add_co_u32_e32 v24, vcc, s42, v24
	v_addc_co_u32_e32 v25, vcc, v25, v42, vcc
	s_cmp_lg_u32 s9, 0
	s_waitcnt vmcnt(0)
	v_fmac_f32_e32 v39, v40, v41
	s_cbranch_scc1 .LBB176_22
.LBB176_23:                             ;   in Loop: Header=BB176_18 Depth=2
	s_cbranch_execz .LBB176_25
	s_branch .LBB176_28
.LBB176_24:                             ;   in Loop: Header=BB176_18 Depth=2
                                        ; implicit-def: $vgpr39
.LBB176_25:                             ;   in Loop: Header=BB176_18 Depth=2
	v_mov_b32_e32 v39, 0
	s_and_b64 vcc, exec, s[6:7]
	s_cbranch_vccnz .LBB176_28
; %bb.26:                               ;   in Loop: Header=BB176_18 Depth=2
	v_pk_mov_b32 v[24:25], v[18:19], v[18:19] op_sel:[0,1]
	v_pk_mov_b32 v[26:27], v[22:23], v[22:23] op_sel:[0,1]
	s_mov_b32 s6, s19
.LBB176_27:                             ;   Parent Loop BB176_15 Depth=1
                                        ;     Parent Loop BB176_18 Depth=2
                                        ; =>    This Inner Loop Header: Depth=3
	global_load_dword v40, v[24:25], off
	global_load_dword v41, v[26:27], off
	v_add_co_u32_e32 v24, vcc, 4, v24
	v_addc_co_u32_e32 v25, vcc, 0, v25, vcc
	s_add_i32 s6, s6, -1
	v_mov_b32_e32 v42, s43
	v_add_co_u32_e32 v26, vcc, s42, v26
	v_addc_co_u32_e32 v27, vcc, v27, v42, vcc
	s_cmp_eq_u32 s6, 0
	s_waitcnt vmcnt(0)
	v_fmac_f32_e32 v39, v40, v41
	s_cbranch_scc0 .LBB176_27
.LBB176_28:                             ;   in Loop: Header=BB176_18 Depth=2
	s_waitcnt vmcnt(0)
	v_subrev_u32_e32 v24, s21, v38
	v_lshl_add_u32 v26, v24, 3, v24
	v_mul_f32_e32 v25, v1, v39
	v_and_b32_e32 v26, 15, v26
	s_mov_b64 s[6:7], 0
	s_branch .LBB176_30
.LBB176_29:                             ;   in Loop: Header=BB176_30 Depth=3
	s_or_b64 exec, exec, s[50:51]
	s_xor_b64 s[50:51], s[52:53], -1
	s_and_b64 s[50:51], exec, s[50:51]
	s_or_b64 s[6:7], s[50:51], s[6:7]
	s_andn2_b64 exec, exec, s[6:7]
	s_cbranch_execz .LBB176_17
.LBB176_30:                             ;   Parent Loop BB176_15 Depth=1
                                        ;     Parent Loop BB176_18 Depth=2
                                        ; =>    This Inner Loop Header: Depth=3
	v_lshl_add_u32 v27, v26, 2, v28
	ds_read_b32 v38, v27
                                        ; implicit-def: $sgpr52_sgpr53
	s_waitcnt lgkmcnt(0)
	v_cmp_ne_u32_e32 vcc, v38, v24
	s_and_saveexec_b64 s[50:51], vcc
	s_xor_b64 s[50:51], exec, s[50:51]
	s_cbranch_execz .LBB176_38
; %bb.31:                               ;   in Loop: Header=BB176_30 Depth=3
	v_cmp_ne_u32_e32 vcc, s18, v38
                                        ; implicit-def: $sgpr52_sgpr53
	s_and_saveexec_b64 s[54:55], vcc
	s_xor_b64 s[54:55], exec, s[54:55]
; %bb.32:                               ;   in Loop: Header=BB176_30 Depth=3
	v_add_u32_e32 v26, 1, v26
	v_and_b32_e32 v26, 15, v26
	s_mov_b64 s[52:53], -1
                                        ; implicit-def: $vgpr27
; %bb.33:                               ;   in Loop: Header=BB176_30 Depth=3
	s_andn2_saveexec_b64 s[54:55], s[54:55]
	s_cbranch_execz .LBB176_37
; %bb.34:                               ;   in Loop: Header=BB176_30 Depth=3
	v_mov_b32_e32 v38, s18
	ds_cmpst_rtn_b32 v27, v27, v38, v24
	s_mov_b64 s[58:59], -1
	s_waitcnt lgkmcnt(0)
	v_cmp_eq_u32_e32 vcc, s18, v27
	s_and_saveexec_b64 s[56:57], vcc
	s_cbranch_execz .LBB176_36
; %bb.35:                               ;   in Loop: Header=BB176_30 Depth=3
	v_lshlrev_b32_e32 v27, 2, v35
	v_lshl_or_b32 v27, v26, 6, v27
	v_add_u32_e32 v27, v34, v27
	ds_add_f32 v27, v25
	s_xor_b64 s[58:59], exec, -1
.LBB176_36:                             ;   in Loop: Header=BB176_30 Depth=3
	s_or_b64 exec, exec, s[56:57]
	s_andn2_b64 s[52:53], s[52:53], exec
	s_and_b64 s[56:57], s[58:59], exec
	s_or_b64 s[52:53], s[52:53], s[56:57]
.LBB176_37:                             ;   in Loop: Header=BB176_30 Depth=3
	s_or_b64 exec, exec, s[54:55]
	s_and_b64 s[52:53], s[52:53], exec
.LBB176_38:                             ;   in Loop: Header=BB176_30 Depth=3
	s_andn2_saveexec_b64 s[50:51], s[50:51]
	s_cbranch_execz .LBB176_29
; %bb.39:                               ;   in Loop: Header=BB176_30 Depth=3
	v_lshlrev_b32_e32 v27, 2, v35
	v_lshl_or_b32 v27, v26, 6, v27
	v_add_u32_e32 v27, v34, v27
	ds_add_f32 v27, v25
	s_andn2_b64 s[52:53], s[52:53], exec
	s_branch .LBB176_29
.LBB176_40:
	s_or_b64 exec, exec, s[30:31]
.LBB176_41:
	s_load_dwordx2 s[8:9], s[4:5], 0x80
	s_andn2_b64 vcc, exec, s[0:1]
	s_waitcnt lgkmcnt(0)
	s_barrier
	s_cbranch_vccnz .LBB176_59
; %bb.42:
	s_load_dwordx2 s[0:1], s[4:5], 0x60
	s_waitcnt lgkmcnt(0)
	v_mov_b32_e32 v1, s1
	v_add_co_u32_e32 v2, vcc, s0, v6
	v_addc_co_u32_e32 v3, vcc, v1, v7, vcc
	global_load_dwordx4 v[8:11], v[2:3], off
	v_subrev_co_u32_e32 v1, vcc, s23, v31
	v_subb_co_u32_e64 v5, s[0:1], 0, 0, vcc
	s_waitcnt vmcnt(0)
	v_subrev_co_u32_e32 v2, vcc, s23, v10
	v_subbrev_co_u32_e32 v3, vcc, 0, v11, vcc
	v_add_co_u32_e32 v4, vcc, v8, v1
	v_addc_co_u32_e32 v5, vcc, v9, v5, vcc
	v_cmp_lt_i64_e32 vcc, v[4:5], v[2:3]
	s_and_saveexec_b64 s[2:3], vcc
	s_cbranch_execz .LBB176_58
; %bb.43:
	s_load_dwordx4 s[4:7], s[4:5], 0x68
	v_mul_lo_u32 v8, v32, s19
	v_mov_b32_e32 v9, 0
	v_max_i32_e32 v1, v32, v33
	v_lshlrev_b64 v[10:11], 2, v[8:9]
	v_cmp_gt_i32_e32 vcc, s19, v1
	s_waitcnt lgkmcnt(0)
	v_mov_b32_e32 v1, s7
	v_add_co_u32_e64 v8, s[0:1], s6, v10
	v_addc_co_u32_e64 v10, s[0:1], v1, v11, s[0:1]
	v_lshlrev_b32_e32 v11, 2, v33
	v_add_co_u32_e64 v11, s[0:1], v8, v11
	v_mul_lo_u32 v8, v33, s19
	v_addc_co_u32_e64 v10, s[0:1], 0, v10, s[0:1]
	v_lshlrev_b64 v[8:9], 2, v[8:9]
	v_add_co_u32_e64 v8, s[0:1], s6, v8
	v_addc_co_u32_e64 v1, s[0:1], v1, v9, s[0:1]
	v_lshlrev_b32_e32 v9, 2, v32
	v_add_co_u32_e64 v8, s[0:1], v8, v9
	s_cmp_eq_u32 s16, 0
	v_addc_co_u32_e64 v1, s[0:1], 0, v1, s[0:1]
	v_and_b32_e32 v9, 15, v0
	s_cselect_b64 s[0:1], -1, 0
	v_cndmask_b32_e64 v1, v10, v1, s[0:1]
	v_cndmask_b32_e64 v0, v11, v8, s[0:1]
	s_mov_b64 s[6:7], 0
	v_lshlrev_b32_e32 v8, 2, v9
	s_branch .LBB176_45
.LBB176_44:                             ;   in Loop: Header=BB176_45 Depth=1
	s_or_b64 exec, exec, s[10:11]
	v_add_co_u32_e64 v4, s[0:1], 4, v4
	v_addc_co_u32_e64 v5, s[0:1], 0, v5, s[0:1]
	v_cmp_ge_i64_e64 s[0:1], v[4:5], v[2:3]
	s_or_b64 s[6:7], s[0:1], s[6:7]
	s_andn2_b64 exec, exec, s[6:7]
	s_cbranch_execz .LBB176_58
.LBB176_45:                             ; =>This Loop Header: Depth=1
                                        ;     Child Loop BB176_48 Depth 2
	s_and_saveexec_b64 s[10:11], vcc
	s_cbranch_execz .LBB176_44
; %bb.46:                               ;   in Loop: Header=BB176_45 Depth=1
	v_lshlrev_b64 v[10:11], 2, v[4:5]
	v_mov_b32_e32 v9, s5
	v_add_co_u32_e64 v10, s[0:1], s4, v10
	v_addc_co_u32_e64 v11, s[0:1], v9, v11, s[0:1]
	global_load_dword v9, v[10:11], off
	v_mad_u64_u32 v[10:11], s[0:1], v4, s24, 0
	v_mov_b32_e32 v12, v11
	v_mad_u64_u32 v[12:13], s[0:1], v5, s24, v[12:13]
	v_mov_b32_e32 v11, v12
	v_lshlrev_b64 v[10:11], 2, v[10:11]
	v_add_co_u32_e64 v10, s[0:1], v0, v10
	v_addc_co_u32_e64 v11, s[0:1], v1, v11, s[0:1]
	global_load_dword v10, v[10:11], off
	s_mov_b64 s[12:13], 0
	s_waitcnt vmcnt(1)
	v_subrev_u32_e32 v9, s23, v9
	v_lshl_add_u32 v11, v9, 3, v9
	v_and_b32_e32 v11, 15, v11
	s_waitcnt vmcnt(0)
	v_mul_f32_e32 v10, v30, v10
	s_branch .LBB176_48
.LBB176_47:                             ;   in Loop: Header=BB176_48 Depth=2
	s_or_b64 exec, exec, s[0:1]
	s_xor_b64 s[0:1], s[20:21], -1
	s_and_b64 s[0:1], exec, s[0:1]
	s_or_b64 s[12:13], s[0:1], s[12:13]
	s_andn2_b64 exec, exec, s[12:13]
	s_cbranch_execz .LBB176_44
.LBB176_48:                             ;   Parent Loop BB176_45 Depth=1
                                        ; =>  This Inner Loop Header: Depth=2
	v_lshl_add_u32 v12, v11, 2, v28
	ds_read_b32 v13, v12
                                        ; implicit-def: $sgpr20_sgpr21
	s_waitcnt lgkmcnt(0)
	v_cmp_ne_u32_e64 s[0:1], v13, v9
	s_and_saveexec_b64 s[14:15], s[0:1]
	s_xor_b64 s[14:15], exec, s[14:15]
	s_cbranch_execz .LBB176_56
; %bb.49:                               ;   in Loop: Header=BB176_48 Depth=2
	v_cmp_ne_u32_e64 s[0:1], s18, v13
                                        ; implicit-def: $sgpr20_sgpr21
	s_and_saveexec_b64 s[30:31], s[0:1]
	s_xor_b64 s[0:1], exec, s[30:31]
; %bb.50:                               ;   in Loop: Header=BB176_48 Depth=2
	v_add_u32_e32 v11, 1, v11
	v_and_b32_e32 v11, 15, v11
	s_mov_b64 s[20:21], -1
                                        ; implicit-def: $vgpr12
; %bb.51:                               ;   in Loop: Header=BB176_48 Depth=2
	s_andn2_saveexec_b64 s[30:31], s[0:1]
	s_cbranch_execz .LBB176_55
; %bb.52:                               ;   in Loop: Header=BB176_48 Depth=2
	v_mov_b32_e32 v13, s18
	ds_cmpst_rtn_b32 v12, v12, v13, v9
	s_mov_b64 s[34:35], -1
	s_waitcnt lgkmcnt(0)
	v_cmp_eq_u32_e64 s[0:1], s18, v12
	s_and_saveexec_b64 s[36:37], s[0:1]
	s_cbranch_execz .LBB176_54
; %bb.53:                               ;   in Loop: Header=BB176_48 Depth=2
	v_lshl_or_b32 v12, v11, 6, v8
	v_add_u32_e32 v12, v34, v12
	ds_add_f32 v12, v10
	s_xor_b64 s[34:35], exec, -1
.LBB176_54:                             ;   in Loop: Header=BB176_48 Depth=2
	s_or_b64 exec, exec, s[36:37]
	s_andn2_b64 s[0:1], s[20:21], exec
	s_and_b64 s[20:21], s[34:35], exec
	s_or_b64 s[20:21], s[0:1], s[20:21]
.LBB176_55:                             ;   in Loop: Header=BB176_48 Depth=2
	s_or_b64 exec, exec, s[30:31]
	s_and_b64 s[20:21], s[20:21], exec
.LBB176_56:                             ;   in Loop: Header=BB176_48 Depth=2
	s_andn2_saveexec_b64 s[0:1], s[14:15]
	s_cbranch_execz .LBB176_47
; %bb.57:                               ;   in Loop: Header=BB176_48 Depth=2
	v_lshl_or_b32 v12, v11, 6, v8
	v_add_u32_e32 v12, v34, v12
	ds_add_f32 v12, v10
	s_andn2_b64 s[20:21], s[20:21], exec
	s_branch .LBB176_47
.LBB176_58:
	s_or_b64 exec, exec, s[2:3]
.LBB176_59:
	v_mov_b32_e32 v1, s29
	v_add_co_u32_e32 v0, vcc, s28, v6
	v_addc_co_u32_e32 v1, vcc, v1, v7, vcc
	s_waitcnt lgkmcnt(0)
	s_barrier
	global_load_dwordx2 v[0:1], v[0:1], off
	v_mul_lo_u32 v4, v33, s19
	v_mov_b32_e32 v5, 0
	v_max_i32_e32 v3, v32, v33
	s_cmp_eq_u32 s16, 0
	v_lshlrev_b32_e32 v8, 6, v29
	v_lshlrev_b32_e32 v9, 2, v31
	s_movk_i32 s2, 0x1000
	v_lshlrev_b64 v[4:5], 2, v[4:5]
	v_mov_b32_e32 v6, s27
	v_cmp_gt_i32_e32 vcc, s19, v3
	s_cselect_b64 s[0:1], -1, 0
	v_or3_b32 v3, v8, v9, s2
	v_add_co_u32_e64 v4, s[2:3], s26, v4
	v_lshlrev_b32_e32 v7, 2, v32
	v_addc_co_u32_e64 v5, s[2:3], v6, v5, s[2:3]
	v_cndmask_b32_e64 v6, v33, v32, s[0:1]
	v_cndmask_b32_e64 v10, v32, v33, s[0:1]
	v_add_co_u32_e64 v4, s[0:1], v4, v7
	v_lshlrev_b32_e32 v6, 2, v6
	v_addc_co_u32_e64 v5, s[0:1], 0, v5, s[0:1]
	v_lshl_or_b32 v6, v31, 6, v6
	v_lshl_or_b32 v6, v10, 4, v6
	v_or_b32_e32 v2, -4, v31
	v_lshl_or_b32 v6, v29, 10, v6
	s_mov_b64 s[2:3], 0
	s_waitcnt vmcnt(0)
	v_subrev_co_u32_e64 v7, s[0:1], s22, v0
	v_subbrev_co_u32_e64 v8, s[0:1], 0, v1, s[0:1]
	s_branch .LBB176_61
.LBB176_60:                             ;   in Loop: Header=BB176_61 Depth=1
	s_or_b64 exec, exec, s[4:5]
	v_add_u32_e32 v2, 4, v2
	v_cmp_lt_u32_e64 s[0:1], 11, v2
	v_add_u32_e32 v6, 0x100, v6
	s_or_b64 s[2:3], s[0:1], s[2:3]
	v_add_u32_e32 v3, 16, v3
	s_andn2_b64 exec, exec, s[2:3]
	s_cbranch_execz .LBB176_64
.LBB176_61:                             ; =>This Inner Loop Header: Depth=1
	ds_read_b32 v9, v3
	s_waitcnt lgkmcnt(0)
	v_cmp_gt_i32_e64 s[0:1], s18, v9
	s_and_saveexec_b64 s[4:5], s[0:1]
	s_cbranch_execz .LBB176_60
; %bb.62:                               ;   in Loop: Header=BB176_61 Depth=1
	ds_read_b128 v[10:13], v28
	ds_read_b128 v[14:17], v28 offset:16
	ds_read_b128 v[18:21], v28 offset:32
	;; [unrolled: 1-line block ×3, first 2 shown]
	s_waitcnt lgkmcnt(3)
	v_cmp_gt_i32_e64 s[0:1], v9, v10
	v_cndmask_b32_e64 v0, 0, 1, s[0:1]
	v_add_co_u32_e64 v0, s[0:1], v7, v0
	v_addc_co_u32_e64 v1, s[0:1], 0, v8, s[0:1]
	v_cmp_gt_i32_e64 s[0:1], v9, v11
	v_cndmask_b32_e64 v10, 0, 1, s[0:1]
	v_add_co_u32_e64 v0, s[0:1], v0, v10
	v_addc_co_u32_e64 v1, s[0:1], 0, v1, s[0:1]
	v_cmp_gt_i32_e64 s[0:1], v9, v12
	v_cndmask_b32_e64 v10, 0, 1, s[0:1]
	v_add_co_u32_e64 v0, s[0:1], v0, v10
	v_addc_co_u32_e64 v1, s[0:1], 0, v1, s[0:1]
	v_cmp_gt_i32_e64 s[0:1], v9, v13
	v_cndmask_b32_e64 v10, 0, 1, s[0:1]
	v_add_co_u32_e64 v0, s[0:1], v0, v10
	v_addc_co_u32_e64 v1, s[0:1], 0, v1, s[0:1]
	s_waitcnt lgkmcnt(2)
	v_cmp_gt_i32_e64 s[0:1], v9, v14
	v_cndmask_b32_e64 v10, 0, 1, s[0:1]
	v_add_co_u32_e64 v0, s[0:1], v0, v10
	v_addc_co_u32_e64 v1, s[0:1], 0, v1, s[0:1]
	v_cmp_gt_i32_e64 s[0:1], v9, v15
	v_cndmask_b32_e64 v10, 0, 1, s[0:1]
	v_add_co_u32_e64 v0, s[0:1], v0, v10
	v_addc_co_u32_e64 v1, s[0:1], 0, v1, s[0:1]
	v_cmp_gt_i32_e64 s[0:1], v9, v16
	v_cndmask_b32_e64 v10, 0, 1, s[0:1]
	v_add_co_u32_e64 v0, s[0:1], v0, v10
	v_addc_co_u32_e64 v1, s[0:1], 0, v1, s[0:1]
	v_cmp_gt_i32_e64 s[0:1], v9, v17
	v_cndmask_b32_e64 v10, 0, 1, s[0:1]
	v_add_co_u32_e64 v0, s[0:1], v0, v10
	v_addc_co_u32_e64 v1, s[0:1], 0, v1, s[0:1]
	;; [unrolled: 17-line block ×4, first 2 shown]
	v_lshlrev_b64 v[10:11], 2, v[0:1]
	v_mov_b32_e32 v12, s9
	v_add_co_u32_e64 v10, s[0:1], s8, v10
	v_add_u32_e32 v9, s22, v9
	v_addc_co_u32_e64 v11, s[0:1], v12, v11, s[0:1]
	global_store_dword v[10:11], v9, off
	s_and_b64 exec, exec, vcc
	s_cbranch_execz .LBB176_60
; %bb.63:                               ;   in Loop: Header=BB176_61 Depth=1
	v_mad_u64_u32 v[10:11], s[0:1], v0, s24, 0
	v_mov_b32_e32 v0, v11
	v_mad_u64_u32 v[0:1], s[0:1], v1, s24, v[0:1]
	ds_read_b32 v9, v6
	v_mov_b32_e32 v11, v0
	v_lshlrev_b64 v[0:1], 2, v[10:11]
	v_add_co_u32_e64 v0, s[0:1], v4, v0
	v_addc_co_u32_e64 v1, s[0:1], v5, v1, s[0:1]
	s_waitcnt lgkmcnt(0)
	global_store_dword v[0:1], v9, off
	s_branch .LBB176_60
.LBB176_64:
	s_endpgm
	.section	.rodata,"a",@progbits
	.p2align	6, 0x0
	.amdhsa_kernel _ZN9rocsparseL23bsrgemm_fill_wf_per_rowILj256ELj64ELj16ELj137ELj4ElifEEv20rocsparse_direction_T5_S2_S2_PKS2_S4_NS_24const_host_device_scalarIT6_EEPKT4_S4_PKS6_SA_S4_SC_S7_SA_S4_SC_SA_PS2_PS6_21rocsparse_index_base_SF_SF_SF_bbb
		.amdhsa_group_segment_fixed_size 4352
		.amdhsa_private_segment_fixed_size 0
		.amdhsa_kernarg_size 164
		.amdhsa_user_sgpr_count 6
		.amdhsa_user_sgpr_private_segment_buffer 1
		.amdhsa_user_sgpr_dispatch_ptr 0
		.amdhsa_user_sgpr_queue_ptr 0
		.amdhsa_user_sgpr_kernarg_segment_ptr 1
		.amdhsa_user_sgpr_dispatch_id 0
		.amdhsa_user_sgpr_flat_scratch_init 0
		.amdhsa_user_sgpr_kernarg_preload_length 0
		.amdhsa_user_sgpr_kernarg_preload_offset 0
		.amdhsa_user_sgpr_private_segment_size 0
		.amdhsa_uses_dynamic_stack 0
		.amdhsa_system_sgpr_private_segment_wavefront_offset 0
		.amdhsa_system_sgpr_workgroup_id_x 1
		.amdhsa_system_sgpr_workgroup_id_y 0
		.amdhsa_system_sgpr_workgroup_id_z 0
		.amdhsa_system_sgpr_workgroup_info 0
		.amdhsa_system_vgpr_workitem_id 0
		.amdhsa_next_free_vgpr 43
		.amdhsa_next_free_sgpr 60
		.amdhsa_accum_offset 44
		.amdhsa_reserve_vcc 1
		.amdhsa_reserve_flat_scratch 0
		.amdhsa_float_round_mode_32 0
		.amdhsa_float_round_mode_16_64 0
		.amdhsa_float_denorm_mode_32 3
		.amdhsa_float_denorm_mode_16_64 3
		.amdhsa_dx10_clamp 1
		.amdhsa_ieee_mode 1
		.amdhsa_fp16_overflow 0
		.amdhsa_tg_split 0
		.amdhsa_exception_fp_ieee_invalid_op 0
		.amdhsa_exception_fp_denorm_src 0
		.amdhsa_exception_fp_ieee_div_zero 0
		.amdhsa_exception_fp_ieee_overflow 0
		.amdhsa_exception_fp_ieee_underflow 0
		.amdhsa_exception_fp_ieee_inexact 0
		.amdhsa_exception_int_div_zero 0
	.end_amdhsa_kernel
	.section	.text._ZN9rocsparseL23bsrgemm_fill_wf_per_rowILj256ELj64ELj16ELj137ELj4ElifEEv20rocsparse_direction_T5_S2_S2_PKS2_S4_NS_24const_host_device_scalarIT6_EEPKT4_S4_PKS6_SA_S4_SC_S7_SA_S4_SC_SA_PS2_PS6_21rocsparse_index_base_SF_SF_SF_bbb,"axG",@progbits,_ZN9rocsparseL23bsrgemm_fill_wf_per_rowILj256ELj64ELj16ELj137ELj4ElifEEv20rocsparse_direction_T5_S2_S2_PKS2_S4_NS_24const_host_device_scalarIT6_EEPKT4_S4_PKS6_SA_S4_SC_S7_SA_S4_SC_SA_PS2_PS6_21rocsparse_index_base_SF_SF_SF_bbb,comdat
.Lfunc_end176:
	.size	_ZN9rocsparseL23bsrgemm_fill_wf_per_rowILj256ELj64ELj16ELj137ELj4ElifEEv20rocsparse_direction_T5_S2_S2_PKS2_S4_NS_24const_host_device_scalarIT6_EEPKT4_S4_PKS6_SA_S4_SC_S7_SA_S4_SC_SA_PS2_PS6_21rocsparse_index_base_SF_SF_SF_bbb, .Lfunc_end176-_ZN9rocsparseL23bsrgemm_fill_wf_per_rowILj256ELj64ELj16ELj137ELj4ElifEEv20rocsparse_direction_T5_S2_S2_PKS2_S4_NS_24const_host_device_scalarIT6_EEPKT4_S4_PKS6_SA_S4_SC_S7_SA_S4_SC_SA_PS2_PS6_21rocsparse_index_base_SF_SF_SF_bbb
                                        ; -- End function
	.section	.AMDGPU.csdata,"",@progbits
; Kernel info:
; codeLenInByte = 3112
; NumSgprs: 64
; NumVgprs: 43
; NumAgprs: 0
; TotalNumVgprs: 43
; ScratchSize: 0
; MemoryBound: 0
; FloatMode: 240
; IeeeMode: 1
; LDSByteSize: 4352 bytes/workgroup (compile time only)
; SGPRBlocks: 7
; VGPRBlocks: 5
; NumSGPRsForWavesPerEU: 64
; NumVGPRsForWavesPerEU: 43
; AccumOffset: 44
; Occupancy: 8
; WaveLimiterHint : 1
; COMPUTE_PGM_RSRC2:SCRATCH_EN: 0
; COMPUTE_PGM_RSRC2:USER_SGPR: 6
; COMPUTE_PGM_RSRC2:TRAP_HANDLER: 0
; COMPUTE_PGM_RSRC2:TGID_X_EN: 1
; COMPUTE_PGM_RSRC2:TGID_Y_EN: 0
; COMPUTE_PGM_RSRC2:TGID_Z_EN: 0
; COMPUTE_PGM_RSRC2:TIDIG_COMP_CNT: 0
; COMPUTE_PGM_RSRC3_GFX90A:ACCUM_OFFSET: 10
; COMPUTE_PGM_RSRC3_GFX90A:TG_SPLIT: 0
	.section	.text._ZN9rocsparseL38bsrgemm_block_per_row_atomic_multipassILj256ELj32ELj4ElifEEv20rocsparse_direction_T3_S2_PKS2_S4_NS_24const_host_device_scalarIT4_EEPKT2_S4_PKS6_SA_S4_SC_S7_SA_S4_SC_SA_PS2_PS6_PS8_21rocsparse_index_base_SG_SG_SG_bbb,"axG",@progbits,_ZN9rocsparseL38bsrgemm_block_per_row_atomic_multipassILj256ELj32ELj4ElifEEv20rocsparse_direction_T3_S2_PKS2_S4_NS_24const_host_device_scalarIT4_EEPKT2_S4_PKS6_SA_S4_SC_S7_SA_S4_SC_SA_PS2_PS6_PS8_21rocsparse_index_base_SG_SG_SG_bbb,comdat
	.globl	_ZN9rocsparseL38bsrgemm_block_per_row_atomic_multipassILj256ELj32ELj4ElifEEv20rocsparse_direction_T3_S2_PKS2_S4_NS_24const_host_device_scalarIT4_EEPKT2_S4_PKS6_SA_S4_SC_S7_SA_S4_SC_SA_PS2_PS6_PS8_21rocsparse_index_base_SG_SG_SG_bbb ; -- Begin function _ZN9rocsparseL38bsrgemm_block_per_row_atomic_multipassILj256ELj32ELj4ElifEEv20rocsparse_direction_T3_S2_PKS2_S4_NS_24const_host_device_scalarIT4_EEPKT2_S4_PKS6_SA_S4_SC_S7_SA_S4_SC_SA_PS2_PS6_PS8_21rocsparse_index_base_SG_SG_SG_bbb
	.p2align	8
	.type	_ZN9rocsparseL38bsrgemm_block_per_row_atomic_multipassILj256ELj32ELj4ElifEEv20rocsparse_direction_T3_S2_PKS2_S4_NS_24const_host_device_scalarIT4_EEPKT2_S4_PKS6_SA_S4_SC_S7_SA_S4_SC_SA_PS2_PS6_PS8_21rocsparse_index_base_SG_SG_SG_bbb,@function
_ZN9rocsparseL38bsrgemm_block_per_row_atomic_multipassILj256ELj32ELj4ElifEEv20rocsparse_direction_T3_S2_PKS2_S4_NS_24const_host_device_scalarIT4_EEPKT2_S4_PKS6_SA_S4_SC_S7_SA_S4_SC_SA_PS2_PS6_PS8_21rocsparse_index_base_SG_SG_SG_bbb: ; @_ZN9rocsparseL38bsrgemm_block_per_row_atomic_multipassILj256ELj32ELj4ElifEEv20rocsparse_direction_T3_S2_PKS2_S4_NS_24const_host_device_scalarIT4_EEPKT2_S4_PKS6_SA_S4_SC_S7_SA_S4_SC_SA_PS2_PS6_PS8_21rocsparse_index_base_SG_SG_SG_bbb
; %bb.0:
	s_load_dword s7, s[4:5], 0xa8
	s_load_dwordx4 s[28:31], s[4:5], 0x98
	s_load_dwordx2 s[0:1], s[4:5], 0x20
	s_load_dwordx2 s[8:9], s[4:5], 0x58
	s_waitcnt lgkmcnt(0)
	s_bitcmp1_b32 s7, 0
	s_cselect_b64 s[14:15], -1, 0
	s_bitcmp1_b32 s7, 16
	s_cselect_b64 s[10:11], -1, 0
	s_xor_b64 s[2:3], s[14:15], -1
	s_or_b64 s[2:3], s[2:3], s[10:11]
	s_and_b64 vcc, exec, s[2:3]
	s_cbranch_vccnz .LBB177_2
; %bb.1:
	s_load_dword s0, s[0:1], 0x0
	s_waitcnt lgkmcnt(0)
	v_mov_b32_e32 v26, s0
	s_branch .LBB177_3
.LBB177_2:
	v_mov_b32_e32 v1, s0
	v_cndmask_b32_e64 v26, 0, v1, s[14:15]
.LBB177_3:
	s_load_dwordx2 s[2:3], s[4:5], 0x18
	s_bitcmp1_b32 s7, 8
	s_cselect_b64 s[0:1], -1, 0
	s_xor_b64 s[12:13], s[0:1], -1
	s_or_b64 s[10:11], s[12:13], s[10:11]
	s_and_b64 vcc, exec, s[10:11]
	s_cbranch_vccnz .LBB177_5
; %bb.4:
	s_load_dword s7, s[8:9], 0x0
	s_waitcnt lgkmcnt(0)
	v_mov_b32_e32 v27, s7
	s_load_dwordx2 s[8:9], s[4:5], 0x28
	s_cmp_eq_u64 s[2:3], 0
	s_mov_b64 s[34:35], 0
	s_cbranch_scc0 .LBB177_6
	s_branch .LBB177_7
.LBB177_5:
	v_mov_b32_e32 v1, s8
	v_cndmask_b32_e64 v27, 0, v1, s[0:1]
	s_load_dwordx2 s[8:9], s[4:5], 0x28
	s_waitcnt lgkmcnt(0)
	s_cmp_eq_u64 s[2:3], 0
	s_mov_b64 s[34:35], 0
	s_cbranch_scc1 .LBB177_7
.LBB177_6:
	s_load_dwordx2 s[10:11], s[4:5], 0x10
	s_waitcnt lgkmcnt(0)
	s_load_dword s7, s[10:11], 0x0
	s_waitcnt lgkmcnt(0)
	s_add_i32 s6, s7, s6
	s_mov_b32 s7, 0
	s_lshl_b64 s[6:7], s[6:7], 2
	s_add_u32 s2, s2, s6
	s_addc_u32 s3, s3, s7
	s_load_dword s6, s[2:3], 0x0
.LBB177_7:
	v_cndmask_b32_e64 v1, 0, 1, s[14:15]
	v_cmp_ne_u32_e64 s[2:3], 1, v1
	s_andn2_b64 vcc, exec, s[14:15]
	s_cbranch_vccz .LBB177_10
; %bb.8:
	s_and_b64 vcc, exec, s[2:3]
	s_mov_b64 s[56:57], 0
	s_cbranch_vccz .LBB177_11
.LBB177_9:
	s_load_dwordx4 s[52:55], s[4:5], 0x0
	s_waitcnt lgkmcnt(0)
	s_cmp_lt_i32 s53, 1
	s_cbranch_scc0 .LBB177_12
	s_branch .LBB177_98
.LBB177_10:
	s_waitcnt lgkmcnt(0)
	s_ashr_i32 s7, s6, 31
	s_lshl_b64 s[10:11], s[6:7], 3
	s_add_u32 s10, s8, s10
	s_addc_u32 s11, s9, s11
	s_load_dwordx2 s[10:11], s[10:11], 0x0
	s_waitcnt lgkmcnt(0)
	s_sub_u32 s34, s10, s28
	s_subb_u32 s35, s11, 0
	s_and_b64 vcc, exec, s[2:3]
	s_mov_b64 s[56:57], 0
	s_cbranch_vccnz .LBB177_9
.LBB177_11:
	s_waitcnt lgkmcnt(0)
	s_ashr_i32 s7, s6, 31
	s_lshl_b64 s[2:3], s[6:7], 3
	s_add_u32 s2, s8, s2
	s_addc_u32 s3, s9, s3
	s_load_dwordx2 s[2:3], s[2:3], 0x8
	s_waitcnt lgkmcnt(0)
	s_sub_u32 s56, s2, s28
	s_subb_u32 s57, s3, 0
	s_load_dwordx4 s[52:55], s[4:5], 0x0
	s_waitcnt lgkmcnt(0)
	s_cmp_lt_i32 s53, 1
	s_cbranch_scc1 .LBB177_98
.LBB177_12:
	s_load_dwordx2 s[58:59], s[4:5], 0x90
	s_load_dwordx4 s[20:23], s[4:5], 0x80
	s_load_dwordx8 s[36:43], s[4:5], 0x60
	s_load_dwordx2 s[26:27], s[4:5], 0x50
	s_load_dwordx8 s[44:51], s[4:5], 0x30
	s_ashr_i32 s7, s6, 31
	s_lshl_b64 s[12:13], s[6:7], 3
	v_and_b32_e32 v28, 3, v0
	v_bfe_u32 v3, v0, 2, 2
	v_pk_mov_b32 v[4:5], s[56:57], s[56:57] op_sel:[0,1]
	s_waitcnt lgkmcnt(0)
	s_add_u32 s2, s42, s12
	v_cmp_lt_i64_e32 vcc, s[34:35], v[4:5]
	v_max_i32_e32 v4, v28, v3
	s_addc_u32 s3, s43, s13
	v_mov_b32_e32 v5, 0
	v_cmp_gt_i32_e64 s[8:9], s54, v4
	v_mul_lo_u32 v4, v3, s54
	s_load_dwordx2 s[2:3], s[2:3], 0x0
	v_lshlrev_b64 v[6:7], 2, v[4:5]
	v_mov_b32_e32 v3, s47
	v_add_co_u32_e64 v4, s[10:11], s46, v6
	v_addc_co_u32_e64 v3, s[10:11], v3, v7, s[10:11]
	v_lshlrev_b32_e32 v10, 2, v28
	v_add_co_u32_e64 v31, s[10:11], v4, v10
	v_mul_lo_u32 v4, v28, s54
	v_addc_co_u32_e64 v32, s[10:11], 0, v3, s[10:11]
	v_lshlrev_b64 v[8:9], 2, v[4:5]
	s_waitcnt lgkmcnt(0)
	s_sub_u32 s66, s2, s30
	v_mov_b32_e32 v3, s41
	v_add_co_u32_e64 v4, s[10:11], s40, v8
	s_subb_u32 s67, s3, 0
	v_and_b32_e32 v33, 12, v0
	v_addc_co_u32_e64 v11, s[10:11], v3, v9, s[10:11]
	s_cmp_eq_u32 s52, 0
	v_add_co_u32_e64 v4, s[10:11], v4, v33
	v_addc_co_u32_e64 v11, s[10:11], 0, v11, s[10:11]
	s_cselect_b64 s[24:25], -1, 0
	s_cmp_lg_u32 s52, 0
	s_movk_i32 s4, 0x200
	v_add_co_u32_e64 v12, s[10:11], s40, v6
	s_cselect_b64 s[40:41], -1, 0
	s_cmp_gt_i32 s54, 0
	v_and_b32_e32 v1, 15, v0
	v_lshrrev_b32_e32 v2, 4, v0
	v_cmp_gt_u32_e64 s[2:3], 32, v0
	v_cmp_gt_u32_e64 s[4:5], s4, v0
	v_cmp_eq_u32_e64 s[6:7], 0, v0
	v_lshlrev_b32_e32 v29, 2, v0
	s_cselect_b64 s[46:47], -1, 0
	s_add_u32 s36, s36, s12
	v_and_b32_e32 v0, 31, v0
	s_addc_u32 s37, s37, s13
	v_add_co_u32_e64 v13, s[12:13], -1, v0
	v_mov_b32_e32 v14, 0xc00
	v_lshl_add_u32 v37, v13, 2, v14
	v_mov_b32_e32 v13, s23
	v_add_co_u32_e64 v15, s[16:17], s22, v8
	v_addc_co_u32_e64 v16, s[16:17], v13, v9, s[16:17]
	v_add_co_u32_e64 v15, s[16:17], v15, v33
	v_addc_co_u32_e64 v3, s[10:11], v3, v7, s[10:11]
	v_addc_co_u32_e64 v16, s[16:17], 0, v16, s[16:17]
	v_add_co_u32_e64 v12, s[10:11], v12, v10
	v_add_co_u32_e64 v6, s[16:17], s22, v6
	s_and_b64 s[60:61], s[14:15], vcc
	v_addc_co_u32_e64 v3, s[10:11], 0, v3, s[10:11]
	v_addc_co_u32_e64 v7, s[16:17], v13, v7, s[16:17]
	s_add_u32 s87, s48, 8
	v_subrev_co_u32_e64 v34, s[10:11], s31, v2
	v_add_co_u32_e64 v6, s[16:17], v6, v10
	s_addc_u32 s88, s49, 0
	v_subb_co_u32_e64 v35, s[10:11], 0, 0, s[10:11]
	v_addc_co_u32_e64 v7, s[16:17], 0, v7, s[16:17]
	s_add_u32 s89, s20, -4
	s_movk_i32 s55, 0x800
	v_cmp_eq_u32_e64 s[10:11], 15, v1
	v_lshlrev_b32_e32 v1, 2, v0
	v_cmp_ne_u32_e64 s[14:15], 0, v0
	v_cmp_lt_u32_e64 s[16:17], 1, v0
	v_cmp_lt_u32_e64 s[18:19], 3, v0
	s_addc_u32 s90, s21, -1
	v_cmp_lt_u32_e64 s[20:21], 7, v0
	v_cmp_lt_u32_e64 s[22:23], 15, v0
	v_cndmask_b32_e64 v0, v4, v12, s[24:25]
	v_cndmask_b32_e64 v4, v15, v6, s[24:25]
	v_lshlrev_b32_e32 v6, 6, v2
	v_or_b32_e32 v36, 0xc00, v1
	v_add_u32_e32 v39, 0xbf8, v1
	v_add_u32_e32 v40, 0xbf0, v1
	;; [unrolled: 1-line block ×4, first 2 shown]
	v_cndmask_b32_e64 v1, v11, v3, s[24:25]
	v_or3_b32 v43, v6, v33, s55
	v_mov_b32_e32 v11, s27
	v_add_co_u32_e32 v6, vcc, s26, v8
	v_cndmask_b32_e64 v3, v16, v7, s[24:25]
	v_addc_co_u32_e32 v7, vcc, v11, v9, vcc
	v_add_co_u32_e32 v8, vcc, s26, v10
	s_mov_b32 s43, 0
	v_addc_co_u32_e32 v9, vcc, 0, v11, vcc
	s_mul_i32 s42, s54, s54
	s_mov_b32 s55, s43
	v_add_co_u32_e32 v44, vcc, 16, v34
	v_and_b32_e32 v10, 0x3f0, v29
	v_or_b32_e32 v30, 0x800, v29
	s_mov_b32 s33, s29
	s_mov_b32 s86, s43
	;; [unrolled: 1-line block ×3, first 2 shown]
	v_or_b32_e32 v38, 0xc00, v29
	s_lshl_b64 s[62:63], s[42:43], 2
	v_addc_co_u32_e32 v45, vcc, 0, v35, vcc
	s_lshl_b64 s[64:65], s[54:55], 2
	v_or_b32_e32 v46, 0x800, v10
	v_pk_mov_b32 v[10:11], s[66:67], s[66:67] op_sel:[0,1]
	s_lshl_b64 s[66:67], s[42:43], 6
	v_lshl_or_b32 v47, v2, 2, v14
	v_mov_b32_e32 v49, 32
	v_mov_b32_e32 v48, 1
	s_branch .LBB177_14
.LBB177_13:                             ;   in Loop: Header=BB177_14 Depth=1
	s_or_b64 exec, exec, s[24:25]
	s_barrier
	ds_read_b32 v13, v5 offset:3200
	v_ashrrev_i32_e32 v12, 31, v14
	v_add_co_u32_e32 v10, vcc, v10, v14
	v_addc_co_u32_e32 v11, vcc, v11, v12, vcc
	s_waitcnt lgkmcnt(0)
	v_cmp_le_i32_e32 vcc, s53, v13
	v_readfirstlane_b32 s43, v13
	v_add_u32_e32 v49, 32, v13
	s_barrier
	s_cbranch_vccnz .LBB177_98
.LBB177_14:                             ; =>This Loop Header: Depth=1
                                        ;     Child Loop BB177_19 Depth 2
                                        ;     Child Loop BB177_28 Depth 2
                                        ;       Child Loop BB177_41 Depth 3
                                        ;         Child Loop BB177_50 Depth 4
                                        ;         Child Loop BB177_55 Depth 4
                                        ;     Child Loop BB177_66 Depth 2
                                        ;     Child Loop BB177_75 Depth 2
	;; [unrolled: 1-line block ×3, first 2 shown]
	s_and_saveexec_b64 s[24:25], s[2:3]
	s_cbranch_execz .LBB177_16
; %bb.15:                               ;   in Loop: Header=BB177_14 Depth=1
	ds_write_b32 v38, v5
.LBB177_16:                             ;   in Loop: Header=BB177_14 Depth=1
	s_or_b64 exec, exec, s[24:25]
	s_and_saveexec_b64 s[24:25], s[4:5]
	s_cbranch_execz .LBB177_23
; %bb.17:                               ;   in Loop: Header=BB177_14 Depth=1
	s_mov_b32 s55, 0
	s_mov_b64 s[26:27], 0
	v_mov_b32_e32 v12, v29
	s_branch .LBB177_19
.LBB177_18:                             ;   in Loop: Header=BB177_19 Depth=2
	s_or_b64 exec, exec, s[70:71]
	s_add_i32 s55, s55, 2
	v_cmp_eq_u32_e64 s[68:69], 2, s55
	s_or_b64 s[26:27], s[68:69], s[26:27]
	v_add_u32_e32 v12, 0x800, v12
	s_andn2_b64 exec, exec, s[26:27]
	s_cbranch_execz .LBB177_23
.LBB177_19:                             ;   Parent Loop BB177_14 Depth=1
                                        ; =>  This Inner Loop Header: Depth=2
	s_or_b32 s68, s55, 1
	v_cmp_le_u32_e64 s[68:69], s68, 1
	v_cmp_le_u32_e64 s[72:73], s55, 1
	s_and_saveexec_b64 s[70:71], s[72:73]
	s_cbranch_execz .LBB177_21
; %bb.20:                               ;   in Loop: Header=BB177_19 Depth=2
	ds_write_b32 v12, v5
.LBB177_21:                             ;   in Loop: Header=BB177_19 Depth=2
	s_or_b64 exec, exec, s[70:71]
	s_and_saveexec_b64 s[70:71], s[68:69]
	s_cbranch_execz .LBB177_18
; %bb.22:                               ;   in Loop: Header=BB177_19 Depth=2
	ds_write_b32 v12, v5 offset:1024
	s_branch .LBB177_18
.LBB177_23:                             ;   in Loop: Header=BB177_14 Depth=1
	s_or_b64 exec, exec, s[24:25]
	s_and_saveexec_b64 s[24:25], s[6:7]
	s_cbranch_execz .LBB177_25
; %bb.24:                               ;   in Loop: Header=BB177_14 Depth=1
	v_mov_b32_e32 v12, s53
	ds_write_b32 v5, v12 offset:3200
.LBB177_25:                             ;   in Loop: Header=BB177_14 Depth=1
	s_or_b64 exec, exec, s[24:25]
	s_andn2_b64 vcc, exec, s[60:61]
	v_mov_b32_e32 v50, s53
	s_waitcnt lgkmcnt(0)
	s_barrier
	s_cbranch_vccnz .LBB177_61
; %bb.26:                               ;   in Loop: Header=BB177_14 Depth=1
	s_cmp_lg_u32 s43, 0
	s_cselect_b64 s[68:69], -1, 0
	v_mov_b32_e32 v50, s53
	s_mov_b64 s[70:71], s[34:35]
	s_branch .LBB177_28
.LBB177_27:                             ;   in Loop: Header=BB177_28 Depth=2
	s_or_b64 exec, exec, s[26:27]
	s_add_u32 s70, s70, 16
	s_addc_u32 s71, s71, 0
	v_pk_mov_b32 v[12:13], s[56:57], s[56:57] op_sel:[0,1]
	v_cmp_lt_i64_e32 vcc, s[70:71], v[12:13]
	s_cbranch_vccz .LBB177_61
.LBB177_28:                             ;   Parent Loop BB177_14 Depth=1
                                        ; =>  This Loop Header: Depth=2
                                        ;       Child Loop BB177_41 Depth 3
                                        ;         Child Loop BB177_50 Depth 4
                                        ;         Child Loop BB177_55 Depth 4
	v_mov_b32_e32 v13, s71
	v_add_co_u32_e32 v12, vcc, s70, v2
	v_addc_co_u32_e32 v13, vcc, 0, v13, vcc
	v_cmp_gt_i64_e64 s[24:25], s[56:57], v[12:13]
	s_barrier
	s_and_saveexec_b64 s[26:27], s[24:25]
	s_cbranch_execz .LBB177_32
; %bb.29:                               ;   in Loop: Header=BB177_28 Depth=2
	v_mov_b32_e32 v14, 0
	s_and_saveexec_b64 s[72:73], s[8:9]
	s_cbranch_execz .LBB177_31
; %bb.30:                               ;   in Loop: Header=BB177_28 Depth=2
	v_mad_u64_u32 v[14:15], s[74:75], v12, s42, 0
	v_mov_b32_e32 v16, v15
	v_mad_u64_u32 v[16:17], s[74:75], v13, s42, v[16:17]
	v_mov_b32_e32 v15, v16
	v_lshlrev_b64 v[14:15], 2, v[14:15]
	v_add_co_u32_e32 v14, vcc, v31, v14
	v_addc_co_u32_e32 v15, vcc, v32, v15, vcc
	global_load_dword v14, v[14:15], off
.LBB177_31:                             ;   in Loop: Header=BB177_28 Depth=2
	s_or_b64 exec, exec, s[72:73]
	s_waitcnt vmcnt(0)
	ds_write_b32 v30, v14
.LBB177_32:                             ;   in Loop: Header=BB177_28 Depth=2
	s_or_b64 exec, exec, s[26:27]
	v_pk_mov_b32 v[14:15], 0, 0
	s_waitcnt lgkmcnt(0)
	s_barrier
	s_and_saveexec_b64 s[72:73], s[24:25]
	s_cbranch_execz .LBB177_58
; %bb.33:                               ;   in Loop: Header=BB177_28 Depth=2
	v_lshlrev_b64 v[14:15], 2, v[12:13]
	v_mov_b32_e32 v16, s45
	v_add_co_u32_e32 v14, vcc, s44, v14
	v_addc_co_u32_e32 v15, vcc, v16, v15, vcc
	global_load_dword v14, v[14:15], off
	s_and_b64 vcc, exec, s[68:69]
	s_waitcnt vmcnt(0)
	v_subrev_u32_e32 v16, s28, v14
	v_ashrrev_i32_e32 v17, 31, v16
	s_cbranch_vccz .LBB177_60
; %bb.34:                               ;   in Loop: Header=BB177_28 Depth=2
	v_lshlrev_b64 v[14:15], 3, v[12:13]
	v_mov_b32_e32 v18, s59
	v_add_co_u32_e32 v14, vcc, s58, v14
	v_addc_co_u32_e32 v15, vcc, v18, v15, vcc
	global_load_dwordx2 v[14:15], v[14:15], off
	s_cbranch_execnz .LBB177_36
.LBB177_35:                             ;   in Loop: Header=BB177_28 Depth=2
	s_waitcnt vmcnt(0)
	v_lshlrev_b64 v[14:15], 3, v[16:17]
	v_mov_b32_e32 v18, s49
	v_add_co_u32_e32 v14, vcc, s48, v14
	v_addc_co_u32_e32 v15, vcc, v18, v15, vcc
	global_load_dwordx2 v[14:15], v[14:15], off
	v_mov_b32_e32 v18, s86
	s_waitcnt vmcnt(0)
	v_subrev_co_u32_e32 v14, vcc, s33, v14
	v_subb_co_u32_e32 v15, vcc, v15, v18, vcc
.LBB177_36:                             ;   in Loop: Header=BB177_28 Depth=2
	v_lshlrev_b64 v[16:17], 3, v[16:17]
	v_mov_b32_e32 v18, s88
	v_add_co_u32_e32 v16, vcc, s87, v16
	v_addc_co_u32_e32 v17, vcc, v18, v17, vcc
	global_load_dwordx2 v[16:17], v[16:17], off
	v_mov_b32_e32 v18, s86
	s_waitcnt vmcnt(0)
	v_subrev_co_u32_e32 v16, vcc, s33, v16
	v_subb_co_u32_e32 v17, vcc, v17, v18, vcc
	v_cmp_lt_i64_e32 vcc, v[14:15], v[16:17]
	s_and_saveexec_b64 s[74:75], vcc
	s_cbranch_execz .LBB177_57
; %bb.37:                               ;   in Loop: Header=BB177_28 Depth=2
	v_mad_u64_u32 v[18:19], s[26:27], s62, v14, v[6:7]
	v_mul_lo_u32 v22, s62, v15
	v_mul_lo_u32 v23, s63, v14
	v_mad_u64_u32 v[20:21], s[26:27], s62, v14, v[8:9]
	v_add3_u32 v19, v23, v19, v22
	v_add3_u32 v21, v23, v21, v22
	s_mov_b64 s[76:77], 0
	v_pk_mov_b32 v[22:23], v[14:15], v[14:15] op_sel:[0,1]
	s_branch .LBB177_41
.LBB177_38:                             ;   in Loop: Header=BB177_41 Depth=3
	v_lshlrev_b32_e32 v24, 4, v51
	v_or3_b32 v24, v24, v33, v28
	v_lshlrev_b32_e32 v24, 2, v24
	v_mul_f32_e32 v25, v26, v52
	ds_add_f32 v24, v25
.LBB177_39:                             ;   in Loop: Header=BB177_41 Depth=3
	s_or_b64 exec, exec, s[82:83]
	s_or_b64 s[78:79], s[78:79], exec
.LBB177_40:                             ;   in Loop: Header=BB177_41 Depth=3
	s_or_b64 exec, exec, s[80:81]
	v_add_co_u32_e32 v14, vcc, 1, v14
	v_addc_co_u32_e32 v15, vcc, 0, v15, vcc
	v_cmp_ge_i64_e32 vcc, v[14:15], v[16:17]
	s_xor_b64 s[26:27], s[78:79], -1
	s_or_b64 s[26:27], s[26:27], vcc
	v_mov_b32_e32 v24, s63
	v_add_co_u32_e32 v18, vcc, s62, v18
	v_addc_co_u32_e32 v19, vcc, v19, v24, vcc
	s_and_b64 s[26:27], exec, s[26:27]
	v_add_co_u32_e32 v20, vcc, s62, v20
	s_or_b64 s[76:77], s[26:27], s[76:77]
	v_addc_co_u32_e32 v21, vcc, v21, v24, vcc
	s_andn2_b64 exec, exec, s[76:77]
	s_cbranch_execz .LBB177_56
.LBB177_41:                             ;   Parent Loop BB177_14 Depth=1
                                        ;     Parent Loop BB177_28 Depth=2
                                        ; =>    This Loop Header: Depth=3
                                        ;         Child Loop BB177_50 Depth 4
                                        ;         Child Loop BB177_55 Depth 4
	v_lshlrev_b64 v[24:25], 2, v[14:15]
	v_mov_b32_e32 v51, s51
	v_add_co_u32_e32 v24, vcc, s50, v24
	v_addc_co_u32_e32 v25, vcc, v51, v25, vcc
	global_load_dword v24, v[24:25], off
                                        ; implicit-def: $sgpr78_sgpr79
	s_waitcnt vmcnt(0)
	v_subrev_u32_e32 v24, s29, v24
	v_cmp_gt_i32_e64 s[26:27], s43, v24
	v_cmp_ge_i32_e32 vcc, v24, v49
	s_or_b64 s[26:27], s[26:27], vcc
	s_and_saveexec_b64 s[80:81], s[26:27]
	s_xor_b64 s[26:27], exec, s[80:81]
	s_cbranch_execz .LBB177_45
; %bb.42:                               ;   in Loop: Header=BB177_41 Depth=3
	s_mov_b64 s[78:79], -1
	s_and_saveexec_b64 s[80:81], vcc
; %bb.43:                               ;   in Loop: Header=BB177_41 Depth=3
	v_min_i32_e32 v50, v24, v50
	s_xor_b64 s[78:79], exec, -1
	v_pk_mov_b32 v[22:23], v[14:15], v[14:15] op_sel:[0,1]
; %bb.44:                               ;   in Loop: Header=BB177_41 Depth=3
	s_or_b64 exec, exec, s[80:81]
	s_and_b64 s[78:79], s[78:79], exec
                                        ; implicit-def: $vgpr24
.LBB177_45:                             ;   in Loop: Header=BB177_41 Depth=3
	s_andn2_saveexec_b64 s[80:81], s[26:27]
	s_cbranch_execz .LBB177_40
; %bb.46:                               ;   in Loop: Header=BB177_41 Depth=3
	v_subrev_u32_e32 v51, s43, v24
	v_lshlrev_b32_e32 v24, 2, v51
	ds_write_b32 v24, v48 offset:3072
	s_and_saveexec_b64 s[82:83], s[8:9]
	s_cbranch_execz .LBB177_39
; %bb.47:                               ;   in Loop: Header=BB177_41 Depth=3
	v_cndmask_b32_e64 v24, 0, 1, s[46:47]
	s_andn2_b64 vcc, exec, s[40:41]
	v_cmp_ne_u32_e64 s[26:27], 1, v24
	s_cbranch_vccnz .LBB177_52
; %bb.48:                               ;   in Loop: Header=BB177_41 Depth=3
	v_mov_b32_e32 v52, 0
	s_and_b64 vcc, exec, s[26:27]
	s_cbranch_vccnz .LBB177_51
; %bb.49:                               ;   in Loop: Header=BB177_41 Depth=3
	v_pk_mov_b32 v[24:25], v[18:19], v[18:19] op_sel:[0,1]
	s_mov_b32 s55, s54
	v_mov_b32_e32 v53, v43
.LBB177_50:                             ;   Parent Loop BB177_14 Depth=1
                                        ;     Parent Loop BB177_28 Depth=2
                                        ;       Parent Loop BB177_41 Depth=3
                                        ; =>      This Inner Loop Header: Depth=4
	global_load_dword v54, v[24:25], off
	ds_read_b32 v55, v53
	s_add_i32 s55, s55, -1
	v_add_co_u32_e32 v24, vcc, 4, v24
	v_add_u32_e32 v53, 16, v53
	v_addc_co_u32_e32 v25, vcc, 0, v25, vcc
	s_cmp_lg_u32 s55, 0
	s_waitcnt vmcnt(0) lgkmcnt(0)
	v_fmac_f32_e32 v52, v55, v54
	s_cbranch_scc1 .LBB177_50
.LBB177_51:                             ;   in Loop: Header=BB177_41 Depth=3
	s_cbranch_execnz .LBB177_38
	s_branch .LBB177_53
.LBB177_52:                             ;   in Loop: Header=BB177_41 Depth=3
                                        ; implicit-def: $vgpr52
.LBB177_53:                             ;   in Loop: Header=BB177_41 Depth=3
	v_mov_b32_e32 v52, 0
	s_and_b64 vcc, exec, s[26:27]
	s_cbranch_vccnz .LBB177_38
; %bb.54:                               ;   in Loop: Header=BB177_41 Depth=3
	v_mov_b32_e32 v53, v46
	v_pk_mov_b32 v[24:25], v[20:21], v[20:21] op_sel:[0,1]
	s_mov_b32 s26, s54
.LBB177_55:                             ;   Parent Loop BB177_14 Depth=1
                                        ;     Parent Loop BB177_28 Depth=2
                                        ;       Parent Loop BB177_41 Depth=3
                                        ; =>      This Inner Loop Header: Depth=4
	global_load_dword v54, v[24:25], off
	ds_read_b32 v55, v53
	s_add_i32 s26, s26, -1
	v_mov_b32_e32 v56, s65
	v_add_co_u32_e32 v24, vcc, s64, v24
	v_add_u32_e32 v53, 4, v53
	v_addc_co_u32_e32 v25, vcc, v25, v56, vcc
	s_cmp_eq_u32 s26, 0
	s_waitcnt vmcnt(0) lgkmcnt(0)
	v_fmac_f32_e32 v52, v55, v54
	s_cbranch_scc0 .LBB177_55
	s_branch .LBB177_38
.LBB177_56:                             ;   in Loop: Header=BB177_28 Depth=2
	s_or_b64 exec, exec, s[76:77]
	v_pk_mov_b32 v[14:15], v[22:23], v[22:23] op_sel:[0,1]
.LBB177_57:                             ;   in Loop: Header=BB177_28 Depth=2
	s_or_b64 exec, exec, s[74:75]
.LBB177_58:                             ;   in Loop: Header=BB177_28 Depth=2
	s_or_b64 exec, exec, s[72:73]
	s_waitcnt lgkmcnt(0)
	s_barrier
	s_and_saveexec_b64 s[26:27], s[24:25]
	s_cbranch_execz .LBB177_27
; %bb.59:                               ;   in Loop: Header=BB177_28 Depth=2
	v_lshlrev_b64 v[12:13], 3, v[12:13]
	v_mov_b32_e32 v16, s59
	v_add_co_u32_e32 v12, vcc, s58, v12
	v_addc_co_u32_e32 v13, vcc, v16, v13, vcc
	global_store_dwordx2 v[12:13], v[14:15], off
	s_branch .LBB177_27
.LBB177_60:                             ;   in Loop: Header=BB177_28 Depth=2
                                        ; implicit-def: $vgpr14_vgpr15
	s_branch .LBB177_35
.LBB177_61:                             ;   in Loop: Header=BB177_14 Depth=1
	s_andn2_b64 vcc, exec, s[0:1]
	s_cbranch_vccnz .LBB177_73
; %bb.62:                               ;   in Loop: Header=BB177_14 Depth=1
	s_load_dwordx4 s[24:27], s[36:37], 0x0
	s_waitcnt lgkmcnt(0)
	s_sub_u32 s68, s26, s52
	v_mov_b32_e32 v12, s25
	v_add_co_u32_e32 v16, vcc, s24, v34
	s_subb_u32 s69, s27, 0
	v_addc_co_u32_e32 v17, vcc, v12, v35, vcc
	v_cmp_gt_i64_e32 vcc, s[68:69], v[16:17]
	s_and_saveexec_b64 s[70:71], vcc
	s_cbranch_execz .LBB177_72
; %bb.63:                               ;   in Loop: Header=BB177_14 Depth=1
	v_lshlrev_b64 v[12:13], 2, v[16:17]
	v_mov_b32_e32 v14, s39
	v_add_co_u32_e32 v12, vcc, s38, v12
	v_addc_co_u32_e32 v13, vcc, v14, v13, vcc
	v_mad_u64_u32 v[14:15], s[26:27], s62, v16, v[0:1]
	v_mul_lo_u32 v17, s62, v17
	v_mul_lo_u32 v16, s63, v16
	v_add3_u32 v15, v16, v15, v17
	v_mov_b32_e32 v17, s25
	v_add_co_u32_e32 v16, vcc, s24, v44
	v_addc_co_u32_e32 v17, vcc, v45, v17, vcc
	s_mov_b64 s[72:73], 0
	s_branch .LBB177_66
.LBB177_64:                             ;   in Loop: Header=BB177_66 Depth=2
	s_or_b64 exec, exec, s[74:75]
	s_or_b64 s[24:25], s[24:25], exec
.LBB177_65:                             ;   in Loop: Header=BB177_66 Depth=2
	s_or_b64 exec, exec, s[26:27]
	v_cmp_le_i64_e32 vcc, s[68:69], v[16:17]
	s_xor_b64 s[24:25], s[24:25], -1
	s_or_b64 s[24:25], s[24:25], vcc
	v_add_co_u32_e32 v12, vcc, 64, v12
	v_addc_co_u32_e32 v13, vcc, 0, v13, vcc
	v_mov_b32_e32 v18, s67
	v_add_co_u32_e32 v14, vcc, s66, v14
	v_addc_co_u32_e32 v15, vcc, v15, v18, vcc
	s_and_b64 s[24:25], exec, s[24:25]
	v_add_co_u32_e32 v16, vcc, 16, v16
	s_or_b64 s[72:73], s[24:25], s[72:73]
	v_addc_co_u32_e32 v17, vcc, 0, v17, vcc
	s_andn2_b64 exec, exec, s[72:73]
	s_cbranch_execz .LBB177_71
.LBB177_66:                             ;   Parent Loop BB177_14 Depth=1
                                        ; =>  This Inner Loop Header: Depth=2
	global_load_dword v18, v[12:13], off
	s_waitcnt vmcnt(0)
	v_subrev_u32_e32 v18, s31, v18
	v_cmp_gt_i32_e64 s[24:25], s43, v18
	v_cmp_ge_i32_e64 s[26:27], v18, v49
	v_cmp_lt_i32_e32 vcc, v18, v49
	s_or_b64 s[26:27], s[24:25], s[26:27]
                                        ; implicit-def: $sgpr24_sgpr25
	s_and_saveexec_b64 s[74:75], s[26:27]
	s_xor_b64 s[26:27], exec, s[74:75]
; %bb.67:                               ;   in Loop: Header=BB177_66 Depth=2
	v_min_i32_e32 v18, v18, v50
	v_cndmask_b32_e32 v50, v18, v50, vcc
	s_and_b64 s[24:25], vcc, exec
                                        ; implicit-def: $vgpr18
; %bb.68:                               ;   in Loop: Header=BB177_66 Depth=2
	s_andn2_saveexec_b64 s[26:27], s[26:27]
	s_cbranch_execz .LBB177_65
; %bb.69:                               ;   in Loop: Header=BB177_66 Depth=2
	v_subrev_u32_e32 v18, s43, v18
	v_lshlrev_b32_e32 v19, 2, v18
	ds_write_b32 v19, v48 offset:3072
	s_and_saveexec_b64 s[74:75], s[8:9]
	s_cbranch_execz .LBB177_64
; %bb.70:                               ;   in Loop: Header=BB177_66 Depth=2
	global_load_dword v19, v[14:15], off
	v_lshlrev_b32_e32 v18, 4, v18
	v_or3_b32 v18, v18, v33, v28
	v_lshlrev_b32_e32 v18, 2, v18
	s_waitcnt vmcnt(0)
	v_mul_f32_e32 v19, v27, v19
	ds_add_f32 v18, v19
	s_branch .LBB177_64
.LBB177_71:                             ;   in Loop: Header=BB177_14 Depth=1
	s_or_b64 exec, exec, s[72:73]
.LBB177_72:                             ;   in Loop: Header=BB177_14 Depth=1
	s_or_b64 exec, exec, s[70:71]
.LBB177_73:                             ;   in Loop: Header=BB177_14 Depth=1
	s_and_saveexec_b64 s[24:25], s[10:11]
	s_cbranch_execz .LBB177_78
; %bb.74:                               ;   in Loop: Header=BB177_14 Depth=1
	s_mov_b64 s[26:27], exec
	s_brev_b32 s55, -2
.LBB177_75:                             ;   Parent Loop BB177_14 Depth=1
                                        ; =>  This Inner Loop Header: Depth=2
	s_ff1_i32_b64 s68, s[26:27]
	v_readlane_b32 s70, v50, s68
	s_lshl_b64 s[68:69], 1, s68
	s_min_i32 s55, s55, s70
	s_andn2_b64 s[26:27], s[26:27], s[68:69]
	s_cmp_lg_u64 s[26:27], 0
	s_cbranch_scc1 .LBB177_75
; %bb.76:                               ;   in Loop: Header=BB177_14 Depth=1
	v_mbcnt_lo_u32_b32 v12, exec_lo, 0
	v_mbcnt_hi_u32_b32 v12, exec_hi, v12
	v_cmp_eq_u32_e32 vcc, 0, v12
	s_and_saveexec_b64 s[26:27], vcc
	s_xor_b64 s[26:27], exec, s[26:27]
	s_cbranch_execz .LBB177_78
; %bb.77:                               ;   in Loop: Header=BB177_14 Depth=1
	v_mov_b32_e32 v12, s55
	ds_min_i32 v5, v12 offset:3200
.LBB177_78:                             ;   in Loop: Header=BB177_14 Depth=1
	s_or_b64 exec, exec, s[24:25]
	s_waitcnt lgkmcnt(0)
	s_barrier
	ds_read_b32 v12, v36
	s_waitcnt lgkmcnt(0)
	s_barrier
	s_and_saveexec_b64 s[24:25], s[14:15]
	s_cbranch_execz .LBB177_80
; %bb.79:                               ;   in Loop: Header=BB177_14 Depth=1
	ds_read_b32 v13, v37
	s_waitcnt lgkmcnt(0)
	v_add_u32_e32 v12, v13, v12
.LBB177_80:                             ;   in Loop: Header=BB177_14 Depth=1
	s_or_b64 exec, exec, s[24:25]
	s_barrier
	ds_write_b32 v36, v12
	s_waitcnt lgkmcnt(0)
	s_barrier
	s_and_saveexec_b64 s[24:25], s[16:17]
	s_cbranch_execz .LBB177_82
; %bb.81:                               ;   in Loop: Header=BB177_14 Depth=1
	ds_read_b32 v13, v39
	s_waitcnt lgkmcnt(0)
	v_add_u32_e32 v12, v13, v12
.LBB177_82:                             ;   in Loop: Header=BB177_14 Depth=1
	s_or_b64 exec, exec, s[24:25]
	s_barrier
	ds_write_b32 v36, v12
	;; [unrolled: 12-line block ×5, first 2 shown]
	s_waitcnt lgkmcnt(0)
	s_barrier
	ds_read_b32 v14, v5 offset:3196
	v_mov_b32_e32 v13, 0
	s_and_saveexec_b64 s[24:25], s[12:13]
	s_cbranch_execz .LBB177_90
; %bb.89:                               ;   in Loop: Header=BB177_14 Depth=1
	ds_read_b32 v13, v37
.LBB177_90:                             ;   in Loop: Header=BB177_14 Depth=1
	s_or_b64 exec, exec, s[24:25]
	s_waitcnt lgkmcnt(0)
	v_cmp_eq_u32_e32 vcc, v12, v13
	s_and_b64 s[26:27], s[12:13], vcc
	s_barrier
	s_and_saveexec_b64 s[24:25], s[26:27]
	s_cbranch_execz .LBB177_92
; %bb.91:                               ;   in Loop: Header=BB177_14 Depth=1
	ds_write_b32 v36, v5
.LBB177_92:                             ;   in Loop: Header=BB177_14 Depth=1
	s_or_b64 exec, exec, s[24:25]
	s_waitcnt lgkmcnt(0)
	s_barrier
	s_and_saveexec_b64 s[24:25], s[4:5]
	s_cbranch_execz .LBB177_13
; %bb.93:                               ;   in Loop: Header=BB177_14 Depth=1
	v_add_co_u32_e32 v15, vcc, -1, v10
	v_addc_co_u32_e32 v16, vcc, -1, v11, vcc
	s_add_i32 s43, s30, s43
	s_mov_b64 s[26:27], 0
	v_mov_b32_e32 v17, v47
	v_mov_b32_e32 v18, v29
	;; [unrolled: 1-line block ×3, first 2 shown]
	s_branch .LBB177_95
.LBB177_94:                             ;   in Loop: Header=BB177_95 Depth=2
	s_or_b64 exec, exec, s[68:69]
	v_add_u32_e32 v12, 16, v19
	v_cmp_lt_u32_e32 vcc, 15, v19
	v_add_u32_e32 v18, 0x400, v18
	v_add_u32_e32 v17, 64, v17
	s_or_b64 s[26:27], vcc, s[26:27]
	v_mov_b32_e32 v19, v12
	s_andn2_b64 exec, exec, s[26:27]
	s_cbranch_execz .LBB177_13
.LBB177_95:                             ;   Parent Loop BB177_14 Depth=1
                                        ; =>  This Inner Loop Header: Depth=2
	ds_read_b32 v12, v17
	s_waitcnt lgkmcnt(0)
	v_cmp_ne_u32_e32 vcc, 0, v12
	s_and_saveexec_b64 s[68:69], vcc
	s_cbranch_execz .LBB177_94
; %bb.96:                               ;   in Loop: Header=BB177_95 Depth=2
	v_ashrrev_i32_e32 v13, 31, v12
	v_add_co_u32_e32 v20, vcc, v10, v12
	v_addc_co_u32_e32 v21, vcc, v11, v13, vcc
	v_lshlrev_b64 v[20:21], 2, v[20:21]
	v_mov_b32_e32 v23, s90
	v_add_co_u32_e32 v20, vcc, s89, v20
	v_add_u32_e32 v22, s43, v19
	v_addc_co_u32_e32 v21, vcc, v23, v21, vcc
	global_store_dword v[20:21], v22, off
	s_and_b64 exec, exec, s[8:9]
	s_cbranch_execz .LBB177_94
; %bb.97:                               ;   in Loop: Header=BB177_95 Depth=2
	v_add_co_u32_e32 v12, vcc, v15, v12
	v_addc_co_u32_e32 v21, vcc, v16, v13, vcc
	v_mad_u64_u32 v[12:13], s[70:71], v12, s42, 0
	v_mov_b32_e32 v20, v13
	ds_read_b32 v22, v18
	v_mad_u64_u32 v[20:21], s[70:71], v21, s42, v[20:21]
	v_mov_b32_e32 v13, v20
	v_lshlrev_b64 v[12:13], 2, v[12:13]
	v_add_co_u32_e32 v12, vcc, v4, v12
	v_addc_co_u32_e32 v13, vcc, v3, v13, vcc
	s_waitcnt lgkmcnt(0)
	global_store_dword v[12:13], v22, off
	s_branch .LBB177_94
.LBB177_98:
	s_endpgm
	.section	.rodata,"a",@progbits
	.p2align	6, 0x0
	.amdhsa_kernel _ZN9rocsparseL38bsrgemm_block_per_row_atomic_multipassILj256ELj32ELj4ElifEEv20rocsparse_direction_T3_S2_PKS2_S4_NS_24const_host_device_scalarIT4_EEPKT2_S4_PKS6_SA_S4_SC_S7_SA_S4_SC_SA_PS2_PS6_PS8_21rocsparse_index_base_SG_SG_SG_bbb
		.amdhsa_group_segment_fixed_size 3204
		.amdhsa_private_segment_fixed_size 0
		.amdhsa_kernarg_size 172
		.amdhsa_user_sgpr_count 6
		.amdhsa_user_sgpr_private_segment_buffer 1
		.amdhsa_user_sgpr_dispatch_ptr 0
		.amdhsa_user_sgpr_queue_ptr 0
		.amdhsa_user_sgpr_kernarg_segment_ptr 1
		.amdhsa_user_sgpr_dispatch_id 0
		.amdhsa_user_sgpr_flat_scratch_init 0
		.amdhsa_user_sgpr_kernarg_preload_length 0
		.amdhsa_user_sgpr_kernarg_preload_offset 0
		.amdhsa_user_sgpr_private_segment_size 0
		.amdhsa_uses_dynamic_stack 0
		.amdhsa_system_sgpr_private_segment_wavefront_offset 0
		.amdhsa_system_sgpr_workgroup_id_x 1
		.amdhsa_system_sgpr_workgroup_id_y 0
		.amdhsa_system_sgpr_workgroup_id_z 0
		.amdhsa_system_sgpr_workgroup_info 0
		.amdhsa_system_vgpr_workitem_id 0
		.amdhsa_next_free_vgpr 57
		.amdhsa_next_free_sgpr 91
		.amdhsa_accum_offset 60
		.amdhsa_reserve_vcc 1
		.amdhsa_reserve_flat_scratch 0
		.amdhsa_float_round_mode_32 0
		.amdhsa_float_round_mode_16_64 0
		.amdhsa_float_denorm_mode_32 3
		.amdhsa_float_denorm_mode_16_64 3
		.amdhsa_dx10_clamp 1
		.amdhsa_ieee_mode 1
		.amdhsa_fp16_overflow 0
		.amdhsa_tg_split 0
		.amdhsa_exception_fp_ieee_invalid_op 0
		.amdhsa_exception_fp_denorm_src 0
		.amdhsa_exception_fp_ieee_div_zero 0
		.amdhsa_exception_fp_ieee_overflow 0
		.amdhsa_exception_fp_ieee_underflow 0
		.amdhsa_exception_fp_ieee_inexact 0
		.amdhsa_exception_int_div_zero 0
	.end_amdhsa_kernel
	.section	.text._ZN9rocsparseL38bsrgemm_block_per_row_atomic_multipassILj256ELj32ELj4ElifEEv20rocsparse_direction_T3_S2_PKS2_S4_NS_24const_host_device_scalarIT4_EEPKT2_S4_PKS6_SA_S4_SC_S7_SA_S4_SC_SA_PS2_PS6_PS8_21rocsparse_index_base_SG_SG_SG_bbb,"axG",@progbits,_ZN9rocsparseL38bsrgemm_block_per_row_atomic_multipassILj256ELj32ELj4ElifEEv20rocsparse_direction_T3_S2_PKS2_S4_NS_24const_host_device_scalarIT4_EEPKT2_S4_PKS6_SA_S4_SC_S7_SA_S4_SC_SA_PS2_PS6_PS8_21rocsparse_index_base_SG_SG_SG_bbb,comdat
.Lfunc_end177:
	.size	_ZN9rocsparseL38bsrgemm_block_per_row_atomic_multipassILj256ELj32ELj4ElifEEv20rocsparse_direction_T3_S2_PKS2_S4_NS_24const_host_device_scalarIT4_EEPKT2_S4_PKS6_SA_S4_SC_S7_SA_S4_SC_SA_PS2_PS6_PS8_21rocsparse_index_base_SG_SG_SG_bbb, .Lfunc_end177-_ZN9rocsparseL38bsrgemm_block_per_row_atomic_multipassILj256ELj32ELj4ElifEEv20rocsparse_direction_T3_S2_PKS2_S4_NS_24const_host_device_scalarIT4_EEPKT2_S4_PKS6_SA_S4_SC_S7_SA_S4_SC_SA_PS2_PS6_PS8_21rocsparse_index_base_SG_SG_SG_bbb
                                        ; -- End function
	.section	.AMDGPU.csdata,"",@progbits
; Kernel info:
; codeLenInByte = 3328
; NumSgprs: 95
; NumVgprs: 57
; NumAgprs: 0
; TotalNumVgprs: 57
; ScratchSize: 0
; MemoryBound: 0
; FloatMode: 240
; IeeeMode: 1
; LDSByteSize: 3204 bytes/workgroup (compile time only)
; SGPRBlocks: 11
; VGPRBlocks: 7
; NumSGPRsForWavesPerEU: 95
; NumVGPRsForWavesPerEU: 57
; AccumOffset: 60
; Occupancy: 8
; WaveLimiterHint : 1
; COMPUTE_PGM_RSRC2:SCRATCH_EN: 0
; COMPUTE_PGM_RSRC2:USER_SGPR: 6
; COMPUTE_PGM_RSRC2:TRAP_HANDLER: 0
; COMPUTE_PGM_RSRC2:TGID_X_EN: 1
; COMPUTE_PGM_RSRC2:TGID_Y_EN: 0
; COMPUTE_PGM_RSRC2:TGID_Z_EN: 0
; COMPUTE_PGM_RSRC2:TIDIG_COMP_CNT: 0
; COMPUTE_PGM_RSRC3_GFX90A:ACCUM_OFFSET: 14
; COMPUTE_PGM_RSRC3_GFX90A:TG_SPLIT: 0
	.section	.text._ZN9rocsparseL38bsrgemm_block_per_row_atomic_multipassILj256ELj64ELj4ElifEEv20rocsparse_direction_T3_S2_PKS2_S4_NS_24const_host_device_scalarIT4_EEPKT2_S4_PKS6_SA_S4_SC_S7_SA_S4_SC_SA_PS2_PS6_PS8_21rocsparse_index_base_SG_SG_SG_bbb,"axG",@progbits,_ZN9rocsparseL38bsrgemm_block_per_row_atomic_multipassILj256ELj64ELj4ElifEEv20rocsparse_direction_T3_S2_PKS2_S4_NS_24const_host_device_scalarIT4_EEPKT2_S4_PKS6_SA_S4_SC_S7_SA_S4_SC_SA_PS2_PS6_PS8_21rocsparse_index_base_SG_SG_SG_bbb,comdat
	.globl	_ZN9rocsparseL38bsrgemm_block_per_row_atomic_multipassILj256ELj64ELj4ElifEEv20rocsparse_direction_T3_S2_PKS2_S4_NS_24const_host_device_scalarIT4_EEPKT2_S4_PKS6_SA_S4_SC_S7_SA_S4_SC_SA_PS2_PS6_PS8_21rocsparse_index_base_SG_SG_SG_bbb ; -- Begin function _ZN9rocsparseL38bsrgemm_block_per_row_atomic_multipassILj256ELj64ELj4ElifEEv20rocsparse_direction_T3_S2_PKS2_S4_NS_24const_host_device_scalarIT4_EEPKT2_S4_PKS6_SA_S4_SC_S7_SA_S4_SC_SA_PS2_PS6_PS8_21rocsparse_index_base_SG_SG_SG_bbb
	.p2align	8
	.type	_ZN9rocsparseL38bsrgemm_block_per_row_atomic_multipassILj256ELj64ELj4ElifEEv20rocsparse_direction_T3_S2_PKS2_S4_NS_24const_host_device_scalarIT4_EEPKT2_S4_PKS6_SA_S4_SC_S7_SA_S4_SC_SA_PS2_PS6_PS8_21rocsparse_index_base_SG_SG_SG_bbb,@function
_ZN9rocsparseL38bsrgemm_block_per_row_atomic_multipassILj256ELj64ELj4ElifEEv20rocsparse_direction_T3_S2_PKS2_S4_NS_24const_host_device_scalarIT4_EEPKT2_S4_PKS6_SA_S4_SC_S7_SA_S4_SC_SA_PS2_PS6_PS8_21rocsparse_index_base_SG_SG_SG_bbb: ; @_ZN9rocsparseL38bsrgemm_block_per_row_atomic_multipassILj256ELj64ELj4ElifEEv20rocsparse_direction_T3_S2_PKS2_S4_NS_24const_host_device_scalarIT4_EEPKT2_S4_PKS6_SA_S4_SC_S7_SA_S4_SC_SA_PS2_PS6_PS8_21rocsparse_index_base_SG_SG_SG_bbb
; %bb.0:
	s_load_dword s7, s[4:5], 0xa8
	s_load_dwordx4 s[28:31], s[4:5], 0x98
	s_load_dwordx2 s[0:1], s[4:5], 0x20
	s_load_dwordx2 s[8:9], s[4:5], 0x58
	s_waitcnt lgkmcnt(0)
	s_bitcmp1_b32 s7, 0
	s_cselect_b64 s[12:13], -1, 0
	s_bitcmp1_b32 s7, 16
	s_cselect_b64 s[10:11], -1, 0
	s_xor_b64 s[2:3], s[12:13], -1
	s_or_b64 s[2:3], s[2:3], s[10:11]
	s_and_b64 vcc, exec, s[2:3]
	s_cbranch_vccnz .LBB178_2
; %bb.1:
	s_load_dword s0, s[0:1], 0x0
	s_waitcnt lgkmcnt(0)
	v_mov_b32_e32 v28, s0
	s_branch .LBB178_3
.LBB178_2:
	v_mov_b32_e32 v1, s0
	v_cndmask_b32_e64 v28, 0, v1, s[12:13]
.LBB178_3:
	s_load_dwordx2 s[2:3], s[4:5], 0x18
	s_bitcmp1_b32 s7, 8
	s_cselect_b64 s[0:1], -1, 0
	s_xor_b64 s[14:15], s[0:1], -1
	s_or_b64 s[10:11], s[14:15], s[10:11]
	s_and_b64 vcc, exec, s[10:11]
	s_cbranch_vccnz .LBB178_5
; %bb.4:
	s_load_dword s7, s[8:9], 0x0
	s_waitcnt lgkmcnt(0)
	v_mov_b32_e32 v29, s7
	s_load_dwordx2 s[8:9], s[4:5], 0x28
	s_cmp_eq_u64 s[2:3], 0
	s_mov_b64 s[34:35], 0
	s_cbranch_scc0 .LBB178_6
	s_branch .LBB178_7
.LBB178_5:
	v_mov_b32_e32 v1, s8
	v_cndmask_b32_e64 v29, 0, v1, s[0:1]
	s_load_dwordx2 s[8:9], s[4:5], 0x28
	s_waitcnt lgkmcnt(0)
	s_cmp_eq_u64 s[2:3], 0
	s_mov_b64 s[34:35], 0
	s_cbranch_scc1 .LBB178_7
.LBB178_6:
	s_load_dwordx2 s[10:11], s[4:5], 0x10
	s_waitcnt lgkmcnt(0)
	s_load_dword s7, s[10:11], 0x0
	s_waitcnt lgkmcnt(0)
	s_add_i32 s6, s7, s6
	s_mov_b32 s7, 0
	s_lshl_b64 s[6:7], s[6:7], 2
	s_add_u32 s2, s2, s6
	s_addc_u32 s3, s3, s7
	s_load_dword s6, s[2:3], 0x0
.LBB178_7:
	v_cndmask_b32_e64 v1, 0, 1, s[12:13]
	v_cmp_ne_u32_e64 s[2:3], 1, v1
	s_andn2_b64 vcc, exec, s[12:13]
	s_cbranch_vccz .LBB178_10
; %bb.8:
	s_and_b64 vcc, exec, s[2:3]
	s_mov_b64 s[56:57], 0
	s_cbranch_vccz .LBB178_11
.LBB178_9:
	s_load_dwordx4 s[52:55], s[4:5], 0x0
	s_waitcnt lgkmcnt(0)
	s_cmp_lt_i32 s53, 1
	s_cbranch_scc0 .LBB178_12
	s_branch .LBB178_98
.LBB178_10:
	s_waitcnt lgkmcnt(0)
	s_ashr_i32 s7, s6, 31
	s_lshl_b64 s[10:11], s[6:7], 3
	s_add_u32 s10, s8, s10
	s_addc_u32 s11, s9, s11
	s_load_dwordx2 s[10:11], s[10:11], 0x0
	s_waitcnt lgkmcnt(0)
	s_sub_u32 s34, s10, s28
	s_subb_u32 s35, s11, 0
	s_and_b64 vcc, exec, s[2:3]
	s_mov_b64 s[56:57], 0
	s_cbranch_vccnz .LBB178_9
.LBB178_11:
	s_waitcnt lgkmcnt(0)
	s_ashr_i32 s7, s6, 31
	s_lshl_b64 s[2:3], s[6:7], 3
	s_add_u32 s2, s8, s2
	s_addc_u32 s3, s9, s3
	s_load_dwordx2 s[2:3], s[2:3], 0x8
	s_waitcnt lgkmcnt(0)
	s_sub_u32 s56, s2, s28
	s_subb_u32 s57, s3, 0
	s_load_dwordx4 s[52:55], s[4:5], 0x0
	s_waitcnt lgkmcnt(0)
	s_cmp_lt_i32 s53, 1
	s_cbranch_scc1 .LBB178_98
.LBB178_12:
	s_load_dwordx2 s[58:59], s[4:5], 0x90
	s_load_dwordx4 s[20:23], s[4:5], 0x80
	s_load_dwordx8 s[36:43], s[4:5], 0x60
	s_load_dwordx2 s[26:27], s[4:5], 0x50
	s_load_dwordx8 s[44:51], s[4:5], 0x30
	v_and_b32_e32 v30, 3, v0
	v_bfe_u32 v3, v0, 2, 2
	v_pk_mov_b32 v[4:5], s[56:57], s[56:57] op_sel:[0,1]
	s_ashr_i32 s7, s6, 31
	v_cmp_lt_i64_e32 vcc, s[34:35], v[4:5]
	v_max_i32_e32 v4, v30, v3
	s_lshl_b64 s[10:11], s[6:7], 3
	v_mov_b32_e32 v5, 0
	v_cmp_gt_i32_e64 s[6:7], s54, v4
	v_mul_lo_u32 v4, v3, s54
	v_lshlrev_b64 v[6:7], 2, v[4:5]
	s_waitcnt lgkmcnt(0)
	v_mov_b32_e32 v3, s47
	v_add_co_u32_e64 v4, s[8:9], s46, v6
	v_addc_co_u32_e64 v3, s[8:9], v3, v7, s[8:9]
	v_lshlrev_b32_e32 v10, 2, v30
	v_add_co_u32_e64 v33, s[8:9], v4, v10
	v_mul_lo_u32 v4, v30, s54
	v_addc_co_u32_e64 v34, s[8:9], 0, v3, s[8:9]
	v_lshlrev_b64 v[8:9], 2, v[4:5]
	v_mov_b32_e32 v3, s23
	v_add_co_u32_e64 v4, s[8:9], s22, v8
	v_and_b32_e32 v35, 12, v0
	v_addc_co_u32_e64 v11, s[8:9], v3, v9, s[8:9]
	v_add_co_u32_e64 v4, s[8:9], v4, v35
	v_addc_co_u32_e64 v11, s[8:9], 0, v11, s[8:9]
	v_add_co_u32_e64 v12, s[8:9], s22, v6
	;; [unrolled: 2-line block ×3, first 2 shown]
	s_add_u32 s2, s42, s10
	v_lshrrev_b32_e32 v2, 4, v0
	v_addc_co_u32_e64 v3, s[8:9], 0, v3, s[8:9]
	s_addc_u32 s3, s43, s11
	v_subrev_co_u32_e64 v36, s[8:9], s31, v2
	s_load_dwordx2 s[2:3], s[2:3], 0x0
	v_subb_co_u32_e64 v37, s[8:9], 0, 0, s[8:9]
	v_mov_b32_e32 v13, s41
	v_add_co_u32_e64 v14, s[8:9], s40, v8
	v_addc_co_u32_e64 v15, s[8:9], v13, v9, s[8:9]
	v_add_co_u32_e64 v14, s[8:9], v14, v35
	v_addc_co_u32_e64 v15, s[8:9], 0, v15, s[8:9]
	s_waitcnt lgkmcnt(0)
	s_sub_u32 s66, s2, s30
	v_add_co_u32_e64 v6, s[8:9], s40, v6
	s_subb_u32 s67, s3, 0
	v_addc_co_u32_e64 v7, s[8:9], v13, v7, s[8:9]
	s_cmp_eq_u32 s52, 0
	v_add_co_u32_e64 v6, s[8:9], v6, v10
	v_and_b32_e32 v1, 15, v0
	v_cmp_gt_u32_e64 s[2:3], 64, v0
	v_cmp_eq_u32_e64 s[4:5], 0, v0
	v_lshlrev_b32_e32 v31, 2, v0
	s_cselect_b64 s[24:25], -1, 0
	s_cmp_lg_u32 s52, 0
	v_addc_co_u32_e64 v7, s[8:9], 0, v7, s[8:9]
	v_and_b32_e32 v0, 63, v0
	s_cselect_b64 s[46:47], -1, 0
	s_cmp_gt_i32 s54, 0
	v_cmp_eq_u32_e64 s[8:9], 15, v1
	v_lshlrev_b32_e32 v1, 2, v0
	s_movk_i32 s55, 0x1000
	s_cselect_b64 s[60:61], -1, 0
	s_add_u32 s36, s36, s10
	v_or_b32_e32 v38, 0x1400, v1
	v_add_u32_e32 v41, 0x13f8, v1
	v_add_u32_e32 v42, 0x13f0, v1
	;; [unrolled: 1-line block ×5, first 2 shown]
	v_cndmask_b32_e64 v1, v11, v3, s[24:25]
	v_lshlrev_b32_e32 v3, 6, v2
	s_addc_u32 s37, s37, s11
	s_and_b64 s[40:41], s[12:13], vcc
	v_or3_b32 v46, v3, v35, s55
	v_mov_b32_e32 v3, s27
	v_add_co_u32_e32 v8, vcc, s26, v8
	v_addc_co_u32_e32 v9, vcc, v3, v9, vcc
	s_add_u32 s87, s48, 8
	v_add_co_u32_e32 v10, vcc, s26, v10
	s_mov_b32 s43, 0
	s_addc_u32 s88, s49, 0
	v_addc_co_u32_e32 v11, vcc, 0, v3, vcc
	s_mul_i32 s42, s54, s54
	v_add_co_u32_e64 v13, s[10:11], -1, v0
	v_mov_b32_e32 v16, 0x1400
	s_add_u32 s89, s20, -4
	s_mov_b32 s55, s43
	v_add_co_u32_e32 v47, vcc, 16, v36
	v_and_b32_e32 v3, 0x3f0, v31
	v_or_b32_e32 v32, 0x1000, v31
	s_mov_b32 s33, s29
	s_mov_b32 s86, s43
	;; [unrolled: 1-line block ×3, first 2 shown]
	v_lshl_add_u32 v39, v13, 2, v16
	v_or_b32_e32 v40, 0x1400, v31
	v_cmp_ne_u32_e64 s[12:13], 0, v0
	v_cmp_lt_u32_e64 s[14:15], 1, v0
	v_cmp_lt_u32_e64 s[16:17], 3, v0
	;; [unrolled: 1-line block ×3, first 2 shown]
	s_addc_u32 s90, s21, -1
	v_cmp_lt_u32_e64 s[20:21], 15, v0
	v_cmp_lt_u32_e64 s[22:23], 31, v0
	v_cndmask_b32_e64 v0, v4, v12, s[24:25]
	v_cndmask_b32_e64 v7, v15, v7, s[24:25]
	;; [unrolled: 1-line block ×3, first 2 shown]
	s_lshl_b64 s[62:63], s[42:43], 2
	v_addc_co_u32_e32 v48, vcc, 0, v37, vcc
	s_lshl_b64 s[64:65], s[54:55], 2
	v_or_b32_e32 v49, 0x1000, v3
	v_pk_mov_b32 v[12:13], s[66:67], s[66:67] op_sel:[0,1]
	s_lshl_b64 s[66:67], s[42:43], 6
	v_lshl_or_b32 v50, v2, 2, v16
	v_mov_b32_e32 v3, 64
	v_mov_b32_e32 v51, 1
	s_branch .LBB178_14
.LBB178_13:                             ;   in Loop: Header=BB178_14 Depth=1
	s_or_b64 exec, exec, s[24:25]
	s_barrier
	ds_read_b32 v4, v5 offset:5376
	v_ashrrev_i32_e32 v3, 31, v14
	v_add_co_u32_e32 v12, vcc, v12, v14
	v_addc_co_u32_e32 v13, vcc, v13, v3, vcc
	s_waitcnt lgkmcnt(0)
	v_cmp_le_i32_e32 vcc, s53, v4
	v_readfirstlane_b32 s43, v4
	v_add_u32_e32 v3, 64, v4
	s_barrier
	s_cbranch_vccnz .LBB178_98
.LBB178_14:                             ; =>This Loop Header: Depth=1
                                        ;     Child Loop BB178_18 Depth 2
                                        ;     Child Loop BB178_27 Depth 2
                                        ;       Child Loop BB178_40 Depth 3
                                        ;         Child Loop BB178_49 Depth 4
                                        ;         Child Loop BB178_54 Depth 4
                                        ;     Child Loop BB178_65 Depth 2
                                        ;     Child Loop BB178_74 Depth 2
	;; [unrolled: 1-line block ×3, first 2 shown]
	s_and_saveexec_b64 s[24:25], s[2:3]
	s_cbranch_execz .LBB178_16
; %bb.15:                               ;   in Loop: Header=BB178_14 Depth=1
	ds_write_b32 v40, v5
.LBB178_16:                             ;   in Loop: Header=BB178_14 Depth=1
	s_or_b64 exec, exec, s[24:25]
	s_mov_b32 s55, 0
	s_mov_b64 s[24:25], 0
	v_mov_b32_e32 v4, v31
	s_branch .LBB178_18
.LBB178_17:                             ;   in Loop: Header=BB178_18 Depth=2
	s_or_b64 exec, exec, s[68:69]
	s_add_i32 s55, s55, 2
	v_cmp_eq_u32_e64 s[26:27], 4, s55
	s_or_b64 s[24:25], s[26:27], s[24:25]
	v_add_u32_e32 v4, 0x800, v4
	s_andn2_b64 exec, exec, s[24:25]
	s_cbranch_execz .LBB178_22
.LBB178_18:                             ;   Parent Loop BB178_14 Depth=1
                                        ; =>  This Inner Loop Header: Depth=2
	s_or_b32 s26, s55, 1
	v_cmp_le_u32_e64 s[26:27], s26, 3
	v_cmp_le_u32_e64 s[70:71], s55, 3
	s_and_saveexec_b64 s[68:69], s[70:71]
	s_cbranch_execz .LBB178_20
; %bb.19:                               ;   in Loop: Header=BB178_18 Depth=2
	ds_write_b32 v4, v5
.LBB178_20:                             ;   in Loop: Header=BB178_18 Depth=2
	s_or_b64 exec, exec, s[68:69]
	s_and_saveexec_b64 s[68:69], s[26:27]
	s_cbranch_execz .LBB178_17
; %bb.21:                               ;   in Loop: Header=BB178_18 Depth=2
	ds_write_b32 v4, v5 offset:1024
	s_branch .LBB178_17
.LBB178_22:                             ;   in Loop: Header=BB178_14 Depth=1
	s_or_b64 exec, exec, s[24:25]
	s_and_saveexec_b64 s[24:25], s[4:5]
	s_cbranch_execz .LBB178_24
; %bb.23:                               ;   in Loop: Header=BB178_14 Depth=1
	v_mov_b32_e32 v4, s53
	ds_write_b32 v5, v4 offset:5376
.LBB178_24:                             ;   in Loop: Header=BB178_14 Depth=1
	s_or_b64 exec, exec, s[24:25]
	s_andn2_b64 vcc, exec, s[40:41]
	v_mov_b32_e32 v4, s53
	s_waitcnt lgkmcnt(0)
	s_barrier
	s_cbranch_vccnz .LBB178_60
; %bb.25:                               ;   in Loop: Header=BB178_14 Depth=1
	s_cmp_lg_u32 s43, 0
	s_cselect_b64 s[68:69], -1, 0
	v_mov_b32_e32 v4, s53
	s_mov_b64 s[70:71], s[34:35]
	s_branch .LBB178_27
.LBB178_26:                             ;   in Loop: Header=BB178_27 Depth=2
	s_or_b64 exec, exec, s[26:27]
	s_add_u32 s70, s70, 16
	s_addc_u32 s71, s71, 0
	v_pk_mov_b32 v[14:15], s[56:57], s[56:57] op_sel:[0,1]
	v_cmp_lt_i64_e32 vcc, s[70:71], v[14:15]
	s_cbranch_vccz .LBB178_60
.LBB178_27:                             ;   Parent Loop BB178_14 Depth=1
                                        ; =>  This Loop Header: Depth=2
                                        ;       Child Loop BB178_40 Depth 3
                                        ;         Child Loop BB178_49 Depth 4
                                        ;         Child Loop BB178_54 Depth 4
	v_mov_b32_e32 v15, s71
	v_add_co_u32_e32 v14, vcc, s70, v2
	v_addc_co_u32_e32 v15, vcc, 0, v15, vcc
	v_cmp_gt_i64_e64 s[24:25], s[56:57], v[14:15]
	s_barrier
	s_and_saveexec_b64 s[26:27], s[24:25]
	s_cbranch_execz .LBB178_31
; %bb.28:                               ;   in Loop: Header=BB178_27 Depth=2
	v_mov_b32_e32 v16, 0
	s_and_saveexec_b64 s[72:73], s[6:7]
	s_cbranch_execz .LBB178_30
; %bb.29:                               ;   in Loop: Header=BB178_27 Depth=2
	v_mad_u64_u32 v[16:17], s[74:75], v14, s42, 0
	v_mov_b32_e32 v18, v17
	v_mad_u64_u32 v[18:19], s[74:75], v15, s42, v[18:19]
	v_mov_b32_e32 v17, v18
	v_lshlrev_b64 v[16:17], 2, v[16:17]
	v_add_co_u32_e32 v16, vcc, v33, v16
	v_addc_co_u32_e32 v17, vcc, v34, v17, vcc
	global_load_dword v16, v[16:17], off
.LBB178_30:                             ;   in Loop: Header=BB178_27 Depth=2
	s_or_b64 exec, exec, s[72:73]
	s_waitcnt vmcnt(0)
	ds_write_b32 v32, v16
.LBB178_31:                             ;   in Loop: Header=BB178_27 Depth=2
	s_or_b64 exec, exec, s[26:27]
	v_pk_mov_b32 v[16:17], 0, 0
	s_waitcnt lgkmcnt(0)
	s_barrier
	s_and_saveexec_b64 s[72:73], s[24:25]
	s_cbranch_execz .LBB178_57
; %bb.32:                               ;   in Loop: Header=BB178_27 Depth=2
	v_lshlrev_b64 v[16:17], 2, v[14:15]
	v_mov_b32_e32 v18, s45
	v_add_co_u32_e32 v16, vcc, s44, v16
	v_addc_co_u32_e32 v17, vcc, v18, v17, vcc
	global_load_dword v16, v[16:17], off
	s_and_b64 vcc, exec, s[68:69]
	s_waitcnt vmcnt(0)
	v_subrev_u32_e32 v18, s28, v16
	v_ashrrev_i32_e32 v19, 31, v18
	s_cbranch_vccz .LBB178_59
; %bb.33:                               ;   in Loop: Header=BB178_27 Depth=2
	v_lshlrev_b64 v[16:17], 3, v[14:15]
	v_mov_b32_e32 v20, s59
	v_add_co_u32_e32 v16, vcc, s58, v16
	v_addc_co_u32_e32 v17, vcc, v20, v17, vcc
	global_load_dwordx2 v[16:17], v[16:17], off
	s_cbranch_execnz .LBB178_35
.LBB178_34:                             ;   in Loop: Header=BB178_27 Depth=2
	s_waitcnt vmcnt(0)
	v_lshlrev_b64 v[16:17], 3, v[18:19]
	v_mov_b32_e32 v20, s49
	v_add_co_u32_e32 v16, vcc, s48, v16
	v_addc_co_u32_e32 v17, vcc, v20, v17, vcc
	global_load_dwordx2 v[16:17], v[16:17], off
	v_mov_b32_e32 v20, s86
	s_waitcnt vmcnt(0)
	v_subrev_co_u32_e32 v16, vcc, s33, v16
	v_subb_co_u32_e32 v17, vcc, v17, v20, vcc
.LBB178_35:                             ;   in Loop: Header=BB178_27 Depth=2
	v_lshlrev_b64 v[18:19], 3, v[18:19]
	v_mov_b32_e32 v20, s88
	v_add_co_u32_e32 v18, vcc, s87, v18
	v_addc_co_u32_e32 v19, vcc, v20, v19, vcc
	global_load_dwordx2 v[18:19], v[18:19], off
	v_mov_b32_e32 v20, s86
	s_waitcnt vmcnt(0)
	v_subrev_co_u32_e32 v18, vcc, s33, v18
	v_subb_co_u32_e32 v19, vcc, v19, v20, vcc
	v_cmp_lt_i64_e32 vcc, v[16:17], v[18:19]
	s_and_saveexec_b64 s[74:75], vcc
	s_cbranch_execz .LBB178_56
; %bb.36:                               ;   in Loop: Header=BB178_27 Depth=2
	v_mad_u64_u32 v[20:21], s[26:27], s62, v16, v[8:9]
	v_mul_lo_u32 v24, s62, v17
	v_mul_lo_u32 v25, s63, v16
	v_mad_u64_u32 v[22:23], s[26:27], s62, v16, v[10:11]
	v_add3_u32 v21, v25, v21, v24
	v_add3_u32 v23, v25, v23, v24
	s_mov_b64 s[76:77], 0
	v_pk_mov_b32 v[24:25], v[16:17], v[16:17] op_sel:[0,1]
	s_branch .LBB178_40
.LBB178_37:                             ;   in Loop: Header=BB178_40 Depth=3
	v_lshlrev_b32_e32 v26, 4, v52
	v_or3_b32 v26, v26, v35, v30
	v_lshlrev_b32_e32 v26, 2, v26
	v_mul_f32_e32 v27, v28, v53
	ds_add_f32 v26, v27
.LBB178_38:                             ;   in Loop: Header=BB178_40 Depth=3
	s_or_b64 exec, exec, s[82:83]
	s_or_b64 s[78:79], s[78:79], exec
.LBB178_39:                             ;   in Loop: Header=BB178_40 Depth=3
	s_or_b64 exec, exec, s[80:81]
	v_add_co_u32_e32 v16, vcc, 1, v16
	v_addc_co_u32_e32 v17, vcc, 0, v17, vcc
	v_cmp_ge_i64_e32 vcc, v[16:17], v[18:19]
	s_xor_b64 s[26:27], s[78:79], -1
	s_or_b64 s[26:27], s[26:27], vcc
	v_mov_b32_e32 v26, s63
	v_add_co_u32_e32 v20, vcc, s62, v20
	v_addc_co_u32_e32 v21, vcc, v21, v26, vcc
	s_and_b64 s[26:27], exec, s[26:27]
	v_add_co_u32_e32 v22, vcc, s62, v22
	s_or_b64 s[76:77], s[26:27], s[76:77]
	v_addc_co_u32_e32 v23, vcc, v23, v26, vcc
	s_andn2_b64 exec, exec, s[76:77]
	s_cbranch_execz .LBB178_55
.LBB178_40:                             ;   Parent Loop BB178_14 Depth=1
                                        ;     Parent Loop BB178_27 Depth=2
                                        ; =>    This Loop Header: Depth=3
                                        ;         Child Loop BB178_49 Depth 4
                                        ;         Child Loop BB178_54 Depth 4
	v_lshlrev_b64 v[26:27], 2, v[16:17]
	v_mov_b32_e32 v52, s51
	v_add_co_u32_e32 v26, vcc, s50, v26
	v_addc_co_u32_e32 v27, vcc, v52, v27, vcc
	global_load_dword v26, v[26:27], off
                                        ; implicit-def: $sgpr78_sgpr79
	s_waitcnt vmcnt(0)
	v_subrev_u32_e32 v26, s29, v26
	v_cmp_gt_i32_e64 s[26:27], s43, v26
	v_cmp_ge_i32_e32 vcc, v26, v3
	s_or_b64 s[26:27], s[26:27], vcc
	s_and_saveexec_b64 s[80:81], s[26:27]
	s_xor_b64 s[26:27], exec, s[80:81]
	s_cbranch_execz .LBB178_44
; %bb.41:                               ;   in Loop: Header=BB178_40 Depth=3
	s_mov_b64 s[78:79], -1
	s_and_saveexec_b64 s[80:81], vcc
; %bb.42:                               ;   in Loop: Header=BB178_40 Depth=3
	v_min_i32_e32 v4, v26, v4
	s_xor_b64 s[78:79], exec, -1
	v_pk_mov_b32 v[24:25], v[16:17], v[16:17] op_sel:[0,1]
; %bb.43:                               ;   in Loop: Header=BB178_40 Depth=3
	s_or_b64 exec, exec, s[80:81]
	s_and_b64 s[78:79], s[78:79], exec
                                        ; implicit-def: $vgpr26
.LBB178_44:                             ;   in Loop: Header=BB178_40 Depth=3
	s_andn2_saveexec_b64 s[80:81], s[26:27]
	s_cbranch_execz .LBB178_39
; %bb.45:                               ;   in Loop: Header=BB178_40 Depth=3
	v_subrev_u32_e32 v52, s43, v26
	v_lshlrev_b32_e32 v26, 2, v52
	ds_write_b32 v26, v51 offset:5120
	s_and_saveexec_b64 s[82:83], s[6:7]
	s_cbranch_execz .LBB178_38
; %bb.46:                               ;   in Loop: Header=BB178_40 Depth=3
	v_cndmask_b32_e64 v26, 0, 1, s[60:61]
	s_andn2_b64 vcc, exec, s[46:47]
	v_cmp_ne_u32_e64 s[26:27], 1, v26
	s_cbranch_vccnz .LBB178_51
; %bb.47:                               ;   in Loop: Header=BB178_40 Depth=3
	v_mov_b32_e32 v53, 0
	s_and_b64 vcc, exec, s[26:27]
	s_cbranch_vccnz .LBB178_50
; %bb.48:                               ;   in Loop: Header=BB178_40 Depth=3
	v_pk_mov_b32 v[26:27], v[20:21], v[20:21] op_sel:[0,1]
	s_mov_b32 s55, s54
	v_mov_b32_e32 v54, v46
.LBB178_49:                             ;   Parent Loop BB178_14 Depth=1
                                        ;     Parent Loop BB178_27 Depth=2
                                        ;       Parent Loop BB178_40 Depth=3
                                        ; =>      This Inner Loop Header: Depth=4
	global_load_dword v55, v[26:27], off
	ds_read_b32 v56, v54
	s_add_i32 s55, s55, -1
	v_add_co_u32_e32 v26, vcc, 4, v26
	v_add_u32_e32 v54, 16, v54
	v_addc_co_u32_e32 v27, vcc, 0, v27, vcc
	s_cmp_lg_u32 s55, 0
	s_waitcnt vmcnt(0) lgkmcnt(0)
	v_fmac_f32_e32 v53, v56, v55
	s_cbranch_scc1 .LBB178_49
.LBB178_50:                             ;   in Loop: Header=BB178_40 Depth=3
	s_cbranch_execnz .LBB178_37
	s_branch .LBB178_52
.LBB178_51:                             ;   in Loop: Header=BB178_40 Depth=3
                                        ; implicit-def: $vgpr53
.LBB178_52:                             ;   in Loop: Header=BB178_40 Depth=3
	v_mov_b32_e32 v53, 0
	s_and_b64 vcc, exec, s[26:27]
	s_cbranch_vccnz .LBB178_37
; %bb.53:                               ;   in Loop: Header=BB178_40 Depth=3
	v_mov_b32_e32 v54, v49
	v_pk_mov_b32 v[26:27], v[22:23], v[22:23] op_sel:[0,1]
	s_mov_b32 s26, s54
.LBB178_54:                             ;   Parent Loop BB178_14 Depth=1
                                        ;     Parent Loop BB178_27 Depth=2
                                        ;       Parent Loop BB178_40 Depth=3
                                        ; =>      This Inner Loop Header: Depth=4
	global_load_dword v55, v[26:27], off
	ds_read_b32 v56, v54
	s_add_i32 s26, s26, -1
	v_mov_b32_e32 v57, s65
	v_add_co_u32_e32 v26, vcc, s64, v26
	v_add_u32_e32 v54, 4, v54
	v_addc_co_u32_e32 v27, vcc, v27, v57, vcc
	s_cmp_eq_u32 s26, 0
	s_waitcnt vmcnt(0) lgkmcnt(0)
	v_fmac_f32_e32 v53, v56, v55
	s_cbranch_scc0 .LBB178_54
	s_branch .LBB178_37
.LBB178_55:                             ;   in Loop: Header=BB178_27 Depth=2
	s_or_b64 exec, exec, s[76:77]
	v_pk_mov_b32 v[16:17], v[24:25], v[24:25] op_sel:[0,1]
.LBB178_56:                             ;   in Loop: Header=BB178_27 Depth=2
	s_or_b64 exec, exec, s[74:75]
.LBB178_57:                             ;   in Loop: Header=BB178_27 Depth=2
	s_or_b64 exec, exec, s[72:73]
	s_waitcnt lgkmcnt(0)
	s_barrier
	s_and_saveexec_b64 s[26:27], s[24:25]
	s_cbranch_execz .LBB178_26
; %bb.58:                               ;   in Loop: Header=BB178_27 Depth=2
	v_lshlrev_b64 v[14:15], 3, v[14:15]
	v_mov_b32_e32 v18, s59
	v_add_co_u32_e32 v14, vcc, s58, v14
	v_addc_co_u32_e32 v15, vcc, v18, v15, vcc
	global_store_dwordx2 v[14:15], v[16:17], off
	s_branch .LBB178_26
.LBB178_59:                             ;   in Loop: Header=BB178_27 Depth=2
                                        ; implicit-def: $vgpr16_vgpr17
	s_branch .LBB178_34
.LBB178_60:                             ;   in Loop: Header=BB178_14 Depth=1
	s_andn2_b64 vcc, exec, s[0:1]
	s_cbranch_vccnz .LBB178_72
; %bb.61:                               ;   in Loop: Header=BB178_14 Depth=1
	s_load_dwordx4 s[24:27], s[36:37], 0x0
	s_waitcnt lgkmcnt(0)
	s_sub_u32 s68, s26, s52
	v_mov_b32_e32 v14, s25
	v_add_co_u32_e32 v18, vcc, s24, v36
	s_subb_u32 s69, s27, 0
	v_addc_co_u32_e32 v19, vcc, v14, v37, vcc
	v_cmp_gt_i64_e32 vcc, s[68:69], v[18:19]
	s_and_saveexec_b64 s[70:71], vcc
	s_cbranch_execz .LBB178_71
; %bb.62:                               ;   in Loop: Header=BB178_14 Depth=1
	v_lshlrev_b64 v[14:15], 2, v[18:19]
	v_mov_b32_e32 v16, s39
	v_add_co_u32_e32 v14, vcc, s38, v14
	v_addc_co_u32_e32 v15, vcc, v16, v15, vcc
	v_mad_u64_u32 v[16:17], s[26:27], s62, v18, v[6:7]
	v_mul_lo_u32 v19, s62, v19
	v_mul_lo_u32 v18, s63, v18
	v_add3_u32 v17, v18, v17, v19
	v_mov_b32_e32 v19, s25
	v_add_co_u32_e32 v18, vcc, s24, v47
	v_addc_co_u32_e32 v19, vcc, v48, v19, vcc
	s_mov_b64 s[72:73], 0
	s_branch .LBB178_65
.LBB178_63:                             ;   in Loop: Header=BB178_65 Depth=2
	s_or_b64 exec, exec, s[74:75]
	s_or_b64 s[24:25], s[24:25], exec
.LBB178_64:                             ;   in Loop: Header=BB178_65 Depth=2
	s_or_b64 exec, exec, s[26:27]
	v_cmp_le_i64_e32 vcc, s[68:69], v[18:19]
	s_xor_b64 s[24:25], s[24:25], -1
	s_or_b64 s[24:25], s[24:25], vcc
	v_add_co_u32_e32 v14, vcc, 64, v14
	v_addc_co_u32_e32 v15, vcc, 0, v15, vcc
	v_mov_b32_e32 v20, s67
	v_add_co_u32_e32 v16, vcc, s66, v16
	v_addc_co_u32_e32 v17, vcc, v17, v20, vcc
	s_and_b64 s[24:25], exec, s[24:25]
	v_add_co_u32_e32 v18, vcc, 16, v18
	s_or_b64 s[72:73], s[24:25], s[72:73]
	v_addc_co_u32_e32 v19, vcc, 0, v19, vcc
	s_andn2_b64 exec, exec, s[72:73]
	s_cbranch_execz .LBB178_70
.LBB178_65:                             ;   Parent Loop BB178_14 Depth=1
                                        ; =>  This Inner Loop Header: Depth=2
	global_load_dword v20, v[14:15], off
	s_waitcnt vmcnt(0)
	v_subrev_u32_e32 v20, s31, v20
	v_cmp_gt_i32_e64 s[24:25], s43, v20
	v_cmp_ge_i32_e64 s[26:27], v20, v3
	v_cmp_lt_i32_e32 vcc, v20, v3
	s_or_b64 s[26:27], s[24:25], s[26:27]
                                        ; implicit-def: $sgpr24_sgpr25
	s_and_saveexec_b64 s[74:75], s[26:27]
	s_xor_b64 s[26:27], exec, s[74:75]
; %bb.66:                               ;   in Loop: Header=BB178_65 Depth=2
	v_min_i32_e32 v20, v20, v4
	v_cndmask_b32_e32 v4, v20, v4, vcc
	s_and_b64 s[24:25], vcc, exec
                                        ; implicit-def: $vgpr20
; %bb.67:                               ;   in Loop: Header=BB178_65 Depth=2
	s_andn2_saveexec_b64 s[26:27], s[26:27]
	s_cbranch_execz .LBB178_64
; %bb.68:                               ;   in Loop: Header=BB178_65 Depth=2
	v_subrev_u32_e32 v20, s43, v20
	v_lshlrev_b32_e32 v21, 2, v20
	ds_write_b32 v21, v51 offset:5120
	s_and_saveexec_b64 s[74:75], s[6:7]
	s_cbranch_execz .LBB178_63
; %bb.69:                               ;   in Loop: Header=BB178_65 Depth=2
	global_load_dword v21, v[16:17], off
	v_lshlrev_b32_e32 v20, 4, v20
	v_or3_b32 v20, v20, v35, v30
	v_lshlrev_b32_e32 v20, 2, v20
	s_waitcnt vmcnt(0)
	v_mul_f32_e32 v21, v29, v21
	ds_add_f32 v20, v21
	s_branch .LBB178_63
.LBB178_70:                             ;   in Loop: Header=BB178_14 Depth=1
	s_or_b64 exec, exec, s[72:73]
.LBB178_71:                             ;   in Loop: Header=BB178_14 Depth=1
	s_or_b64 exec, exec, s[70:71]
.LBB178_72:                             ;   in Loop: Header=BB178_14 Depth=1
	s_and_saveexec_b64 s[24:25], s[8:9]
	s_cbranch_execz .LBB178_77
; %bb.73:                               ;   in Loop: Header=BB178_14 Depth=1
	s_mov_b64 s[26:27], exec
	s_brev_b32 s55, -2
.LBB178_74:                             ;   Parent Loop BB178_14 Depth=1
                                        ; =>  This Inner Loop Header: Depth=2
	s_ff1_i32_b64 s68, s[26:27]
	v_readlane_b32 s70, v4, s68
	s_lshl_b64 s[68:69], 1, s68
	s_min_i32 s55, s55, s70
	s_andn2_b64 s[26:27], s[26:27], s[68:69]
	s_cmp_lg_u64 s[26:27], 0
	s_cbranch_scc1 .LBB178_74
; %bb.75:                               ;   in Loop: Header=BB178_14 Depth=1
	v_mbcnt_lo_u32_b32 v3, exec_lo, 0
	v_mbcnt_hi_u32_b32 v3, exec_hi, v3
	v_cmp_eq_u32_e32 vcc, 0, v3
	s_and_saveexec_b64 s[26:27], vcc
	s_xor_b64 s[26:27], exec, s[26:27]
	s_cbranch_execz .LBB178_77
; %bb.76:                               ;   in Loop: Header=BB178_14 Depth=1
	v_mov_b32_e32 v3, s55
	ds_min_i32 v5, v3 offset:5376
.LBB178_77:                             ;   in Loop: Header=BB178_14 Depth=1
	s_or_b64 exec, exec, s[24:25]
	s_waitcnt lgkmcnt(0)
	s_barrier
	ds_read_b32 v3, v38
	s_waitcnt lgkmcnt(0)
	s_barrier
	s_and_saveexec_b64 s[24:25], s[12:13]
	s_cbranch_execz .LBB178_79
; %bb.78:                               ;   in Loop: Header=BB178_14 Depth=1
	ds_read_b32 v4, v39
	s_waitcnt lgkmcnt(0)
	v_add_u32_e32 v3, v4, v3
.LBB178_79:                             ;   in Loop: Header=BB178_14 Depth=1
	s_or_b64 exec, exec, s[24:25]
	s_barrier
	ds_write_b32 v38, v3
	s_waitcnt lgkmcnt(0)
	s_barrier
	s_and_saveexec_b64 s[24:25], s[14:15]
	s_cbranch_execz .LBB178_81
; %bb.80:                               ;   in Loop: Header=BB178_14 Depth=1
	ds_read_b32 v4, v41
	s_waitcnt lgkmcnt(0)
	v_add_u32_e32 v3, v4, v3
.LBB178_81:                             ;   in Loop: Header=BB178_14 Depth=1
	s_or_b64 exec, exec, s[24:25]
	s_barrier
	ds_write_b32 v38, v3
	;; [unrolled: 12-line block ×6, first 2 shown]
	s_waitcnt lgkmcnt(0)
	s_barrier
	ds_read_b32 v14, v5 offset:5372
	v_mov_b32_e32 v4, 0
	s_and_saveexec_b64 s[24:25], s[10:11]
	s_cbranch_execz .LBB178_91
; %bb.90:                               ;   in Loop: Header=BB178_14 Depth=1
	ds_read_b32 v4, v39
.LBB178_91:                             ;   in Loop: Header=BB178_14 Depth=1
	s_or_b64 exec, exec, s[24:25]
	s_waitcnt lgkmcnt(0)
	v_cmp_eq_u32_e32 vcc, v3, v4
	s_and_b64 s[26:27], s[10:11], vcc
	s_barrier
	s_and_saveexec_b64 s[24:25], s[26:27]
	s_cbranch_execz .LBB178_93
; %bb.92:                               ;   in Loop: Header=BB178_14 Depth=1
	ds_write_b32 v38, v5
.LBB178_93:                             ;   in Loop: Header=BB178_14 Depth=1
	s_or_b64 exec, exec, s[24:25]
	v_add_co_u32_e32 v15, vcc, -1, v12
	v_addc_co_u32_e32 v16, vcc, -1, v13, vcc
	s_add_i32 s43, s30, s43
	s_mov_b64 s[24:25], 0
	v_mov_b32_e32 v17, v50
	v_mov_b32_e32 v18, v31
	;; [unrolled: 1-line block ×3, first 2 shown]
	s_waitcnt lgkmcnt(0)
	s_barrier
	s_branch .LBB178_95
.LBB178_94:                             ;   in Loop: Header=BB178_95 Depth=2
	s_or_b64 exec, exec, s[26:27]
	v_add_u32_e32 v3, 16, v19
	v_cmp_lt_u32_e32 vcc, 47, v19
	v_add_u32_e32 v18, 0x400, v18
	v_add_u32_e32 v17, 64, v17
	s_or_b64 s[24:25], vcc, s[24:25]
	v_mov_b32_e32 v19, v3
	s_andn2_b64 exec, exec, s[24:25]
	s_cbranch_execz .LBB178_13
.LBB178_95:                             ;   Parent Loop BB178_14 Depth=1
                                        ; =>  This Inner Loop Header: Depth=2
	ds_read_b32 v4, v17
	s_waitcnt lgkmcnt(0)
	v_cmp_ne_u32_e32 vcc, 0, v4
	s_and_saveexec_b64 s[26:27], vcc
	s_cbranch_execz .LBB178_94
; %bb.96:                               ;   in Loop: Header=BB178_95 Depth=2
	v_ashrrev_i32_e32 v3, 31, v4
	v_add_co_u32_e32 v20, vcc, v12, v4
	v_addc_co_u32_e32 v21, vcc, v13, v3, vcc
	v_lshlrev_b64 v[20:21], 2, v[20:21]
	v_mov_b32_e32 v23, s90
	v_add_co_u32_e32 v20, vcc, s89, v20
	v_add_u32_e32 v22, s43, v19
	v_addc_co_u32_e32 v21, vcc, v23, v21, vcc
	global_store_dword v[20:21], v22, off
	s_and_b64 exec, exec, s[6:7]
	s_cbranch_execz .LBB178_94
; %bb.97:                               ;   in Loop: Header=BB178_95 Depth=2
	v_add_co_u32_e32 v4, vcc, v15, v4
	v_mad_u64_u32 v[20:21], s[68:69], v4, s42, 0
	v_addc_co_u32_e32 v3, vcc, v16, v3, vcc
	v_mov_b32_e32 v4, v21
	ds_read_b32 v24, v18
	v_mad_u64_u32 v[22:23], s[68:69], v3, s42, v[4:5]
	v_mov_b32_e32 v21, v22
	v_lshlrev_b64 v[20:21], 2, v[20:21]
	v_add_co_u32_e32 v20, vcc, v0, v20
	v_addc_co_u32_e32 v21, vcc, v1, v21, vcc
	s_waitcnt lgkmcnt(0)
	global_store_dword v[20:21], v24, off
	s_branch .LBB178_94
.LBB178_98:
	s_endpgm
	.section	.rodata,"a",@progbits
	.p2align	6, 0x0
	.amdhsa_kernel _ZN9rocsparseL38bsrgemm_block_per_row_atomic_multipassILj256ELj64ELj4ElifEEv20rocsparse_direction_T3_S2_PKS2_S4_NS_24const_host_device_scalarIT4_EEPKT2_S4_PKS6_SA_S4_SC_S7_SA_S4_SC_SA_PS2_PS6_PS8_21rocsparse_index_base_SG_SG_SG_bbb
		.amdhsa_group_segment_fixed_size 5380
		.amdhsa_private_segment_fixed_size 0
		.amdhsa_kernarg_size 172
		.amdhsa_user_sgpr_count 6
		.amdhsa_user_sgpr_private_segment_buffer 1
		.amdhsa_user_sgpr_dispatch_ptr 0
		.amdhsa_user_sgpr_queue_ptr 0
		.amdhsa_user_sgpr_kernarg_segment_ptr 1
		.amdhsa_user_sgpr_dispatch_id 0
		.amdhsa_user_sgpr_flat_scratch_init 0
		.amdhsa_user_sgpr_kernarg_preload_length 0
		.amdhsa_user_sgpr_kernarg_preload_offset 0
		.amdhsa_user_sgpr_private_segment_size 0
		.amdhsa_uses_dynamic_stack 0
		.amdhsa_system_sgpr_private_segment_wavefront_offset 0
		.amdhsa_system_sgpr_workgroup_id_x 1
		.amdhsa_system_sgpr_workgroup_id_y 0
		.amdhsa_system_sgpr_workgroup_id_z 0
		.amdhsa_system_sgpr_workgroup_info 0
		.amdhsa_system_vgpr_workitem_id 0
		.amdhsa_next_free_vgpr 58
		.amdhsa_next_free_sgpr 91
		.amdhsa_accum_offset 60
		.amdhsa_reserve_vcc 1
		.amdhsa_reserve_flat_scratch 0
		.amdhsa_float_round_mode_32 0
		.amdhsa_float_round_mode_16_64 0
		.amdhsa_float_denorm_mode_32 3
		.amdhsa_float_denorm_mode_16_64 3
		.amdhsa_dx10_clamp 1
		.amdhsa_ieee_mode 1
		.amdhsa_fp16_overflow 0
		.amdhsa_tg_split 0
		.amdhsa_exception_fp_ieee_invalid_op 0
		.amdhsa_exception_fp_denorm_src 0
		.amdhsa_exception_fp_ieee_div_zero 0
		.amdhsa_exception_fp_ieee_overflow 0
		.amdhsa_exception_fp_ieee_underflow 0
		.amdhsa_exception_fp_ieee_inexact 0
		.amdhsa_exception_int_div_zero 0
	.end_amdhsa_kernel
	.section	.text._ZN9rocsparseL38bsrgemm_block_per_row_atomic_multipassILj256ELj64ELj4ElifEEv20rocsparse_direction_T3_S2_PKS2_S4_NS_24const_host_device_scalarIT4_EEPKT2_S4_PKS6_SA_S4_SC_S7_SA_S4_SC_SA_PS2_PS6_PS8_21rocsparse_index_base_SG_SG_SG_bbb,"axG",@progbits,_ZN9rocsparseL38bsrgemm_block_per_row_atomic_multipassILj256ELj64ELj4ElifEEv20rocsparse_direction_T3_S2_PKS2_S4_NS_24const_host_device_scalarIT4_EEPKT2_S4_PKS6_SA_S4_SC_S7_SA_S4_SC_SA_PS2_PS6_PS8_21rocsparse_index_base_SG_SG_SG_bbb,comdat
.Lfunc_end178:
	.size	_ZN9rocsparseL38bsrgemm_block_per_row_atomic_multipassILj256ELj64ELj4ElifEEv20rocsparse_direction_T3_S2_PKS2_S4_NS_24const_host_device_scalarIT4_EEPKT2_S4_PKS6_SA_S4_SC_S7_SA_S4_SC_SA_PS2_PS6_PS8_21rocsparse_index_base_SG_SG_SG_bbb, .Lfunc_end178-_ZN9rocsparseL38bsrgemm_block_per_row_atomic_multipassILj256ELj64ELj4ElifEEv20rocsparse_direction_T3_S2_PKS2_S4_NS_24const_host_device_scalarIT4_EEPKT2_S4_PKS6_SA_S4_SC_S7_SA_S4_SC_SA_PS2_PS6_PS8_21rocsparse_index_base_SG_SG_SG_bbb
                                        ; -- End function
	.section	.AMDGPU.csdata,"",@progbits
; Kernel info:
; codeLenInByte = 3364
; NumSgprs: 95
; NumVgprs: 58
; NumAgprs: 0
; TotalNumVgprs: 58
; ScratchSize: 0
; MemoryBound: 0
; FloatMode: 240
; IeeeMode: 1
; LDSByteSize: 5380 bytes/workgroup (compile time only)
; SGPRBlocks: 11
; VGPRBlocks: 7
; NumSGPRsForWavesPerEU: 95
; NumVGPRsForWavesPerEU: 58
; AccumOffset: 60
; Occupancy: 8
; WaveLimiterHint : 1
; COMPUTE_PGM_RSRC2:SCRATCH_EN: 0
; COMPUTE_PGM_RSRC2:USER_SGPR: 6
; COMPUTE_PGM_RSRC2:TRAP_HANDLER: 0
; COMPUTE_PGM_RSRC2:TGID_X_EN: 1
; COMPUTE_PGM_RSRC2:TGID_Y_EN: 0
; COMPUTE_PGM_RSRC2:TGID_Z_EN: 0
; COMPUTE_PGM_RSRC2:TIDIG_COMP_CNT: 0
; COMPUTE_PGM_RSRC3_GFX90A:ACCUM_OFFSET: 14
; COMPUTE_PGM_RSRC3_GFX90A:TG_SPLIT: 0
	.section	.text._ZN9rocsparseL38bsrgemm_block_per_row_atomic_multipassILj256ELj128ELj4ElifEEv20rocsparse_direction_T3_S2_PKS2_S4_NS_24const_host_device_scalarIT4_EEPKT2_S4_PKS6_SA_S4_SC_S7_SA_S4_SC_SA_PS2_PS6_PS8_21rocsparse_index_base_SG_SG_SG_bbb,"axG",@progbits,_ZN9rocsparseL38bsrgemm_block_per_row_atomic_multipassILj256ELj128ELj4ElifEEv20rocsparse_direction_T3_S2_PKS2_S4_NS_24const_host_device_scalarIT4_EEPKT2_S4_PKS6_SA_S4_SC_S7_SA_S4_SC_SA_PS2_PS6_PS8_21rocsparse_index_base_SG_SG_SG_bbb,comdat
	.globl	_ZN9rocsparseL38bsrgemm_block_per_row_atomic_multipassILj256ELj128ELj4ElifEEv20rocsparse_direction_T3_S2_PKS2_S4_NS_24const_host_device_scalarIT4_EEPKT2_S4_PKS6_SA_S4_SC_S7_SA_S4_SC_SA_PS2_PS6_PS8_21rocsparse_index_base_SG_SG_SG_bbb ; -- Begin function _ZN9rocsparseL38bsrgemm_block_per_row_atomic_multipassILj256ELj128ELj4ElifEEv20rocsparse_direction_T3_S2_PKS2_S4_NS_24const_host_device_scalarIT4_EEPKT2_S4_PKS6_SA_S4_SC_S7_SA_S4_SC_SA_PS2_PS6_PS8_21rocsparse_index_base_SG_SG_SG_bbb
	.p2align	8
	.type	_ZN9rocsparseL38bsrgemm_block_per_row_atomic_multipassILj256ELj128ELj4ElifEEv20rocsparse_direction_T3_S2_PKS2_S4_NS_24const_host_device_scalarIT4_EEPKT2_S4_PKS6_SA_S4_SC_S7_SA_S4_SC_SA_PS2_PS6_PS8_21rocsparse_index_base_SG_SG_SG_bbb,@function
_ZN9rocsparseL38bsrgemm_block_per_row_atomic_multipassILj256ELj128ELj4ElifEEv20rocsparse_direction_T3_S2_PKS2_S4_NS_24const_host_device_scalarIT4_EEPKT2_S4_PKS6_SA_S4_SC_S7_SA_S4_SC_SA_PS2_PS6_PS8_21rocsparse_index_base_SG_SG_SG_bbb: ; @_ZN9rocsparseL38bsrgemm_block_per_row_atomic_multipassILj256ELj128ELj4ElifEEv20rocsparse_direction_T3_S2_PKS2_S4_NS_24const_host_device_scalarIT4_EEPKT2_S4_PKS6_SA_S4_SC_S7_SA_S4_SC_SA_PS2_PS6_PS8_21rocsparse_index_base_SG_SG_SG_bbb
; %bb.0:
	s_load_dword s7, s[4:5], 0xa8
	s_load_dwordx4 s[52:55], s[4:5], 0x98
	s_load_dwordx2 s[0:1], s[4:5], 0x20
	s_load_dwordx2 s[8:9], s[4:5], 0x58
	s_waitcnt lgkmcnt(0)
	s_bitcmp1_b32 s7, 0
	s_cselect_b64 s[12:13], -1, 0
	s_bitcmp1_b32 s7, 16
	s_cselect_b64 s[10:11], -1, 0
	s_xor_b64 s[2:3], s[12:13], -1
	s_or_b64 s[2:3], s[2:3], s[10:11]
	s_and_b64 vcc, exec, s[2:3]
	s_cbranch_vccnz .LBB179_2
; %bb.1:
	s_load_dword s0, s[0:1], 0x0
	s_waitcnt lgkmcnt(0)
	v_mov_b32_e32 v28, s0
	s_branch .LBB179_3
.LBB179_2:
	v_mov_b32_e32 v1, s0
	v_cndmask_b32_e64 v28, 0, v1, s[12:13]
.LBB179_3:
	s_load_dwordx2 s[2:3], s[4:5], 0x18
	s_bitcmp1_b32 s7, 8
	s_cselect_b64 s[0:1], -1, 0
	s_xor_b64 s[14:15], s[0:1], -1
	s_or_b64 s[10:11], s[14:15], s[10:11]
	s_and_b64 vcc, exec, s[10:11]
	s_cbranch_vccnz .LBB179_5
; %bb.4:
	s_load_dword s7, s[8:9], 0x0
	s_waitcnt lgkmcnt(0)
	v_mov_b32_e32 v29, s7
	s_load_dwordx2 s[8:9], s[4:5], 0x28
	s_cmp_eq_u64 s[2:3], 0
	s_mov_b64 s[34:35], 0
	s_cbranch_scc0 .LBB179_6
	s_branch .LBB179_7
.LBB179_5:
	v_mov_b32_e32 v1, s8
	v_cndmask_b32_e64 v29, 0, v1, s[0:1]
	s_load_dwordx2 s[8:9], s[4:5], 0x28
	s_waitcnt lgkmcnt(0)
	s_cmp_eq_u64 s[2:3], 0
	s_mov_b64 s[34:35], 0
	s_cbranch_scc1 .LBB179_7
.LBB179_6:
	s_load_dwordx2 s[10:11], s[4:5], 0x10
	s_waitcnt lgkmcnt(0)
	s_load_dword s7, s[10:11], 0x0
	s_waitcnt lgkmcnt(0)
	s_add_i32 s6, s7, s6
	s_mov_b32 s7, 0
	s_lshl_b64 s[6:7], s[6:7], 2
	s_add_u32 s2, s2, s6
	s_addc_u32 s3, s3, s7
	s_load_dword s6, s[2:3], 0x0
.LBB179_7:
	v_cndmask_b32_e64 v1, 0, 1, s[12:13]
	v_cmp_ne_u32_e64 s[2:3], 1, v1
	s_andn2_b64 vcc, exec, s[12:13]
	s_cbranch_vccz .LBB179_10
; %bb.8:
	s_and_b64 vcc, exec, s[2:3]
	s_mov_b64 s[60:61], 0
	s_cbranch_vccz .LBB179_11
.LBB179_9:
	s_load_dwordx4 s[56:59], s[4:5], 0x0
	s_waitcnt lgkmcnt(0)
	s_cmp_lt_i32 s57, 1
	s_cbranch_scc0 .LBB179_12
	s_branch .LBB179_100
.LBB179_10:
	s_waitcnt lgkmcnt(0)
	s_ashr_i32 s7, s6, 31
	s_lshl_b64 s[10:11], s[6:7], 3
	s_add_u32 s10, s8, s10
	s_addc_u32 s11, s9, s11
	s_load_dwordx2 s[10:11], s[10:11], 0x0
	s_waitcnt lgkmcnt(0)
	s_sub_u32 s34, s10, s52
	s_subb_u32 s35, s11, 0
	s_and_b64 vcc, exec, s[2:3]
	s_mov_b64 s[60:61], 0
	s_cbranch_vccnz .LBB179_9
.LBB179_11:
	s_waitcnt lgkmcnt(0)
	s_ashr_i32 s7, s6, 31
	s_lshl_b64 s[2:3], s[6:7], 3
	s_add_u32 s2, s8, s2
	s_addc_u32 s3, s9, s3
	s_load_dwordx2 s[2:3], s[2:3], 0x8
	s_waitcnt lgkmcnt(0)
	s_sub_u32 s60, s2, s52
	s_subb_u32 s61, s3, 0
	s_load_dwordx4 s[56:59], s[4:5], 0x0
	s_waitcnt lgkmcnt(0)
	s_cmp_lt_i32 s57, 1
	s_cbranch_scc1 .LBB179_100
.LBB179_12:
	s_load_dwordx2 s[62:63], s[4:5], 0x90
	s_load_dwordx4 s[28:31], s[4:5], 0x80
	s_load_dwordx8 s[36:43], s[4:5], 0x60
	s_load_dwordx2 s[68:69], s[4:5], 0x50
	s_load_dwordx8 s[44:51], s[4:5], 0x30
	v_and_b32_e32 v30, 3, v0
	v_bfe_u32 v3, v0, 2, 2
	v_pk_mov_b32 v[4:5], s[60:61], s[60:61] op_sel:[0,1]
	s_ashr_i32 s7, s6, 31
	v_cmp_lt_i64_e32 vcc, s[34:35], v[4:5]
	v_max_i32_e32 v4, v30, v3
	s_lshl_b64 s[10:11], s[6:7], 3
	v_mov_b32_e32 v5, 0
	v_cmp_gt_i32_e64 s[6:7], s58, v4
	v_mul_lo_u32 v4, v3, s58
	v_lshlrev_b64 v[6:7], 2, v[4:5]
	s_waitcnt lgkmcnt(0)
	v_mov_b32_e32 v3, s47
	v_add_co_u32_e64 v4, s[8:9], s46, v6
	v_addc_co_u32_e64 v3, s[8:9], v3, v7, s[8:9]
	v_lshlrev_b32_e32 v10, 2, v30
	v_add_co_u32_e64 v33, s[8:9], v4, v10
	v_mul_lo_u32 v4, v30, s58
	v_addc_co_u32_e64 v34, s[8:9], 0, v3, s[8:9]
	v_lshlrev_b64 v[8:9], 2, v[4:5]
	v_mov_b32_e32 v3, s31
	v_add_co_u32_e64 v4, s[8:9], s30, v8
	v_and_b32_e32 v35, 12, v0
	v_addc_co_u32_e64 v11, s[8:9], v3, v9, s[8:9]
	v_add_co_u32_e64 v4, s[8:9], v4, v35
	v_addc_co_u32_e64 v11, s[8:9], 0, v11, s[8:9]
	v_add_co_u32_e64 v12, s[8:9], s30, v6
	;; [unrolled: 2-line block ×3, first 2 shown]
	s_add_u32 s2, s42, s10
	v_lshrrev_b32_e32 v2, 4, v0
	v_addc_co_u32_e64 v3, s[8:9], 0, v3, s[8:9]
	s_addc_u32 s3, s43, s11
	v_subrev_co_u32_e64 v36, s[8:9], s55, v2
	s_load_dwordx2 s[2:3], s[2:3], 0x0
	v_subb_co_u32_e64 v37, s[8:9], 0, 0, s[8:9]
	v_mov_b32_e32 v13, s41
	v_add_co_u32_e64 v14, s[8:9], s40, v8
	v_addc_co_u32_e64 v15, s[8:9], v13, v9, s[8:9]
	v_add_co_u32_e64 v14, s[8:9], v14, v35
	v_addc_co_u32_e64 v15, s[8:9], 0, v15, s[8:9]
	s_waitcnt lgkmcnt(0)
	s_sub_u32 s72, s2, s54
	v_add_co_u32_e64 v6, s[8:9], s40, v6
	s_subb_u32 s73, s3, 0
	v_addc_co_u32_e64 v7, s[8:9], v13, v7, s[8:9]
	s_movk_i32 s2, 0x80
	s_cmp_eq_u32 s56, 0
	v_add_co_u32_e64 v6, s[8:9], v6, v10
	v_and_b32_e32 v1, 15, v0
	v_cmp_gt_u32_e64 s[2:3], s2, v0
	v_cmp_eq_u32_e64 s[4:5], 0, v0
	v_lshlrev_b32_e32 v31, 2, v0
	s_cselect_b64 s[26:27], -1, 0
	s_cmp_lg_u32 s56, 0
	v_addc_co_u32_e64 v7, s[8:9], 0, v7, s[8:9]
	v_and_b32_e32 v0, 0x7f, v0
	s_cselect_b64 s[46:47], -1, 0
	s_cmp_gt_i32 s58, 0
	v_cmp_eq_u32_e64 s[8:9], 15, v1
	v_lshlrev_b32_e32 v1, 2, v0
	s_movk_i32 s59, 0x2000
	s_cselect_b64 s[64:65], -1, 0
	s_add_u32 s36, s36, s10
	v_or_b32_e32 v38, 0x2400, v1
	v_add_u32_e32 v41, 0x23f8, v1
	v_add_u32_e32 v42, 0x23f0, v1
	;; [unrolled: 1-line block ×6, first 2 shown]
	v_cndmask_b32_e64 v1, v11, v3, s[26:27]
	v_lshlrev_b32_e32 v3, 6, v2
	s_addc_u32 s37, s37, s11
	s_and_b64 s[40:41], s[12:13], vcc
	v_or3_b32 v47, v3, v35, s59
	v_mov_b32_e32 v3, s69
	v_add_co_u32_e32 v8, vcc, s68, v8
	v_addc_co_u32_e32 v9, vcc, v3, v9, vcc
	s_add_u32 s89, s48, 8
	v_add_co_u32_e32 v10, vcc, s68, v10
	s_mov_b32 s43, 0
	s_addc_u32 s90, s49, 0
	v_addc_co_u32_e32 v11, vcc, 0, v3, vcc
	s_mul_i32 s42, s58, s58
	v_add_co_u32_e64 v13, s[10:11], -1, v0
	v_mov_b32_e32 v16, 0x2400
	s_add_u32 s91, s28, -4
	s_mov_b32 s59, s43
	v_and_b32_e32 v3, 0x3f0, v31
	v_add_co_u32_e32 v49, vcc, 16, v36
	v_or_b32_e32 v32, 0x2000, v31
	s_mov_b32 s33, s53
	s_mov_b32 s88, s43
	s_mov_b32 s56, s55
	v_lshl_add_u32 v39, v13, 2, v16
	v_or_b32_e32 v40, 0x2400, v31
	v_cmp_ne_u32_e64 s[12:13], 0, v0
	v_cmp_lt_u32_e64 s[14:15], 1, v0
	v_cmp_lt_u32_e64 s[16:17], 3, v0
	;; [unrolled: 1-line block ×6, first 2 shown]
	v_cndmask_b32_e64 v0, v4, v12, s[26:27]
	v_cndmask_b32_e64 v7, v15, v7, s[26:27]
	;; [unrolled: 1-line block ×3, first 2 shown]
	s_addc_u32 s92, s29, -1
	s_lshl_b64 s[66:67], s[42:43], 2
	s_lshl_b64 s[68:69], s[58:59], 2
	v_or_b32_e32 v48, 0x2000, v3
	s_lshl_b64 s[70:71], s[42:43], 6
	v_addc_co_u32_e32 v50, vcc, 0, v37, vcc
	v_lshl_or_b32 v51, v2, 2, v16
	v_mov_b32_e32 v3, 0x80
	v_pk_mov_b32 v[12:13], s[72:73], s[72:73] op_sel:[0,1]
	v_mov_b32_e32 v52, 1
	s_movk_i32 s59, 0x6f
	s_branch .LBB179_14
.LBB179_13:                             ;   in Loop: Header=BB179_14 Depth=1
	s_or_b64 exec, exec, s[26:27]
	s_barrier
	ds_read_b32 v4, v5 offset:9728
	v_ashrrev_i32_e32 v3, 31, v14
	v_add_co_u32_e32 v12, vcc, v12, v14
	v_addc_co_u32_e32 v13, vcc, v13, v3, vcc
	s_waitcnt lgkmcnt(0)
	v_cmp_le_i32_e32 vcc, s57, v4
	v_readfirstlane_b32 s43, v4
	v_add_u32_e32 v3, 0x80, v4
	s_barrier
	s_cbranch_vccnz .LBB179_100
.LBB179_14:                             ; =>This Loop Header: Depth=1
                                        ;     Child Loop BB179_18 Depth 2
                                        ;     Child Loop BB179_27 Depth 2
                                        ;       Child Loop BB179_40 Depth 3
                                        ;         Child Loop BB179_49 Depth 4
                                        ;         Child Loop BB179_54 Depth 4
                                        ;     Child Loop BB179_65 Depth 2
                                        ;     Child Loop BB179_74 Depth 2
	;; [unrolled: 1-line block ×3, first 2 shown]
	s_and_saveexec_b64 s[26:27], s[2:3]
	s_cbranch_execz .LBB179_16
; %bb.15:                               ;   in Loop: Header=BB179_14 Depth=1
	ds_write_b32 v40, v5
.LBB179_16:                             ;   in Loop: Header=BB179_14 Depth=1
	s_or_b64 exec, exec, s[26:27]
	s_mov_b32 s72, 0
	s_mov_b64 s[26:27], 0
	v_mov_b32_e32 v4, v31
	s_branch .LBB179_18
.LBB179_17:                             ;   in Loop: Header=BB179_18 Depth=2
	s_or_b64 exec, exec, s[30:31]
	s_add_i32 s72, s72, 2
	v_cmp_eq_u32_e64 s[28:29], 8, s72
	s_or_b64 s[26:27], s[28:29], s[26:27]
	v_add_u32_e32 v4, 0x800, v4
	s_andn2_b64 exec, exec, s[26:27]
	s_cbranch_execz .LBB179_22
.LBB179_18:                             ;   Parent Loop BB179_14 Depth=1
                                        ; =>  This Inner Loop Header: Depth=2
	s_or_b32 s28, s72, 1
	v_cmp_le_u32_e64 s[28:29], s28, 7
	v_cmp_le_u32_e64 s[74:75], s72, 7
	s_and_saveexec_b64 s[30:31], s[74:75]
	s_cbranch_execz .LBB179_20
; %bb.19:                               ;   in Loop: Header=BB179_18 Depth=2
	ds_write_b32 v4, v5
.LBB179_20:                             ;   in Loop: Header=BB179_18 Depth=2
	s_or_b64 exec, exec, s[30:31]
	s_and_saveexec_b64 s[30:31], s[28:29]
	s_cbranch_execz .LBB179_17
; %bb.21:                               ;   in Loop: Header=BB179_18 Depth=2
	ds_write_b32 v4, v5 offset:1024
	s_branch .LBB179_17
.LBB179_22:                             ;   in Loop: Header=BB179_14 Depth=1
	s_or_b64 exec, exec, s[26:27]
	s_and_saveexec_b64 s[26:27], s[4:5]
	s_cbranch_execz .LBB179_24
; %bb.23:                               ;   in Loop: Header=BB179_14 Depth=1
	v_mov_b32_e32 v4, s57
	ds_write_b32 v5, v4 offset:9728
.LBB179_24:                             ;   in Loop: Header=BB179_14 Depth=1
	s_or_b64 exec, exec, s[26:27]
	s_andn2_b64 vcc, exec, s[40:41]
	v_mov_b32_e32 v4, s57
	s_waitcnt lgkmcnt(0)
	s_barrier
	s_cbranch_vccnz .LBB179_60
; %bb.25:                               ;   in Loop: Header=BB179_14 Depth=1
	s_cmp_lg_u32 s43, 0
	s_cselect_b64 s[30:31], -1, 0
	v_mov_b32_e32 v4, s57
	s_mov_b64 s[72:73], s[34:35]
	s_branch .LBB179_27
.LBB179_26:                             ;   in Loop: Header=BB179_27 Depth=2
	s_or_b64 exec, exec, s[28:29]
	s_add_u32 s72, s72, 16
	s_addc_u32 s73, s73, 0
	v_pk_mov_b32 v[14:15], s[60:61], s[60:61] op_sel:[0,1]
	v_cmp_lt_i64_e32 vcc, s[72:73], v[14:15]
	s_cbranch_vccz .LBB179_60
.LBB179_27:                             ;   Parent Loop BB179_14 Depth=1
                                        ; =>  This Loop Header: Depth=2
                                        ;       Child Loop BB179_40 Depth 3
                                        ;         Child Loop BB179_49 Depth 4
                                        ;         Child Loop BB179_54 Depth 4
	v_mov_b32_e32 v15, s73
	v_add_co_u32_e32 v14, vcc, s72, v2
	v_addc_co_u32_e32 v15, vcc, 0, v15, vcc
	v_cmp_gt_i64_e64 s[26:27], s[60:61], v[14:15]
	s_barrier
	s_and_saveexec_b64 s[28:29], s[26:27]
	s_cbranch_execz .LBB179_31
; %bb.28:                               ;   in Loop: Header=BB179_27 Depth=2
	v_mov_b32_e32 v16, 0
	s_and_saveexec_b64 s[74:75], s[6:7]
	s_cbranch_execz .LBB179_30
; %bb.29:                               ;   in Loop: Header=BB179_27 Depth=2
	v_mad_u64_u32 v[16:17], s[76:77], v14, s42, 0
	v_mov_b32_e32 v18, v17
	v_mad_u64_u32 v[18:19], s[76:77], v15, s42, v[18:19]
	v_mov_b32_e32 v17, v18
	v_lshlrev_b64 v[16:17], 2, v[16:17]
	v_add_co_u32_e32 v16, vcc, v33, v16
	v_addc_co_u32_e32 v17, vcc, v34, v17, vcc
	global_load_dword v16, v[16:17], off
.LBB179_30:                             ;   in Loop: Header=BB179_27 Depth=2
	s_or_b64 exec, exec, s[74:75]
	s_waitcnt vmcnt(0)
	ds_write_b32 v32, v16
.LBB179_31:                             ;   in Loop: Header=BB179_27 Depth=2
	s_or_b64 exec, exec, s[28:29]
	v_pk_mov_b32 v[16:17], 0, 0
	s_waitcnt lgkmcnt(0)
	s_barrier
	s_and_saveexec_b64 s[74:75], s[26:27]
	s_cbranch_execz .LBB179_57
; %bb.32:                               ;   in Loop: Header=BB179_27 Depth=2
	v_lshlrev_b64 v[16:17], 2, v[14:15]
	v_mov_b32_e32 v18, s45
	v_add_co_u32_e32 v16, vcc, s44, v16
	v_addc_co_u32_e32 v17, vcc, v18, v17, vcc
	global_load_dword v16, v[16:17], off
	s_and_b64 vcc, exec, s[30:31]
	s_waitcnt vmcnt(0)
	v_subrev_u32_e32 v18, s52, v16
	v_ashrrev_i32_e32 v19, 31, v18
	s_cbranch_vccz .LBB179_59
; %bb.33:                               ;   in Loop: Header=BB179_27 Depth=2
	v_lshlrev_b64 v[16:17], 3, v[14:15]
	v_mov_b32_e32 v20, s63
	v_add_co_u32_e32 v16, vcc, s62, v16
	v_addc_co_u32_e32 v17, vcc, v20, v17, vcc
	global_load_dwordx2 v[16:17], v[16:17], off
	s_cbranch_execnz .LBB179_35
.LBB179_34:                             ;   in Loop: Header=BB179_27 Depth=2
	s_waitcnt vmcnt(0)
	v_lshlrev_b64 v[16:17], 3, v[18:19]
	v_mov_b32_e32 v20, s49
	v_add_co_u32_e32 v16, vcc, s48, v16
	v_addc_co_u32_e32 v17, vcc, v20, v17, vcc
	global_load_dwordx2 v[16:17], v[16:17], off
	v_mov_b32_e32 v20, s88
	s_waitcnt vmcnt(0)
	v_subrev_co_u32_e32 v16, vcc, s33, v16
	v_subb_co_u32_e32 v17, vcc, v17, v20, vcc
.LBB179_35:                             ;   in Loop: Header=BB179_27 Depth=2
	v_lshlrev_b64 v[18:19], 3, v[18:19]
	v_mov_b32_e32 v20, s90
	v_add_co_u32_e32 v18, vcc, s89, v18
	v_addc_co_u32_e32 v19, vcc, v20, v19, vcc
	global_load_dwordx2 v[18:19], v[18:19], off
	v_mov_b32_e32 v20, s88
	s_waitcnt vmcnt(0)
	v_subrev_co_u32_e32 v18, vcc, s33, v18
	v_subb_co_u32_e32 v19, vcc, v19, v20, vcc
	v_cmp_lt_i64_e32 vcc, v[16:17], v[18:19]
	s_and_saveexec_b64 s[76:77], vcc
	s_cbranch_execz .LBB179_56
; %bb.36:                               ;   in Loop: Header=BB179_27 Depth=2
	v_mad_u64_u32 v[20:21], s[28:29], s66, v16, v[8:9]
	v_mul_lo_u32 v24, s66, v17
	v_mul_lo_u32 v25, s67, v16
	v_mad_u64_u32 v[22:23], s[28:29], s66, v16, v[10:11]
	v_add3_u32 v21, v25, v21, v24
	v_add3_u32 v23, v25, v23, v24
	s_mov_b64 s[78:79], 0
	v_pk_mov_b32 v[24:25], v[16:17], v[16:17] op_sel:[0,1]
	s_branch .LBB179_40
.LBB179_37:                             ;   in Loop: Header=BB179_40 Depth=3
	v_lshlrev_b32_e32 v26, 4, v53
	v_or3_b32 v26, v26, v35, v30
	v_lshlrev_b32_e32 v26, 2, v26
	v_mul_f32_e32 v27, v28, v54
	ds_add_f32 v26, v27
.LBB179_38:                             ;   in Loop: Header=BB179_40 Depth=3
	s_or_b64 exec, exec, s[84:85]
	s_or_b64 s[80:81], s[80:81], exec
.LBB179_39:                             ;   in Loop: Header=BB179_40 Depth=3
	s_or_b64 exec, exec, s[82:83]
	v_add_co_u32_e32 v16, vcc, 1, v16
	v_addc_co_u32_e32 v17, vcc, 0, v17, vcc
	v_cmp_ge_i64_e32 vcc, v[16:17], v[18:19]
	s_xor_b64 s[28:29], s[80:81], -1
	s_or_b64 s[28:29], s[28:29], vcc
	v_mov_b32_e32 v26, s67
	v_add_co_u32_e32 v20, vcc, s66, v20
	v_addc_co_u32_e32 v21, vcc, v21, v26, vcc
	s_and_b64 s[28:29], exec, s[28:29]
	v_add_co_u32_e32 v22, vcc, s66, v22
	s_or_b64 s[78:79], s[28:29], s[78:79]
	v_addc_co_u32_e32 v23, vcc, v23, v26, vcc
	s_andn2_b64 exec, exec, s[78:79]
	s_cbranch_execz .LBB179_55
.LBB179_40:                             ;   Parent Loop BB179_14 Depth=1
                                        ;     Parent Loop BB179_27 Depth=2
                                        ; =>    This Loop Header: Depth=3
                                        ;         Child Loop BB179_49 Depth 4
                                        ;         Child Loop BB179_54 Depth 4
	v_lshlrev_b64 v[26:27], 2, v[16:17]
	v_mov_b32_e32 v53, s51
	v_add_co_u32_e32 v26, vcc, s50, v26
	v_addc_co_u32_e32 v27, vcc, v53, v27, vcc
	global_load_dword v26, v[26:27], off
                                        ; implicit-def: $sgpr80_sgpr81
	s_waitcnt vmcnt(0)
	v_subrev_u32_e32 v26, s53, v26
	v_cmp_gt_i32_e64 s[28:29], s43, v26
	v_cmp_ge_i32_e32 vcc, v26, v3
	s_or_b64 s[28:29], s[28:29], vcc
	s_and_saveexec_b64 s[82:83], s[28:29]
	s_xor_b64 s[28:29], exec, s[82:83]
	s_cbranch_execz .LBB179_44
; %bb.41:                               ;   in Loop: Header=BB179_40 Depth=3
	s_mov_b64 s[80:81], -1
	s_and_saveexec_b64 s[82:83], vcc
; %bb.42:                               ;   in Loop: Header=BB179_40 Depth=3
	v_min_i32_e32 v4, v26, v4
	s_xor_b64 s[80:81], exec, -1
	v_pk_mov_b32 v[24:25], v[16:17], v[16:17] op_sel:[0,1]
; %bb.43:                               ;   in Loop: Header=BB179_40 Depth=3
	s_or_b64 exec, exec, s[82:83]
	s_and_b64 s[80:81], s[80:81], exec
                                        ; implicit-def: $vgpr26
.LBB179_44:                             ;   in Loop: Header=BB179_40 Depth=3
	s_andn2_saveexec_b64 s[82:83], s[28:29]
	s_cbranch_execz .LBB179_39
; %bb.45:                               ;   in Loop: Header=BB179_40 Depth=3
	v_subrev_u32_e32 v53, s43, v26
	v_lshlrev_b32_e32 v26, 2, v53
	ds_write_b32 v26, v52 offset:9216
	s_and_saveexec_b64 s[84:85], s[6:7]
	s_cbranch_execz .LBB179_38
; %bb.46:                               ;   in Loop: Header=BB179_40 Depth=3
	v_cndmask_b32_e64 v26, 0, 1, s[64:65]
	s_andn2_b64 vcc, exec, s[46:47]
	v_cmp_ne_u32_e64 s[28:29], 1, v26
	s_cbranch_vccnz .LBB179_51
; %bb.47:                               ;   in Loop: Header=BB179_40 Depth=3
	v_mov_b32_e32 v54, 0
	s_and_b64 vcc, exec, s[28:29]
	s_cbranch_vccnz .LBB179_50
; %bb.48:                               ;   in Loop: Header=BB179_40 Depth=3
	v_pk_mov_b32 v[26:27], v[20:21], v[20:21] op_sel:[0,1]
	s_mov_b32 s86, s58
	v_mov_b32_e32 v55, v47
.LBB179_49:                             ;   Parent Loop BB179_14 Depth=1
                                        ;     Parent Loop BB179_27 Depth=2
                                        ;       Parent Loop BB179_40 Depth=3
                                        ; =>      This Inner Loop Header: Depth=4
	global_load_dword v56, v[26:27], off
	ds_read_b32 v57, v55
	s_add_i32 s86, s86, -1
	v_add_co_u32_e32 v26, vcc, 4, v26
	v_add_u32_e32 v55, 16, v55
	v_addc_co_u32_e32 v27, vcc, 0, v27, vcc
	s_cmp_lg_u32 s86, 0
	s_waitcnt vmcnt(0) lgkmcnt(0)
	v_fmac_f32_e32 v54, v57, v56
	s_cbranch_scc1 .LBB179_49
.LBB179_50:                             ;   in Loop: Header=BB179_40 Depth=3
	s_cbranch_execnz .LBB179_37
	s_branch .LBB179_52
.LBB179_51:                             ;   in Loop: Header=BB179_40 Depth=3
                                        ; implicit-def: $vgpr54
.LBB179_52:                             ;   in Loop: Header=BB179_40 Depth=3
	v_mov_b32_e32 v54, 0
	s_and_b64 vcc, exec, s[28:29]
	s_cbranch_vccnz .LBB179_37
; %bb.53:                               ;   in Loop: Header=BB179_40 Depth=3
	v_mov_b32_e32 v55, v48
	v_pk_mov_b32 v[26:27], v[22:23], v[22:23] op_sel:[0,1]
	s_mov_b32 s28, s58
.LBB179_54:                             ;   Parent Loop BB179_14 Depth=1
                                        ;     Parent Loop BB179_27 Depth=2
                                        ;       Parent Loop BB179_40 Depth=3
                                        ; =>      This Inner Loop Header: Depth=4
	global_load_dword v56, v[26:27], off
	ds_read_b32 v57, v55
	s_add_i32 s28, s28, -1
	v_mov_b32_e32 v58, s69
	v_add_co_u32_e32 v26, vcc, s68, v26
	v_add_u32_e32 v55, 4, v55
	v_addc_co_u32_e32 v27, vcc, v27, v58, vcc
	s_cmp_eq_u32 s28, 0
	s_waitcnt vmcnt(0) lgkmcnt(0)
	v_fmac_f32_e32 v54, v57, v56
	s_cbranch_scc0 .LBB179_54
	s_branch .LBB179_37
.LBB179_55:                             ;   in Loop: Header=BB179_27 Depth=2
	s_or_b64 exec, exec, s[78:79]
	v_pk_mov_b32 v[16:17], v[24:25], v[24:25] op_sel:[0,1]
.LBB179_56:                             ;   in Loop: Header=BB179_27 Depth=2
	s_or_b64 exec, exec, s[76:77]
.LBB179_57:                             ;   in Loop: Header=BB179_27 Depth=2
	s_or_b64 exec, exec, s[74:75]
	s_waitcnt lgkmcnt(0)
	s_barrier
	s_and_saveexec_b64 s[28:29], s[26:27]
	s_cbranch_execz .LBB179_26
; %bb.58:                               ;   in Loop: Header=BB179_27 Depth=2
	v_lshlrev_b64 v[14:15], 3, v[14:15]
	v_mov_b32_e32 v18, s63
	v_add_co_u32_e32 v14, vcc, s62, v14
	v_addc_co_u32_e32 v15, vcc, v18, v15, vcc
	global_store_dwordx2 v[14:15], v[16:17], off
	s_branch .LBB179_26
.LBB179_59:                             ;   in Loop: Header=BB179_27 Depth=2
                                        ; implicit-def: $vgpr16_vgpr17
	s_branch .LBB179_34
.LBB179_60:                             ;   in Loop: Header=BB179_14 Depth=1
	s_andn2_b64 vcc, exec, s[0:1]
	s_cbranch_vccnz .LBB179_72
; %bb.61:                               ;   in Loop: Header=BB179_14 Depth=1
	s_load_dwordx4 s[28:31], s[36:37], 0x0
	s_waitcnt lgkmcnt(0)
	s_sub_u32 s30, s30, s56
	v_mov_b32_e32 v14, s29
	v_add_co_u32_e32 v18, vcc, s28, v36
	s_subb_u32 s31, s31, 0
	v_addc_co_u32_e32 v19, vcc, v14, v37, vcc
	v_cmp_gt_i64_e32 vcc, s[30:31], v[18:19]
	s_and_saveexec_b64 s[72:73], vcc
	s_cbranch_execz .LBB179_71
; %bb.62:                               ;   in Loop: Header=BB179_14 Depth=1
	v_lshlrev_b64 v[14:15], 2, v[18:19]
	v_mov_b32_e32 v16, s39
	v_add_co_u32_e32 v14, vcc, s38, v14
	v_addc_co_u32_e32 v15, vcc, v16, v15, vcc
	v_mad_u64_u32 v[16:17], s[26:27], s66, v18, v[6:7]
	v_mul_lo_u32 v19, s66, v19
	v_mul_lo_u32 v18, s67, v18
	v_add3_u32 v17, v18, v17, v19
	v_mov_b32_e32 v19, s29
	v_add_co_u32_e32 v18, vcc, s28, v49
	v_addc_co_u32_e32 v19, vcc, v50, v19, vcc
	s_mov_b64 s[74:75], 0
	s_branch .LBB179_65
.LBB179_63:                             ;   in Loop: Header=BB179_65 Depth=2
	s_or_b64 exec, exec, s[76:77]
	s_or_b64 s[26:27], s[26:27], exec
.LBB179_64:                             ;   in Loop: Header=BB179_65 Depth=2
	s_or_b64 exec, exec, s[28:29]
	v_cmp_le_i64_e32 vcc, s[30:31], v[18:19]
	s_xor_b64 s[26:27], s[26:27], -1
	s_or_b64 s[26:27], s[26:27], vcc
	v_add_co_u32_e32 v14, vcc, 64, v14
	v_addc_co_u32_e32 v15, vcc, 0, v15, vcc
	v_mov_b32_e32 v20, s71
	v_add_co_u32_e32 v16, vcc, s70, v16
	v_addc_co_u32_e32 v17, vcc, v17, v20, vcc
	s_and_b64 s[26:27], exec, s[26:27]
	v_add_co_u32_e32 v18, vcc, 16, v18
	s_or_b64 s[74:75], s[26:27], s[74:75]
	v_addc_co_u32_e32 v19, vcc, 0, v19, vcc
	s_andn2_b64 exec, exec, s[74:75]
	s_cbranch_execz .LBB179_70
.LBB179_65:                             ;   Parent Loop BB179_14 Depth=1
                                        ; =>  This Inner Loop Header: Depth=2
	global_load_dword v20, v[14:15], off
	s_waitcnt vmcnt(0)
	v_subrev_u32_e32 v20, s55, v20
	v_cmp_gt_i32_e64 s[26:27], s43, v20
	v_cmp_ge_i32_e64 s[28:29], v20, v3
	v_cmp_lt_i32_e32 vcc, v20, v3
	s_or_b64 s[28:29], s[26:27], s[28:29]
                                        ; implicit-def: $sgpr26_sgpr27
	s_and_saveexec_b64 s[76:77], s[28:29]
	s_xor_b64 s[28:29], exec, s[76:77]
; %bb.66:                               ;   in Loop: Header=BB179_65 Depth=2
	v_min_i32_e32 v20, v20, v4
	v_cndmask_b32_e32 v4, v20, v4, vcc
	s_and_b64 s[26:27], vcc, exec
                                        ; implicit-def: $vgpr20
; %bb.67:                               ;   in Loop: Header=BB179_65 Depth=2
	s_andn2_saveexec_b64 s[28:29], s[28:29]
	s_cbranch_execz .LBB179_64
; %bb.68:                               ;   in Loop: Header=BB179_65 Depth=2
	v_subrev_u32_e32 v20, s43, v20
	v_lshlrev_b32_e32 v21, 2, v20
	ds_write_b32 v21, v52 offset:9216
	s_and_saveexec_b64 s[76:77], s[6:7]
	s_cbranch_execz .LBB179_63
; %bb.69:                               ;   in Loop: Header=BB179_65 Depth=2
	global_load_dword v21, v[16:17], off
	v_lshlrev_b32_e32 v20, 4, v20
	v_or3_b32 v20, v20, v35, v30
	v_lshlrev_b32_e32 v20, 2, v20
	s_waitcnt vmcnt(0)
	v_mul_f32_e32 v21, v29, v21
	ds_add_f32 v20, v21
	s_branch .LBB179_63
.LBB179_70:                             ;   in Loop: Header=BB179_14 Depth=1
	s_or_b64 exec, exec, s[74:75]
.LBB179_71:                             ;   in Loop: Header=BB179_14 Depth=1
	s_or_b64 exec, exec, s[72:73]
.LBB179_72:                             ;   in Loop: Header=BB179_14 Depth=1
	s_and_saveexec_b64 s[26:27], s[8:9]
	s_cbranch_execz .LBB179_77
; %bb.73:                               ;   in Loop: Header=BB179_14 Depth=1
	s_mov_b64 s[28:29], exec
	s_brev_b32 s30, -2
.LBB179_74:                             ;   Parent Loop BB179_14 Depth=1
                                        ; =>  This Inner Loop Header: Depth=2
	s_ff1_i32_b64 s31, s[28:29]
	v_readlane_b32 s74, v4, s31
	s_lshl_b64 s[72:73], 1, s31
	s_min_i32 s30, s30, s74
	s_andn2_b64 s[28:29], s[28:29], s[72:73]
	s_cmp_lg_u64 s[28:29], 0
	s_cbranch_scc1 .LBB179_74
; %bb.75:                               ;   in Loop: Header=BB179_14 Depth=1
	v_mbcnt_lo_u32_b32 v3, exec_lo, 0
	v_mbcnt_hi_u32_b32 v3, exec_hi, v3
	v_cmp_eq_u32_e32 vcc, 0, v3
	s_and_saveexec_b64 s[28:29], vcc
	s_xor_b64 s[28:29], exec, s[28:29]
	s_cbranch_execz .LBB179_77
; %bb.76:                               ;   in Loop: Header=BB179_14 Depth=1
	v_mov_b32_e32 v3, s30
	ds_min_i32 v5, v3 offset:9728
.LBB179_77:                             ;   in Loop: Header=BB179_14 Depth=1
	s_or_b64 exec, exec, s[26:27]
	s_waitcnt lgkmcnt(0)
	s_barrier
	ds_read_b32 v3, v38
	s_waitcnt lgkmcnt(0)
	s_barrier
	s_and_saveexec_b64 s[26:27], s[12:13]
	s_cbranch_execz .LBB179_79
; %bb.78:                               ;   in Loop: Header=BB179_14 Depth=1
	ds_read_b32 v4, v39
	s_waitcnt lgkmcnt(0)
	v_add_u32_e32 v3, v4, v3
.LBB179_79:                             ;   in Loop: Header=BB179_14 Depth=1
	s_or_b64 exec, exec, s[26:27]
	s_barrier
	ds_write_b32 v38, v3
	s_waitcnt lgkmcnt(0)
	s_barrier
	s_and_saveexec_b64 s[26:27], s[14:15]
	s_cbranch_execz .LBB179_81
; %bb.80:                               ;   in Loop: Header=BB179_14 Depth=1
	ds_read_b32 v4, v41
	s_waitcnt lgkmcnt(0)
	v_add_u32_e32 v3, v4, v3
.LBB179_81:                             ;   in Loop: Header=BB179_14 Depth=1
	s_or_b64 exec, exec, s[26:27]
	s_barrier
	ds_write_b32 v38, v3
	;; [unrolled: 12-line block ×7, first 2 shown]
	s_waitcnt lgkmcnt(0)
	s_barrier
	ds_read_b32 v14, v5 offset:9724
	v_mov_b32_e32 v4, 0
	s_and_saveexec_b64 s[26:27], s[10:11]
	s_cbranch_execz .LBB179_93
; %bb.92:                               ;   in Loop: Header=BB179_14 Depth=1
	ds_read_b32 v4, v39
.LBB179_93:                             ;   in Loop: Header=BB179_14 Depth=1
	s_or_b64 exec, exec, s[26:27]
	s_waitcnt lgkmcnt(0)
	v_cmp_eq_u32_e32 vcc, v3, v4
	s_and_b64 s[28:29], s[10:11], vcc
	s_barrier
	s_and_saveexec_b64 s[26:27], s[28:29]
	s_cbranch_execz .LBB179_95
; %bb.94:                               ;   in Loop: Header=BB179_14 Depth=1
	ds_write_b32 v38, v5
.LBB179_95:                             ;   in Loop: Header=BB179_14 Depth=1
	s_or_b64 exec, exec, s[26:27]
	v_add_co_u32_e32 v15, vcc, -1, v12
	v_addc_co_u32_e32 v16, vcc, -1, v13, vcc
	s_add_i32 s30, s54, s43
	s_mov_b64 s[26:27], 0
	v_mov_b32_e32 v17, v51
	v_mov_b32_e32 v18, v31
	v_mov_b32_e32 v19, v2
	s_waitcnt lgkmcnt(0)
	s_barrier
	s_branch .LBB179_97
.LBB179_96:                             ;   in Loop: Header=BB179_97 Depth=2
	s_or_b64 exec, exec, s[28:29]
	v_add_u32_e32 v3, 16, v19
	v_cmp_lt_u32_e32 vcc, s59, v19
	v_add_u32_e32 v18, 0x400, v18
	v_add_u32_e32 v17, 64, v17
	s_or_b64 s[26:27], vcc, s[26:27]
	v_mov_b32_e32 v19, v3
	s_andn2_b64 exec, exec, s[26:27]
	s_cbranch_execz .LBB179_13
.LBB179_97:                             ;   Parent Loop BB179_14 Depth=1
                                        ; =>  This Inner Loop Header: Depth=2
	ds_read_b32 v4, v17
	s_waitcnt lgkmcnt(0)
	v_cmp_ne_u32_e32 vcc, 0, v4
	s_and_saveexec_b64 s[28:29], vcc
	s_cbranch_execz .LBB179_96
; %bb.98:                               ;   in Loop: Header=BB179_97 Depth=2
	v_ashrrev_i32_e32 v3, 31, v4
	v_add_co_u32_e32 v20, vcc, v12, v4
	v_addc_co_u32_e32 v21, vcc, v13, v3, vcc
	v_lshlrev_b64 v[20:21], 2, v[20:21]
	v_mov_b32_e32 v23, s92
	v_add_co_u32_e32 v20, vcc, s91, v20
	v_add_u32_e32 v22, s30, v19
	v_addc_co_u32_e32 v21, vcc, v23, v21, vcc
	global_store_dword v[20:21], v22, off
	s_and_b64 exec, exec, s[6:7]
	s_cbranch_execz .LBB179_96
; %bb.99:                               ;   in Loop: Header=BB179_97 Depth=2
	v_add_co_u32_e32 v4, vcc, v15, v4
	v_mad_u64_u32 v[20:21], s[72:73], v4, s42, 0
	v_addc_co_u32_e32 v3, vcc, v16, v3, vcc
	v_mov_b32_e32 v4, v21
	ds_read_b32 v24, v18
	v_mad_u64_u32 v[22:23], s[72:73], v3, s42, v[4:5]
	v_mov_b32_e32 v21, v22
	v_lshlrev_b64 v[20:21], 2, v[20:21]
	v_add_co_u32_e32 v20, vcc, v0, v20
	v_addc_co_u32_e32 v21, vcc, v1, v21, vcc
	s_waitcnt lgkmcnt(0)
	global_store_dword v[20:21], v24, off
	s_branch .LBB179_96
.LBB179_100:
	s_endpgm
	.section	.rodata,"a",@progbits
	.p2align	6, 0x0
	.amdhsa_kernel _ZN9rocsparseL38bsrgemm_block_per_row_atomic_multipassILj256ELj128ELj4ElifEEv20rocsparse_direction_T3_S2_PKS2_S4_NS_24const_host_device_scalarIT4_EEPKT2_S4_PKS6_SA_S4_SC_S7_SA_S4_SC_SA_PS2_PS6_PS8_21rocsparse_index_base_SG_SG_SG_bbb
		.amdhsa_group_segment_fixed_size 9732
		.amdhsa_private_segment_fixed_size 0
		.amdhsa_kernarg_size 172
		.amdhsa_user_sgpr_count 6
		.amdhsa_user_sgpr_private_segment_buffer 1
		.amdhsa_user_sgpr_dispatch_ptr 0
		.amdhsa_user_sgpr_queue_ptr 0
		.amdhsa_user_sgpr_kernarg_segment_ptr 1
		.amdhsa_user_sgpr_dispatch_id 0
		.amdhsa_user_sgpr_flat_scratch_init 0
		.amdhsa_user_sgpr_kernarg_preload_length 0
		.amdhsa_user_sgpr_kernarg_preload_offset 0
		.amdhsa_user_sgpr_private_segment_size 0
		.amdhsa_uses_dynamic_stack 0
		.amdhsa_system_sgpr_private_segment_wavefront_offset 0
		.amdhsa_system_sgpr_workgroup_id_x 1
		.amdhsa_system_sgpr_workgroup_id_y 0
		.amdhsa_system_sgpr_workgroup_id_z 0
		.amdhsa_system_sgpr_workgroup_info 0
		.amdhsa_system_vgpr_workitem_id 0
		.amdhsa_next_free_vgpr 59
		.amdhsa_next_free_sgpr 93
		.amdhsa_accum_offset 60
		.amdhsa_reserve_vcc 1
		.amdhsa_reserve_flat_scratch 0
		.amdhsa_float_round_mode_32 0
		.amdhsa_float_round_mode_16_64 0
		.amdhsa_float_denorm_mode_32 3
		.amdhsa_float_denorm_mode_16_64 3
		.amdhsa_dx10_clamp 1
		.amdhsa_ieee_mode 1
		.amdhsa_fp16_overflow 0
		.amdhsa_tg_split 0
		.amdhsa_exception_fp_ieee_invalid_op 0
		.amdhsa_exception_fp_denorm_src 0
		.amdhsa_exception_fp_ieee_div_zero 0
		.amdhsa_exception_fp_ieee_overflow 0
		.amdhsa_exception_fp_ieee_underflow 0
		.amdhsa_exception_fp_ieee_inexact 0
		.amdhsa_exception_int_div_zero 0
	.end_amdhsa_kernel
	.section	.text._ZN9rocsparseL38bsrgemm_block_per_row_atomic_multipassILj256ELj128ELj4ElifEEv20rocsparse_direction_T3_S2_PKS2_S4_NS_24const_host_device_scalarIT4_EEPKT2_S4_PKS6_SA_S4_SC_S7_SA_S4_SC_SA_PS2_PS6_PS8_21rocsparse_index_base_SG_SG_SG_bbb,"axG",@progbits,_ZN9rocsparseL38bsrgemm_block_per_row_atomic_multipassILj256ELj128ELj4ElifEEv20rocsparse_direction_T3_S2_PKS2_S4_NS_24const_host_device_scalarIT4_EEPKT2_S4_PKS6_SA_S4_SC_S7_SA_S4_SC_SA_PS2_PS6_PS8_21rocsparse_index_base_SG_SG_SG_bbb,comdat
.Lfunc_end179:
	.size	_ZN9rocsparseL38bsrgemm_block_per_row_atomic_multipassILj256ELj128ELj4ElifEEv20rocsparse_direction_T3_S2_PKS2_S4_NS_24const_host_device_scalarIT4_EEPKT2_S4_PKS6_SA_S4_SC_S7_SA_S4_SC_SA_PS2_PS6_PS8_21rocsparse_index_base_SG_SG_SG_bbb, .Lfunc_end179-_ZN9rocsparseL38bsrgemm_block_per_row_atomic_multipassILj256ELj128ELj4ElifEEv20rocsparse_direction_T3_S2_PKS2_S4_NS_24const_host_device_scalarIT4_EEPKT2_S4_PKS6_SA_S4_SC_S7_SA_S4_SC_SA_PS2_PS6_PS8_21rocsparse_index_base_SG_SG_SG_bbb
                                        ; -- End function
	.section	.AMDGPU.csdata,"",@progbits
; Kernel info:
; codeLenInByte = 3448
; NumSgprs: 97
; NumVgprs: 59
; NumAgprs: 0
; TotalNumVgprs: 59
; ScratchSize: 0
; MemoryBound: 0
; FloatMode: 240
; IeeeMode: 1
; LDSByteSize: 9732 bytes/workgroup (compile time only)
; SGPRBlocks: 12
; VGPRBlocks: 7
; NumSGPRsForWavesPerEU: 97
; NumVGPRsForWavesPerEU: 59
; AccumOffset: 60
; Occupancy: 6
; WaveLimiterHint : 1
; COMPUTE_PGM_RSRC2:SCRATCH_EN: 0
; COMPUTE_PGM_RSRC2:USER_SGPR: 6
; COMPUTE_PGM_RSRC2:TRAP_HANDLER: 0
; COMPUTE_PGM_RSRC2:TGID_X_EN: 1
; COMPUTE_PGM_RSRC2:TGID_Y_EN: 0
; COMPUTE_PGM_RSRC2:TGID_Z_EN: 0
; COMPUTE_PGM_RSRC2:TIDIG_COMP_CNT: 0
; COMPUTE_PGM_RSRC3_GFX90A:ACCUM_OFFSET: 14
; COMPUTE_PGM_RSRC3_GFX90A:TG_SPLIT: 0
	.section	.text._ZN9rocsparseL23bsrgemm_fill_wf_per_rowILj256ELj64ELj8ELj137ELj8ElifEEv20rocsparse_direction_T5_S2_S2_PKS2_S4_NS_24const_host_device_scalarIT6_EEPKT4_S4_PKS6_SA_S4_SC_S7_SA_S4_SC_SA_PS2_PS6_21rocsparse_index_base_SF_SF_SF_bbb,"axG",@progbits,_ZN9rocsparseL23bsrgemm_fill_wf_per_rowILj256ELj64ELj8ELj137ELj8ElifEEv20rocsparse_direction_T5_S2_S2_PKS2_S4_NS_24const_host_device_scalarIT6_EEPKT4_S4_PKS6_SA_S4_SC_S7_SA_S4_SC_SA_PS2_PS6_21rocsparse_index_base_SF_SF_SF_bbb,comdat
	.globl	_ZN9rocsparseL23bsrgemm_fill_wf_per_rowILj256ELj64ELj8ELj137ELj8ElifEEv20rocsparse_direction_T5_S2_S2_PKS2_S4_NS_24const_host_device_scalarIT6_EEPKT4_S4_PKS6_SA_S4_SC_S7_SA_S4_SC_SA_PS2_PS6_21rocsparse_index_base_SF_SF_SF_bbb ; -- Begin function _ZN9rocsparseL23bsrgemm_fill_wf_per_rowILj256ELj64ELj8ELj137ELj8ElifEEv20rocsparse_direction_T5_S2_S2_PKS2_S4_NS_24const_host_device_scalarIT6_EEPKT4_S4_PKS6_SA_S4_SC_S7_SA_S4_SC_SA_PS2_PS6_21rocsparse_index_base_SF_SF_SF_bbb
	.p2align	8
	.type	_ZN9rocsparseL23bsrgemm_fill_wf_per_rowILj256ELj64ELj8ELj137ELj8ElifEEv20rocsparse_direction_T5_S2_S2_PKS2_S4_NS_24const_host_device_scalarIT6_EEPKT4_S4_PKS6_SA_S4_SC_S7_SA_S4_SC_SA_PS2_PS6_21rocsparse_index_base_SF_SF_SF_bbb,@function
_ZN9rocsparseL23bsrgemm_fill_wf_per_rowILj256ELj64ELj8ELj137ELj8ElifEEv20rocsparse_direction_T5_S2_S2_PKS2_S4_NS_24const_host_device_scalarIT6_EEPKT4_S4_PKS6_SA_S4_SC_S7_SA_S4_SC_SA_PS2_PS6_21rocsparse_index_base_SF_SF_SF_bbb: ; @_ZN9rocsparseL23bsrgemm_fill_wf_per_rowILj256ELj64ELj8ELj137ELj8ElifEEv20rocsparse_direction_T5_S2_S2_PKS2_S4_NS_24const_host_device_scalarIT6_EEPKT4_S4_PKS6_SA_S4_SC_S7_SA_S4_SC_SA_PS2_PS6_21rocsparse_index_base_SF_SF_SF_bbb
; %bb.0:
	s_load_dword s7, s[4:5], 0xa0
	s_load_dwordx2 s[0:1], s[4:5], 0x20
	s_load_dwordx2 s[8:9], s[4:5], 0x58
	s_waitcnt lgkmcnt(0)
	s_bitcmp1_b32 s7, 0
	s_cselect_b64 s[2:3], -1, 0
	s_bitcmp1_b32 s7, 16
	s_cselect_b64 s[10:11], -1, 0
	s_xor_b64 s[12:13], s[2:3], -1
	s_or_b64 s[12:13], s[12:13], s[10:11]
	s_and_b64 vcc, exec, s[12:13]
	s_cbranch_vccnz .LBB180_2
; %bb.1:
	s_load_dword s0, s[0:1], 0x0
	s_waitcnt lgkmcnt(0)
	v_mov_b32_e32 v1, s0
	s_branch .LBB180_3
.LBB180_2:
	v_mov_b32_e32 v1, s0
	v_cndmask_b32_e64 v1, 0, v1, s[2:3]
.LBB180_3:
	s_bitcmp1_b32 s7, 8
	s_cselect_b64 s[0:1], -1, 0
	s_xor_b64 s[12:13], s[0:1], -1
	s_or_b64 s[10:11], s[12:13], s[10:11]
	s_and_b64 vcc, exec, s[10:11]
	s_cbranch_vccnz .LBB180_5
; %bb.4:
	s_load_dword s7, s[8:9], 0x0
	s_waitcnt lgkmcnt(0)
	v_mov_b32_e32 v30, s7
	s_branch .LBB180_6
.LBB180_5:
	v_mov_b32_e32 v2, s8
	v_cndmask_b32_e64 v30, 0, v2, s[0:1]
.LBB180_6:
	s_load_dwordx4 s[16:19], s[4:5], 0x0
	v_and_b32_e32 v34, 63, v0
	v_lshrrev_b32_e32 v29, 6, v0
	v_mov_b32_e32 v2, 0x2000
	v_lshl_or_b32 v28, v29, 5, v2
	v_cmp_gt_u32_e32 vcc, 8, v34
	s_and_saveexec_b64 s[8:9], vcc
	s_cbranch_execz .LBB180_8
; %bb.7:
	v_lshl_add_u32 v2, v34, 2, v28
	s_waitcnt lgkmcnt(0)
	v_mov_b32_e32 v3, s18
	ds_write_b32 v2, v3
.LBB180_8:
	s_or_b64 exec, exec, s[8:9]
	v_lshlrev_b32_e32 v3, 5, v0
	v_lshl_or_b32 v2, s6, 2, v29
	v_and_b32_e32 v31, 0x1800, v3
	v_lshl_or_b32 v3, v34, 2, v31
	v_mov_b32_e32 v4, 0
	s_waitcnt lgkmcnt(0)
	v_cmp_gt_i32_e32 vcc, s17, v2
	ds_write2st64_b32 v3, v4, v4 offset1:1
	ds_write2st64_b32 v3, v4, v4 offset0:2 offset1:3
	ds_write2st64_b32 v3, v4, v4 offset0:4 offset1:5
	;; [unrolled: 1-line block ×3, first 2 shown]
	s_waitcnt lgkmcnt(0)
	s_barrier
	s_and_saveexec_b64 s[6:7], vcc
	s_cbranch_execz .LBB180_64
; %bb.9:
	s_load_dwordx2 s[6:7], s[4:5], 0x18
	s_load_dwordx4 s[20:23], s[4:5], 0x90
	s_waitcnt lgkmcnt(0)
	s_cmp_eq_u64 s[6:7], 0
	s_cbranch_scc1 .LBB180_11
; %bb.10:
	s_load_dwordx2 s[8:9], s[4:5], 0x10
	v_mov_b32_e32 v4, s7
	s_waitcnt lgkmcnt(0)
	s_load_dword s8, s[8:9], 0x0
	s_waitcnt lgkmcnt(0)
	v_add_u32_e32 v2, s8, v2
	v_ashrrev_i32_e32 v3, 31, v2
	v_lshlrev_b64 v[2:3], 2, v[2:3]
	v_add_co_u32_e32 v2, vcc, s6, v2
	v_addc_co_u32_e32 v3, vcc, v4, v3, vcc
	global_load_dword v2, v[2:3], off
.LBB180_11:
	s_load_dwordx2 s[26:27], s[4:5], 0x88
	s_load_dwordx2 s[28:29], s[4:5], 0x78
	s_waitcnt vmcnt(0)
	v_ashrrev_i32_e32 v3, 31, v2
	v_and_b32_e32 v32, 7, v0
	v_lshrrev_b32_e32 v33, 3, v34
	s_andn2_b64 vcc, exec, s[2:3]
	s_mul_i32 s24, s19, s19
	v_lshlrev_b64 v[6:7], 3, v[2:3]
	s_cbranch_vccnz .LBB180_41
; %bb.12:
	s_load_dwordx2 s[2:3], s[4:5], 0x28
	s_waitcnt lgkmcnt(0)
	v_mov_b32_e32 v3, s3
	v_add_co_u32_e32 v2, vcc, s2, v6
	v_addc_co_u32_e32 v3, vcc, v3, v7, vcc
	global_load_dwordx4 v[2:5], v[2:3], off
	s_waitcnt vmcnt(0)
	v_cmp_lt_i64_e32 vcc, v[2:3], v[4:5]
	s_and_saveexec_b64 s[30:31], vcc
	s_cbranch_execz .LBB180_40
; %bb.13:
	v_subrev_co_u32_e32 v8, vcc, s20, v4
	s_load_dwordx2 s[6:7], s[4:5], 0x50
	s_load_dwordx8 s[8:15], s[4:5], 0x30
	v_subbrev_co_u32_e32 v9, vcc, 0, v5, vcc
	v_subrev_co_u32_e32 v10, vcc, s20, v2
	v_max_i32_e32 v2, v32, v33
	v_subbrev_co_u32_e32 v11, vcc, 0, v3, vcc
	v_cmp_gt_i32_e64 s[2:3], s19, v2
	v_mul_lo_u32 v2, v32, s19
	v_mov_b32_e32 v3, 0
	v_mov_b32_e32 v5, v3
	v_lshlrev_b64 v[2:3], 2, v[2:3]
	s_waitcnt lgkmcnt(0)
	v_mov_b32_e32 v17, s7
	v_add_co_u32_e32 v12, vcc, s6, v2
	v_addc_co_u32_e32 v13, vcc, v17, v3, vcc
	v_mad_u64_u32 v[2:3], s[40:41], v10, s24, 0
	v_mov_b32_e32 v14, v3
	v_mad_u64_u32 v[14:15], s[40:41], v11, s24, v[14:15]
	v_mov_b32_e32 v3, v14
	v_lshlrev_b64 v[2:3], 2, v[2:3]
	v_lshlrev_b32_e32 v14, 2, v33
	v_add_co_u32_e32 v14, vcc, v2, v14
	v_addc_co_u32_e32 v15, vcc, 0, v3, vcc
	v_mov_b32_e32 v19, s11
	v_add_co_u32_e32 v14, vcc, s10, v14
	v_addc_co_u32_e32 v15, vcc, v19, v15, vcc
	v_lshlrev_b32_e32 v16, 2, v32
	v_mul_lo_u32 v4, v33, s19
	v_add_co_u32_e32 v16, vcc, s6, v16
	v_addc_co_u32_e32 v17, vcc, 0, v17, vcc
	v_lshlrev_b64 v[4:5], 2, v[4:5]
	v_add_co_u32_e32 v2, vcc, v2, v4
	s_mov_b32 s17, 0
	s_cmp_lg_u32 s16, 0
	v_addc_co_u32_e32 v3, vcc, v3, v5, vcc
	s_cselect_b64 s[34:35], -1, 0
	s_cmp_gt_i32 s19, 0
	s_mov_b32 s25, s17
	s_mov_b32 s40, s19
	;; [unrolled: 1-line block ×3, first 2 shown]
	v_add_co_u32_e32 v18, vcc, s10, v2
	s_mov_b32 s33, s21
	s_cselect_b64 s[36:37], -1, 0
	s_lshl_b64 s[38:39], s[24:25], 2
	s_lshl_b64 s[40:41], s[40:41], 2
	v_addc_co_u32_e32 v19, vcc, v19, v3, vcc
	s_mov_b64 s[10:11], 0
	v_mov_b32_e32 v35, s9
	v_mov_b32_e32 v36, s13
	s_branch .LBB180_15
.LBB180_14:                             ;   in Loop: Header=BB180_15 Depth=1
	s_or_b64 exec, exec, s[42:43]
	v_add_co_u32_e32 v10, vcc, 1, v10
	v_addc_co_u32_e32 v11, vcc, 0, v11, vcc
	v_mov_b32_e32 v2, s39
	v_add_co_u32_e32 v14, vcc, s38, v14
	v_addc_co_u32_e32 v15, vcc, v15, v2, vcc
	v_cmp_ge_i64_e32 vcc, v[10:11], v[8:9]
	s_or_b64 s[10:11], vcc, s[10:11]
	v_add_co_u32_e32 v18, vcc, s38, v18
	v_addc_co_u32_e32 v19, vcc, v19, v2, vcc
	s_andn2_b64 exec, exec, s[10:11]
	s_cbranch_execz .LBB180_40
.LBB180_15:                             ; =>This Loop Header: Depth=1
                                        ;     Child Loop BB180_18 Depth 2
                                        ;       Child Loop BB180_22 Depth 3
                                        ;       Child Loop BB180_27 Depth 3
	;; [unrolled: 1-line block ×3, first 2 shown]
	v_lshlrev_b64 v[2:3], 2, v[10:11]
	v_add_co_u32_e32 v2, vcc, s8, v2
	v_addc_co_u32_e32 v3, vcc, v35, v3, vcc
	global_load_dword v2, v[2:3], off
	s_waitcnt vmcnt(0)
	v_subrev_u32_e32 v2, s20, v2
	v_ashrrev_i32_e32 v3, 31, v2
	v_lshlrev_b64 v[2:3], 3, v[2:3]
	v_add_co_u32_e32 v2, vcc, s12, v2
	v_addc_co_u32_e32 v3, vcc, v36, v3, vcc
	global_load_dwordx4 v[2:5], v[2:3], off
	s_waitcnt vmcnt(0)
	v_cmp_lt_i64_e32 vcc, v[2:3], v[4:5]
	s_and_saveexec_b64 s[42:43], vcc
	s_cbranch_execz .LBB180_14
; %bb.16:                               ;   in Loop: Header=BB180_15 Depth=1
	v_mov_b32_e32 v20, s17
	v_subrev_co_u32_e32 v4, vcc, s33, v4
	v_subb_co_u32_e32 v5, vcc, v5, v20, vcc
	v_subrev_co_u32_e32 v2, vcc, s33, v2
	v_subb_co_u32_e32 v3, vcc, v3, v20, vcc
	v_mad_u64_u32 v[20:21], s[6:7], s38, v2, v[12:13]
	v_mul_lo_u32 v24, s38, v3
	v_mul_lo_u32 v25, s39, v2
	v_mad_u64_u32 v[22:23], s[6:7], s38, v2, v[16:17]
	v_add3_u32 v21, v25, v21, v24
	v_add3_u32 v23, v25, v23, v24
	s_mov_b64 s[44:45], 0
	s_branch .LBB180_18
.LBB180_17:                             ;   in Loop: Header=BB180_18 Depth=2
	s_or_b64 exec, exec, s[46:47]
	v_add_co_u32_e32 v2, vcc, 1, v2
	v_addc_co_u32_e32 v3, vcc, 0, v3, vcc
	v_mov_b32_e32 v24, s39
	v_add_co_u32_e32 v20, vcc, s38, v20
	v_addc_co_u32_e32 v21, vcc, v21, v24, vcc
	v_cmp_ge_i64_e32 vcc, v[2:3], v[4:5]
	s_or_b64 s[44:45], vcc, s[44:45]
	v_add_co_u32_e32 v22, vcc, s38, v22
	v_addc_co_u32_e32 v23, vcc, v23, v24, vcc
	s_andn2_b64 exec, exec, s[44:45]
	s_cbranch_execz .LBB180_14
.LBB180_18:                             ;   Parent Loop BB180_15 Depth=1
                                        ; =>  This Loop Header: Depth=2
                                        ;       Child Loop BB180_22 Depth 3
                                        ;       Child Loop BB180_27 Depth 3
	;; [unrolled: 1-line block ×3, first 2 shown]
	s_and_saveexec_b64 s[46:47], s[2:3]
	s_cbranch_execz .LBB180_17
; %bb.19:                               ;   in Loop: Header=BB180_18 Depth=2
	v_lshlrev_b64 v[24:25], 2, v[2:3]
	v_mov_b32_e32 v26, s15
	v_add_co_u32_e32 v24, vcc, s14, v24
	v_addc_co_u32_e32 v25, vcc, v26, v25, vcc
	global_load_dword v37, v[24:25], off
	v_cndmask_b32_e64 v24, 0, 1, s[36:37]
	s_andn2_b64 vcc, exec, s[34:35]
	v_cmp_ne_u32_e64 s[6:7], 1, v24
	s_cbranch_vccnz .LBB180_24
; %bb.20:                               ;   in Loop: Header=BB180_18 Depth=2
	v_mov_b32_e32 v38, 0
	s_and_b64 vcc, exec, s[6:7]
	s_cbranch_vccnz .LBB180_23
; %bb.21:                               ;   in Loop: Header=BB180_18 Depth=2
	v_pk_mov_b32 v[24:25], v[14:15], v[14:15] op_sel:[0,1]
	v_pk_mov_b32 v[26:27], v[20:21], v[20:21] op_sel:[0,1]
	s_mov_b32 s9, s19
.LBB180_22:                             ;   Parent Loop BB180_15 Depth=1
                                        ;     Parent Loop BB180_18 Depth=2
                                        ; =>    This Inner Loop Header: Depth=3
	global_load_dword v39, v[24:25], off
	global_load_dword v40, v[26:27], off
	v_add_co_u32_e32 v26, vcc, 4, v26
	v_addc_co_u32_e32 v27, vcc, 0, v27, vcc
	s_add_i32 s9, s9, -1
	v_mov_b32_e32 v41, s41
	v_add_co_u32_e32 v24, vcc, s40, v24
	v_addc_co_u32_e32 v25, vcc, v25, v41, vcc
	s_cmp_lg_u32 s9, 0
	s_waitcnt vmcnt(0)
	v_fmac_f32_e32 v38, v39, v40
	s_cbranch_scc1 .LBB180_22
.LBB180_23:                             ;   in Loop: Header=BB180_18 Depth=2
	s_cbranch_execz .LBB180_25
	s_branch .LBB180_28
.LBB180_24:                             ;   in Loop: Header=BB180_18 Depth=2
                                        ; implicit-def: $vgpr38
.LBB180_25:                             ;   in Loop: Header=BB180_18 Depth=2
	v_mov_b32_e32 v38, 0
	s_and_b64 vcc, exec, s[6:7]
	s_cbranch_vccnz .LBB180_28
; %bb.26:                               ;   in Loop: Header=BB180_18 Depth=2
	v_pk_mov_b32 v[24:25], v[18:19], v[18:19] op_sel:[0,1]
	v_pk_mov_b32 v[26:27], v[22:23], v[22:23] op_sel:[0,1]
	s_mov_b32 s6, s19
.LBB180_27:                             ;   Parent Loop BB180_15 Depth=1
                                        ;     Parent Loop BB180_18 Depth=2
                                        ; =>    This Inner Loop Header: Depth=3
	global_load_dword v39, v[24:25], off
	global_load_dword v40, v[26:27], off
	v_add_co_u32_e32 v24, vcc, 4, v24
	v_addc_co_u32_e32 v25, vcc, 0, v25, vcc
	s_add_i32 s6, s6, -1
	v_mov_b32_e32 v41, s41
	v_add_co_u32_e32 v26, vcc, s40, v26
	v_addc_co_u32_e32 v27, vcc, v27, v41, vcc
	s_cmp_eq_u32 s6, 0
	s_waitcnt vmcnt(0)
	v_fmac_f32_e32 v38, v39, v40
	s_cbranch_scc0 .LBB180_27
.LBB180_28:                             ;   in Loop: Header=BB180_18 Depth=2
	s_waitcnt vmcnt(0)
	v_subrev_u32_e32 v24, s21, v37
	v_mul_f32_e32 v25, v1, v38
	v_and_b32_e32 v26, 7, v24
	s_mov_b64 s[6:7], 0
	s_branch .LBB180_30
.LBB180_29:                             ;   in Loop: Header=BB180_30 Depth=3
	s_or_b64 exec, exec, s[48:49]
	s_xor_b64 s[48:49], s[50:51], -1
	s_and_b64 s[48:49], exec, s[48:49]
	s_or_b64 s[6:7], s[48:49], s[6:7]
	s_andn2_b64 exec, exec, s[6:7]
	s_cbranch_execz .LBB180_17
.LBB180_30:                             ;   Parent Loop BB180_15 Depth=1
                                        ;     Parent Loop BB180_18 Depth=2
                                        ; =>    This Inner Loop Header: Depth=3
	v_lshl_add_u32 v27, v26, 2, v28
	ds_read_b32 v37, v27
                                        ; implicit-def: $sgpr50_sgpr51
	s_waitcnt lgkmcnt(0)
	v_cmp_ne_u32_e32 vcc, v37, v24
	s_and_saveexec_b64 s[48:49], vcc
	s_xor_b64 s[48:49], exec, s[48:49]
	s_cbranch_execz .LBB180_38
; %bb.31:                               ;   in Loop: Header=BB180_30 Depth=3
	v_cmp_ne_u32_e32 vcc, s18, v37
                                        ; implicit-def: $sgpr50_sgpr51
	s_and_saveexec_b64 s[52:53], vcc
	s_xor_b64 s[52:53], exec, s[52:53]
; %bb.32:                               ;   in Loop: Header=BB180_30 Depth=3
	v_add_u32_e32 v26, 1, v26
	v_and_b32_e32 v26, 7, v26
	s_mov_b64 s[50:51], -1
                                        ; implicit-def: $vgpr27
; %bb.33:                               ;   in Loop: Header=BB180_30 Depth=3
	s_andn2_saveexec_b64 s[52:53], s[52:53]
	s_cbranch_execz .LBB180_37
; %bb.34:                               ;   in Loop: Header=BB180_30 Depth=3
	v_mov_b32_e32 v37, s18
	ds_cmpst_rtn_b32 v27, v27, v37, v24
	s_mov_b64 s[56:57], -1
	s_waitcnt lgkmcnt(0)
	v_cmp_eq_u32_e32 vcc, s18, v27
	s_and_saveexec_b64 s[54:55], vcc
	s_cbranch_execz .LBB180_36
; %bb.35:                               ;   in Loop: Header=BB180_30 Depth=3
	v_lshlrev_b32_e32 v27, 2, v34
	v_lshl_or_b32 v27, v26, 8, v27
	v_add_u32_e32 v27, v31, v27
	ds_add_f32 v27, v25
	s_xor_b64 s[56:57], exec, -1
.LBB180_36:                             ;   in Loop: Header=BB180_30 Depth=3
	s_or_b64 exec, exec, s[54:55]
	s_andn2_b64 s[50:51], s[50:51], exec
	s_and_b64 s[54:55], s[56:57], exec
	s_or_b64 s[50:51], s[50:51], s[54:55]
.LBB180_37:                             ;   in Loop: Header=BB180_30 Depth=3
	s_or_b64 exec, exec, s[52:53]
	s_and_b64 s[50:51], s[50:51], exec
.LBB180_38:                             ;   in Loop: Header=BB180_30 Depth=3
	s_andn2_saveexec_b64 s[48:49], s[48:49]
	s_cbranch_execz .LBB180_29
; %bb.39:                               ;   in Loop: Header=BB180_30 Depth=3
	v_lshlrev_b32_e32 v27, 2, v34
	v_lshl_or_b32 v27, v26, 8, v27
	v_add_u32_e32 v27, v31, v27
	ds_add_f32 v27, v25
	s_andn2_b64 s[50:51], s[50:51], exec
	s_branch .LBB180_29
.LBB180_40:
	s_or_b64 exec, exec, s[30:31]
.LBB180_41:
	s_load_dwordx2 s[8:9], s[4:5], 0x80
	s_andn2_b64 vcc, exec, s[0:1]
	s_waitcnt lgkmcnt(0)
	s_barrier
	s_cbranch_vccnz .LBB180_59
; %bb.42:
	s_load_dwordx2 s[0:1], s[4:5], 0x60
	s_waitcnt lgkmcnt(0)
	v_mov_b32_e32 v1, s1
	v_add_co_u32_e32 v2, vcc, s0, v6
	v_addc_co_u32_e32 v3, vcc, v1, v7, vcc
	global_load_dwordx4 v[2:5], v[2:3], off
	s_waitcnt vmcnt(0)
	v_cmp_lt_i64_e32 vcc, v[2:3], v[4:5]
	s_and_saveexec_b64 s[2:3], vcc
	s_cbranch_execz .LBB180_58
; %bb.43:
	s_load_dwordx4 s[4:7], s[4:5], 0x68
	v_subrev_co_u32_e32 v4, vcc, s23, v4
	v_subbrev_co_u32_e32 v5, vcc, 0, v5, vcc
	v_subrev_co_u32_e32 v2, vcc, s23, v2
	v_mul_lo_u32 v8, v32, s19
	v_mov_b32_e32 v9, 0
	v_subbrev_co_u32_e32 v3, vcc, 0, v3, vcc
	v_max_i32_e32 v1, v32, v33
	v_lshlrev_b64 v[10:11], 2, v[8:9]
	v_cmp_gt_i32_e32 vcc, s19, v1
	s_waitcnt lgkmcnt(0)
	v_mov_b32_e32 v1, s7
	v_add_co_u32_e64 v8, s[0:1], s6, v10
	v_addc_co_u32_e64 v10, s[0:1], v1, v11, s[0:1]
	v_lshlrev_b32_e32 v11, 2, v33
	v_add_co_u32_e64 v11, s[0:1], v8, v11
	v_mul_lo_u32 v8, v33, s19
	v_addc_co_u32_e64 v10, s[0:1], 0, v10, s[0:1]
	v_lshlrev_b64 v[8:9], 2, v[8:9]
	v_add_co_u32_e64 v8, s[0:1], s6, v8
	v_addc_co_u32_e64 v1, s[0:1], v1, v9, s[0:1]
	v_lshlrev_b32_e32 v9, 2, v32
	v_add_co_u32_e64 v8, s[0:1], v8, v9
	s_cmp_eq_u32 s16, 0
	v_addc_co_u32_e64 v1, s[0:1], 0, v1, s[0:1]
	s_cselect_b64 s[0:1], -1, 0
	v_cndmask_b32_e64 v1, v10, v1, s[0:1]
	v_cndmask_b32_e64 v8, v11, v8, s[0:1]
	s_mov_b64 s[6:7], 0
	v_lshlrev_b32_e32 v9, 2, v34
	s_branch .LBB180_45
.LBB180_44:                             ;   in Loop: Header=BB180_45 Depth=1
	s_or_b64 exec, exec, s[10:11]
	v_add_co_u32_e64 v2, s[0:1], 1, v2
	v_addc_co_u32_e64 v3, s[0:1], 0, v3, s[0:1]
	v_cmp_ge_i64_e64 s[0:1], v[2:3], v[4:5]
	s_or_b64 s[6:7], s[0:1], s[6:7]
	s_andn2_b64 exec, exec, s[6:7]
	s_cbranch_execz .LBB180_58
.LBB180_45:                             ; =>This Loop Header: Depth=1
                                        ;     Child Loop BB180_48 Depth 2
	s_and_saveexec_b64 s[10:11], vcc
	s_cbranch_execz .LBB180_44
; %bb.46:                               ;   in Loop: Header=BB180_45 Depth=1
	v_lshlrev_b64 v[10:11], 2, v[2:3]
	v_mov_b32_e32 v12, s5
	v_add_co_u32_e64 v10, s[0:1], s4, v10
	v_addc_co_u32_e64 v11, s[0:1], v12, v11, s[0:1]
	global_load_dword v14, v[10:11], off
	v_mad_u64_u32 v[10:11], s[0:1], v2, s24, 0
	v_mov_b32_e32 v12, v11
	v_mad_u64_u32 v[12:13], s[0:1], v3, s24, v[12:13]
	v_mov_b32_e32 v11, v12
	v_lshlrev_b64 v[10:11], 2, v[10:11]
	v_add_co_u32_e64 v10, s[0:1], v8, v10
	v_addc_co_u32_e64 v11, s[0:1], v1, v11, s[0:1]
	global_load_dword v11, v[10:11], off
	s_mov_b64 s[12:13], 0
	s_waitcnt vmcnt(1)
	v_subrev_u32_e32 v10, s23, v14
	v_and_b32_e32 v12, 7, v10
	s_waitcnt vmcnt(0)
	v_mul_f32_e32 v11, v30, v11
	s_branch .LBB180_48
.LBB180_47:                             ;   in Loop: Header=BB180_48 Depth=2
	s_or_b64 exec, exec, s[0:1]
	s_xor_b64 s[0:1], s[20:21], -1
	s_and_b64 s[0:1], exec, s[0:1]
	s_or_b64 s[12:13], s[0:1], s[12:13]
	s_andn2_b64 exec, exec, s[12:13]
	s_cbranch_execz .LBB180_44
.LBB180_48:                             ;   Parent Loop BB180_45 Depth=1
                                        ; =>  This Inner Loop Header: Depth=2
	v_lshl_add_u32 v13, v12, 2, v28
	ds_read_b32 v14, v13
                                        ; implicit-def: $sgpr20_sgpr21
	s_waitcnt lgkmcnt(0)
	v_cmp_ne_u32_e64 s[0:1], v14, v10
	s_and_saveexec_b64 s[14:15], s[0:1]
	s_xor_b64 s[14:15], exec, s[14:15]
	s_cbranch_execz .LBB180_56
; %bb.49:                               ;   in Loop: Header=BB180_48 Depth=2
	v_cmp_ne_u32_e64 s[0:1], s18, v14
                                        ; implicit-def: $sgpr20_sgpr21
	s_and_saveexec_b64 s[30:31], s[0:1]
	s_xor_b64 s[0:1], exec, s[30:31]
; %bb.50:                               ;   in Loop: Header=BB180_48 Depth=2
	v_add_u32_e32 v12, 1, v12
	v_and_b32_e32 v12, 7, v12
	s_mov_b64 s[20:21], -1
                                        ; implicit-def: $vgpr13
; %bb.51:                               ;   in Loop: Header=BB180_48 Depth=2
	s_andn2_saveexec_b64 s[30:31], s[0:1]
	s_cbranch_execz .LBB180_55
; %bb.52:                               ;   in Loop: Header=BB180_48 Depth=2
	v_mov_b32_e32 v14, s18
	ds_cmpst_rtn_b32 v13, v13, v14, v10
	s_mov_b64 s[34:35], -1
	s_waitcnt lgkmcnt(0)
	v_cmp_eq_u32_e64 s[0:1], s18, v13
	s_and_saveexec_b64 s[36:37], s[0:1]
	s_cbranch_execz .LBB180_54
; %bb.53:                               ;   in Loop: Header=BB180_48 Depth=2
	v_lshl_or_b32 v13, v12, 8, v9
	v_add_u32_e32 v13, v31, v13
	ds_add_f32 v13, v11
	s_xor_b64 s[34:35], exec, -1
.LBB180_54:                             ;   in Loop: Header=BB180_48 Depth=2
	s_or_b64 exec, exec, s[36:37]
	s_andn2_b64 s[0:1], s[20:21], exec
	s_and_b64 s[20:21], s[34:35], exec
	s_or_b64 s[20:21], s[0:1], s[20:21]
.LBB180_55:                             ;   in Loop: Header=BB180_48 Depth=2
	s_or_b64 exec, exec, s[30:31]
	s_and_b64 s[20:21], s[20:21], exec
.LBB180_56:                             ;   in Loop: Header=BB180_48 Depth=2
	s_andn2_saveexec_b64 s[0:1], s[14:15]
	s_cbranch_execz .LBB180_47
; %bb.57:                               ;   in Loop: Header=BB180_48 Depth=2
	v_lshl_or_b32 v13, v12, 8, v9
	v_add_u32_e32 v13, v31, v13
	ds_add_f32 v13, v11
	s_andn2_b64 s[20:21], s[20:21], exec
	s_branch .LBB180_47
.LBB180_58:
	s_or_b64 exec, exec, s[2:3]
.LBB180_59:
	v_mov_b32_e32 v1, s29
	v_add_co_u32_e32 v2, vcc, s28, v6
	v_addc_co_u32_e32 v3, vcc, v1, v7, vcc
	s_waitcnt lgkmcnt(0)
	s_barrier
	global_load_dwordx2 v[6:7], v[2:3], off
	v_max_i32_e32 v1, v32, v33
	v_mul_lo_u32 v2, v33, s19
	v_mov_b32_e32 v3, 0
	s_cmp_eq_u32 s16, 0
	v_and_b32_e32 v9, 56, v0
	v_cmp_gt_i32_e32 vcc, s19, v1
	v_lshlrev_b64 v[0:1], 2, v[2:3]
	v_lshlrev_b32_e32 v4, 3, v32
	v_mov_b32_e32 v5, s27
	v_lshlrev_b32_e32 v8, 2, v32
	s_cselect_b64 s[0:1], -1, 0
	v_add_co_u32_e64 v0, s[2:3], s26, v0
	v_cndmask_b32_e64 v4, v4, v9, s[0:1]
	v_addc_co_u32_e64 v1, s[2:3], v5, v1, s[2:3]
	v_cndmask_b32_e64 v5, v33, v32, s[0:1]
	v_add_co_u32_e64 v2, s[0:1], v0, v8
	v_addc_co_u32_e64 v3, s[0:1], 0, v1, s[0:1]
	v_or_b32_e32 v0, v5, v4
	v_mov_b32_e32 v10, 0x2000
	v_lshlrev_b32_e32 v0, 2, v0
	s_mov_b32 s4, 0
	v_lshl_or_b32 v4, v29, 11, v0
	s_waitcnt vmcnt(0)
	v_subrev_co_u32_e64 v5, s[0:1], s22, v6
	v_subbrev_co_u32_e64 v6, s[0:1], 0, v7, s[0:1]
	v_lshl_or_b32 v7, v29, 5, v10
	s_branch .LBB180_61
.LBB180_60:                             ;   in Loop: Header=BB180_61 Depth=1
	s_or_b64 exec, exec, s[2:3]
	s_add_i32 s4, s4, 4
	s_cmp_lg_u32 s4, 32
	v_add_u32_e32 v4, 0x100, v4
	s_cbranch_scc0 .LBB180_64
.LBB180_61:                             ; =>This Inner Loop Header: Depth=1
	v_add_u32_e32 v0, s4, v7
	ds_read_b32 v8, v0
	s_waitcnt lgkmcnt(0)
	v_cmp_gt_i32_e64 s[0:1], s18, v8
	s_and_saveexec_b64 s[2:3], s[0:1]
	s_cbranch_execz .LBB180_60
; %bb.62:                               ;   in Loop: Header=BB180_61 Depth=1
	ds_read_b128 v[10:13], v28
	ds_read_b128 v[14:17], v28 offset:16
	s_waitcnt lgkmcnt(1)
	v_cmp_gt_i32_e64 s[0:1], v8, v10
	v_cndmask_b32_e64 v0, 0, 1, s[0:1]
	v_add_co_u32_e64 v0, s[0:1], v5, v0
	v_addc_co_u32_e64 v1, s[0:1], 0, v6, s[0:1]
	v_cmp_gt_i32_e64 s[0:1], v8, v11
	v_cndmask_b32_e64 v9, 0, 1, s[0:1]
	v_add_co_u32_e64 v0, s[0:1], v0, v9
	v_addc_co_u32_e64 v1, s[0:1], 0, v1, s[0:1]
	;; [unrolled: 4-line block ×4, first 2 shown]
	s_waitcnt lgkmcnt(0)
	v_cmp_gt_i32_e64 s[0:1], v8, v14
	v_cndmask_b32_e64 v9, 0, 1, s[0:1]
	v_add_co_u32_e64 v0, s[0:1], v0, v9
	v_addc_co_u32_e64 v1, s[0:1], 0, v1, s[0:1]
	v_cmp_gt_i32_e64 s[0:1], v8, v15
	v_cndmask_b32_e64 v9, 0, 1, s[0:1]
	v_add_co_u32_e64 v0, s[0:1], v0, v9
	v_addc_co_u32_e64 v1, s[0:1], 0, v1, s[0:1]
	;; [unrolled: 4-line block ×4, first 2 shown]
	v_add_u32_e32 v10, s22, v8
	v_lshlrev_b64 v[8:9], 2, v[0:1]
	v_mov_b32_e32 v11, s9
	v_add_co_u32_e64 v8, s[0:1], s8, v8
	v_addc_co_u32_e64 v9, s[0:1], v11, v9, s[0:1]
	global_store_dword v[8:9], v10, off
	s_and_b64 exec, exec, vcc
	s_cbranch_execz .LBB180_60
; %bb.63:                               ;   in Loop: Header=BB180_61 Depth=1
	v_mad_u64_u32 v[8:9], s[0:1], v0, s24, 0
	v_mov_b32_e32 v0, v9
	v_mad_u64_u32 v[0:1], s[0:1], v1, s24, v[0:1]
	v_mov_b32_e32 v9, v0
	v_lshlrev_b64 v[0:1], 2, v[8:9]
	ds_read_b32 v8, v4
	v_add_co_u32_e64 v0, s[0:1], v2, v0
	v_addc_co_u32_e64 v1, s[0:1], v3, v1, s[0:1]
	s_waitcnt lgkmcnt(0)
	global_store_dword v[0:1], v8, off
	s_branch .LBB180_60
.LBB180_64:
	s_endpgm
	.section	.rodata,"a",@progbits
	.p2align	6, 0x0
	.amdhsa_kernel _ZN9rocsparseL23bsrgemm_fill_wf_per_rowILj256ELj64ELj8ELj137ELj8ElifEEv20rocsparse_direction_T5_S2_S2_PKS2_S4_NS_24const_host_device_scalarIT6_EEPKT4_S4_PKS6_SA_S4_SC_S7_SA_S4_SC_SA_PS2_PS6_21rocsparse_index_base_SF_SF_SF_bbb
		.amdhsa_group_segment_fixed_size 8320
		.amdhsa_private_segment_fixed_size 0
		.amdhsa_kernarg_size 164
		.amdhsa_user_sgpr_count 6
		.amdhsa_user_sgpr_private_segment_buffer 1
		.amdhsa_user_sgpr_dispatch_ptr 0
		.amdhsa_user_sgpr_queue_ptr 0
		.amdhsa_user_sgpr_kernarg_segment_ptr 1
		.amdhsa_user_sgpr_dispatch_id 0
		.amdhsa_user_sgpr_flat_scratch_init 0
		.amdhsa_user_sgpr_kernarg_preload_length 0
		.amdhsa_user_sgpr_kernarg_preload_offset 0
		.amdhsa_user_sgpr_private_segment_size 0
		.amdhsa_uses_dynamic_stack 0
		.amdhsa_system_sgpr_private_segment_wavefront_offset 0
		.amdhsa_system_sgpr_workgroup_id_x 1
		.amdhsa_system_sgpr_workgroup_id_y 0
		.amdhsa_system_sgpr_workgroup_id_z 0
		.amdhsa_system_sgpr_workgroup_info 0
		.amdhsa_system_vgpr_workitem_id 0
		.amdhsa_next_free_vgpr 42
		.amdhsa_next_free_sgpr 58
		.amdhsa_accum_offset 44
		.amdhsa_reserve_vcc 1
		.amdhsa_reserve_flat_scratch 0
		.amdhsa_float_round_mode_32 0
		.amdhsa_float_round_mode_16_64 0
		.amdhsa_float_denorm_mode_32 3
		.amdhsa_float_denorm_mode_16_64 3
		.amdhsa_dx10_clamp 1
		.amdhsa_ieee_mode 1
		.amdhsa_fp16_overflow 0
		.amdhsa_tg_split 0
		.amdhsa_exception_fp_ieee_invalid_op 0
		.amdhsa_exception_fp_denorm_src 0
		.amdhsa_exception_fp_ieee_div_zero 0
		.amdhsa_exception_fp_ieee_overflow 0
		.amdhsa_exception_fp_ieee_underflow 0
		.amdhsa_exception_fp_ieee_inexact 0
		.amdhsa_exception_int_div_zero 0
	.end_amdhsa_kernel
	.section	.text._ZN9rocsparseL23bsrgemm_fill_wf_per_rowILj256ELj64ELj8ELj137ELj8ElifEEv20rocsparse_direction_T5_S2_S2_PKS2_S4_NS_24const_host_device_scalarIT6_EEPKT4_S4_PKS6_SA_S4_SC_S7_SA_S4_SC_SA_PS2_PS6_21rocsparse_index_base_SF_SF_SF_bbb,"axG",@progbits,_ZN9rocsparseL23bsrgemm_fill_wf_per_rowILj256ELj64ELj8ELj137ELj8ElifEEv20rocsparse_direction_T5_S2_S2_PKS2_S4_NS_24const_host_device_scalarIT6_EEPKT4_S4_PKS6_SA_S4_SC_S7_SA_S4_SC_SA_PS2_PS6_21rocsparse_index_base_SF_SF_SF_bbb,comdat
.Lfunc_end180:
	.size	_ZN9rocsparseL23bsrgemm_fill_wf_per_rowILj256ELj64ELj8ELj137ELj8ElifEEv20rocsparse_direction_T5_S2_S2_PKS2_S4_NS_24const_host_device_scalarIT6_EEPKT4_S4_PKS6_SA_S4_SC_S7_SA_S4_SC_SA_PS2_PS6_21rocsparse_index_base_SF_SF_SF_bbb, .Lfunc_end180-_ZN9rocsparseL23bsrgemm_fill_wf_per_rowILj256ELj64ELj8ELj137ELj8ElifEEv20rocsparse_direction_T5_S2_S2_PKS2_S4_NS_24const_host_device_scalarIT6_EEPKT4_S4_PKS6_SA_S4_SC_S7_SA_S4_SC_SA_PS2_PS6_21rocsparse_index_base_SF_SF_SF_bbb
                                        ; -- End function
	.section	.AMDGPU.csdata,"",@progbits
; Kernel info:
; codeLenInByte = 2772
; NumSgprs: 62
; NumVgprs: 42
; NumAgprs: 0
; TotalNumVgprs: 42
; ScratchSize: 0
; MemoryBound: 0
; FloatMode: 240
; IeeeMode: 1
; LDSByteSize: 8320 bytes/workgroup (compile time only)
; SGPRBlocks: 7
; VGPRBlocks: 5
; NumSGPRsForWavesPerEU: 62
; NumVGPRsForWavesPerEU: 42
; AccumOffset: 44
; Occupancy: 7
; WaveLimiterHint : 1
; COMPUTE_PGM_RSRC2:SCRATCH_EN: 0
; COMPUTE_PGM_RSRC2:USER_SGPR: 6
; COMPUTE_PGM_RSRC2:TRAP_HANDLER: 0
; COMPUTE_PGM_RSRC2:TGID_X_EN: 1
; COMPUTE_PGM_RSRC2:TGID_Y_EN: 0
; COMPUTE_PGM_RSRC2:TGID_Z_EN: 0
; COMPUTE_PGM_RSRC2:TIDIG_COMP_CNT: 0
; COMPUTE_PGM_RSRC3_GFX90A:ACCUM_OFFSET: 10
; COMPUTE_PGM_RSRC3_GFX90A:TG_SPLIT: 0
	.section	.text._ZN9rocsparseL38bsrgemm_block_per_row_atomic_multipassILj256ELj16ELj8ElifEEv20rocsparse_direction_T3_S2_PKS2_S4_NS_24const_host_device_scalarIT4_EEPKT2_S4_PKS6_SA_S4_SC_S7_SA_S4_SC_SA_PS2_PS6_PS8_21rocsparse_index_base_SG_SG_SG_bbb,"axG",@progbits,_ZN9rocsparseL38bsrgemm_block_per_row_atomic_multipassILj256ELj16ELj8ElifEEv20rocsparse_direction_T3_S2_PKS2_S4_NS_24const_host_device_scalarIT4_EEPKT2_S4_PKS6_SA_S4_SC_S7_SA_S4_SC_SA_PS2_PS6_PS8_21rocsparse_index_base_SG_SG_SG_bbb,comdat
	.globl	_ZN9rocsparseL38bsrgemm_block_per_row_atomic_multipassILj256ELj16ELj8ElifEEv20rocsparse_direction_T3_S2_PKS2_S4_NS_24const_host_device_scalarIT4_EEPKT2_S4_PKS6_SA_S4_SC_S7_SA_S4_SC_SA_PS2_PS6_PS8_21rocsparse_index_base_SG_SG_SG_bbb ; -- Begin function _ZN9rocsparseL38bsrgemm_block_per_row_atomic_multipassILj256ELj16ELj8ElifEEv20rocsparse_direction_T3_S2_PKS2_S4_NS_24const_host_device_scalarIT4_EEPKT2_S4_PKS6_SA_S4_SC_S7_SA_S4_SC_SA_PS2_PS6_PS8_21rocsparse_index_base_SG_SG_SG_bbb
	.p2align	8
	.type	_ZN9rocsparseL38bsrgemm_block_per_row_atomic_multipassILj256ELj16ELj8ElifEEv20rocsparse_direction_T3_S2_PKS2_S4_NS_24const_host_device_scalarIT4_EEPKT2_S4_PKS6_SA_S4_SC_S7_SA_S4_SC_SA_PS2_PS6_PS8_21rocsparse_index_base_SG_SG_SG_bbb,@function
_ZN9rocsparseL38bsrgemm_block_per_row_atomic_multipassILj256ELj16ELj8ElifEEv20rocsparse_direction_T3_S2_PKS2_S4_NS_24const_host_device_scalarIT4_EEPKT2_S4_PKS6_SA_S4_SC_S7_SA_S4_SC_SA_PS2_PS6_PS8_21rocsparse_index_base_SG_SG_SG_bbb: ; @_ZN9rocsparseL38bsrgemm_block_per_row_atomic_multipassILj256ELj16ELj8ElifEEv20rocsparse_direction_T3_S2_PKS2_S4_NS_24const_host_device_scalarIT4_EEPKT2_S4_PKS6_SA_S4_SC_S7_SA_S4_SC_SA_PS2_PS6_PS8_21rocsparse_index_base_SG_SG_SG_bbb
; %bb.0:
	s_load_dword s7, s[4:5], 0xa8
	s_load_dwordx4 s[44:47], s[4:5], 0x98
	s_load_dwordx2 s[0:1], s[4:5], 0x20
	s_load_dwordx2 s[8:9], s[4:5], 0x58
	s_waitcnt lgkmcnt(0)
	s_bitcmp1_b32 s7, 0
	s_cselect_b64 s[12:13], -1, 0
	s_bitcmp1_b32 s7, 16
	s_cselect_b64 s[10:11], -1, 0
	s_xor_b64 s[2:3], s[12:13], -1
	s_or_b64 s[2:3], s[2:3], s[10:11]
	s_and_b64 vcc, exec, s[2:3]
	s_cbranch_vccnz .LBB181_2
; %bb.1:
	s_load_dword s0, s[0:1], 0x0
	s_waitcnt lgkmcnt(0)
	v_mov_b32_e32 v28, s0
	s_branch .LBB181_3
.LBB181_2:
	v_mov_b32_e32 v1, s0
	v_cndmask_b32_e64 v28, 0, v1, s[12:13]
.LBB181_3:
	s_load_dwordx2 s[2:3], s[4:5], 0x18
	s_bitcmp1_b32 s7, 8
	s_cselect_b64 s[0:1], -1, 0
	s_xor_b64 s[14:15], s[0:1], -1
	s_or_b64 s[10:11], s[14:15], s[10:11]
	s_and_b64 vcc, exec, s[10:11]
	s_cbranch_vccnz .LBB181_5
; %bb.4:
	s_load_dword s7, s[8:9], 0x0
	s_waitcnt lgkmcnt(0)
	v_mov_b32_e32 v29, s7
	s_load_dwordx2 s[8:9], s[4:5], 0x28
	s_cmp_eq_u64 s[2:3], 0
	s_mov_b64 s[34:35], 0
	s_cbranch_scc0 .LBB181_6
	s_branch .LBB181_7
.LBB181_5:
	v_mov_b32_e32 v1, s8
	v_cndmask_b32_e64 v29, 0, v1, s[0:1]
	s_load_dwordx2 s[8:9], s[4:5], 0x28
	s_waitcnt lgkmcnt(0)
	s_cmp_eq_u64 s[2:3], 0
	s_mov_b64 s[34:35], 0
	s_cbranch_scc1 .LBB181_7
.LBB181_6:
	s_load_dwordx2 s[10:11], s[4:5], 0x10
	s_waitcnt lgkmcnt(0)
	s_load_dword s7, s[10:11], 0x0
	s_waitcnt lgkmcnt(0)
	s_add_i32 s6, s7, s6
	s_mov_b32 s7, 0
	s_lshl_b64 s[6:7], s[6:7], 2
	s_add_u32 s2, s2, s6
	s_addc_u32 s3, s3, s7
	s_load_dword s6, s[2:3], 0x0
.LBB181_7:
	v_cndmask_b32_e64 v1, 0, 1, s[12:13]
	v_cmp_ne_u32_e64 s[2:3], 1, v1
	s_andn2_b64 vcc, exec, s[12:13]
	s_cbranch_vccz .LBB181_10
; %bb.8:
	s_and_b64 vcc, exec, s[2:3]
	s_mov_b64 s[56:57], 0
	s_cbranch_vccz .LBB181_11
.LBB181_9:
	s_load_dwordx4 s[48:51], s[4:5], 0x0
	s_waitcnt lgkmcnt(0)
	s_cmp_lt_i32 s49, 1
	s_cbranch_scc0 .LBB181_12
	s_branch .LBB181_94
.LBB181_10:
	s_waitcnt lgkmcnt(0)
	s_ashr_i32 s7, s6, 31
	s_lshl_b64 s[10:11], s[6:7], 3
	s_add_u32 s10, s8, s10
	s_addc_u32 s11, s9, s11
	s_load_dwordx2 s[10:11], s[10:11], 0x0
	s_waitcnt lgkmcnt(0)
	s_sub_u32 s34, s10, s44
	s_subb_u32 s35, s11, 0
	s_and_b64 vcc, exec, s[2:3]
	s_mov_b64 s[56:57], 0
	s_cbranch_vccnz .LBB181_9
.LBB181_11:
	s_waitcnt lgkmcnt(0)
	s_ashr_i32 s7, s6, 31
	s_lshl_b64 s[2:3], s[6:7], 3
	s_add_u32 s2, s8, s2
	s_addc_u32 s3, s9, s3
	s_load_dwordx2 s[2:3], s[2:3], 0x8
	s_waitcnt lgkmcnt(0)
	s_sub_u32 s56, s2, s44
	s_subb_u32 s57, s3, 0
	s_load_dwordx4 s[48:51], s[4:5], 0x0
	s_waitcnt lgkmcnt(0)
	s_cmp_lt_i32 s49, 1
	s_cbranch_scc1 .LBB181_94
.LBB181_12:
	s_load_dwordx2 s[58:59], s[4:5], 0x90
	s_load_dwordx4 s[52:55], s[4:5], 0x80
	s_load_dwordx8 s[24:31], s[4:5], 0x60
	s_load_dwordx2 s[22:23], s[4:5], 0x50
	s_load_dwordx8 s[36:43], s[4:5], 0x30
	v_and_b32_e32 v30, 7, v0
	v_bfe_u32 v3, v0, 3, 3
	v_pk_mov_b32 v[4:5], s[56:57], s[56:57] op_sel:[0,1]
	s_ashr_i32 s7, s6, 31
	v_cmp_lt_i64_e32 vcc, s[34:35], v[4:5]
	v_max_i32_e32 v4, v30, v3
	s_lshl_b64 s[10:11], s[6:7], 3
	v_mov_b32_e32 v5, 0
	v_cmp_gt_i32_e64 s[6:7], s50, v4
	v_mul_lo_u32 v4, v3, s50
	v_lshlrev_b64 v[6:7], 2, v[4:5]
	s_waitcnt lgkmcnt(0)
	v_mov_b32_e32 v4, s39
	v_add_co_u32_e64 v8, s[8:9], s38, v6
	v_addc_co_u32_e64 v4, s[8:9], v4, v7, s[8:9]
	v_lshlrev_b32_e32 v10, 2, v30
	v_add_co_u32_e64 v33, s[8:9], v8, v10
	v_addc_co_u32_e64 v34, s[8:9], 0, v4, s[8:9]
	v_mul_lo_u32 v4, v30, s50
	v_lshlrev_b64 v[8:9], 2, v[4:5]
	v_mov_b32_e32 v4, s55
	v_add_co_u32_e64 v11, s[8:9], s54, v8
	v_lshlrev_b32_e32 v3, 2, v3
	v_addc_co_u32_e64 v12, s[8:9], v4, v9, s[8:9]
	v_add_co_u32_e64 v11, s[8:9], v11, v3
	v_addc_co_u32_e64 v12, s[8:9], 0, v12, s[8:9]
	v_add_co_u32_e64 v13, s[8:9], s54, v6
	;; [unrolled: 2-line block ×3, first 2 shown]
	s_add_u32 s2, s30, s10
	v_lshrrev_b32_e32 v2, 6, v0
	v_addc_co_u32_e64 v4, s[8:9], 0, v4, s[8:9]
	s_addc_u32 s3, s31, s11
	v_subrev_co_u32_e64 v36, s[8:9], s47, v2
	s_load_dwordx2 s[2:3], s[2:3], 0x0
	v_subb_co_u32_e64 v37, s[8:9], 0, 0, s[8:9]
	v_mov_b32_e32 v14, s29
	v_add_co_u32_e64 v15, s[8:9], s28, v8
	v_addc_co_u32_e64 v16, s[8:9], v14, v9, s[8:9]
	v_add_co_u32_e64 v15, s[8:9], v15, v3
	v_addc_co_u32_e64 v16, s[8:9], 0, v16, s[8:9]
	s_waitcnt lgkmcnt(0)
	s_sub_u32 s64, s2, s46
	v_add_co_u32_e64 v6, s[8:9], s28, v6
	s_subb_u32 s65, s3, 0
	v_addc_co_u32_e64 v7, s[8:9], v14, v7, s[8:9]
	s_cmp_eq_u32 s48, 0
	v_add_co_u32_e64 v6, s[8:9], v6, v10
	v_and_b32_e32 v1, 63, v0
	v_cmp_gt_u32_e64 s[2:3], 16, v0
	v_cmp_eq_u32_e64 s[4:5], 0, v0
	v_lshlrev_b32_e32 v31, 2, v0
	s_cselect_b64 s[20:21], -1, 0
	s_cmp_lg_u32 s48, 0
	v_and_b32_e32 v35, 56, v0
	v_addc_co_u32_e64 v7, s[8:9], 0, v7, s[8:9]
	v_and_b32_e32 v0, 15, v0
	s_cselect_b64 s[38:39], -1, 0
	s_cmp_gt_i32 s50, 0
	v_cmp_eq_u32_e64 s[8:9], 63, v1
	v_lshlrev_b32_e32 v1, 2, v0
	s_movk_i32 s51, 0x1000
	s_cselect_b64 s[54:55], -1, 0
	s_add_u32 s24, s24, s10
	v_or_b32_e32 v38, 0x1400, v1
	v_add_u32_e32 v41, 0x13f8, v1
	v_add_u32_e32 v42, 0x13f0, v1
	;; [unrolled: 1-line block ×3, first 2 shown]
	v_cndmask_b32_e64 v1, v12, v4, s[20:21]
	v_lshlrev_b32_e32 v4, 8, v2
	s_addc_u32 s25, s25, s11
	s_and_b64 s[28:29], s[12:13], vcc
	v_or3_b32 v44, v4, v3, s51
	v_mov_b32_e32 v3, s23
	v_add_co_u32_e32 v8, vcc, s22, v8
	v_addc_co_u32_e32 v9, vcc, v3, v9, vcc
	s_add_u32 s83, s40, 8
	v_add_co_u32_e32 v10, vcc, s22, v10
	s_mov_b32 s31, 0
	v_add_co_u32_e64 v14, s[10:11], -1, v0
	v_cmp_ne_u32_e64 s[12:13], 0, v0
	v_cmp_lt_u32_e64 s[14:15], 1, v0
	v_cmp_lt_u32_e64 s[16:17], 3, v0
	;; [unrolled: 1-line block ×3, first 2 shown]
	v_cndmask_b32_e64 v0, v11, v13, s[20:21]
	s_addc_u32 s84, s41, 0
	v_addc_co_u32_e32 v11, vcc, 0, v3, vcc
	s_mul_i32 s30, s50, s50
	v_mov_b32_e32 v17, 0x1400
	s_add_u32 s85, s52, -4
	s_mov_b32 s51, s31
	v_and_b32_e32 v3, 0x3e0, v31
	v_add_co_u32_e32 v46, vcc, 4, v36
	v_or_b32_e32 v32, 0x1000, v31
	s_mov_b32 s33, s45
	s_mov_b32 s82, s31
	;; [unrolled: 1-line block ×3, first 2 shown]
	v_lshl_add_u32 v39, v14, 2, v17
	v_or_b32_e32 v40, 0x1400, v31
	v_cndmask_b32_e64 v7, v16, v7, s[20:21]
	v_cndmask_b32_e64 v6, v15, v6, s[20:21]
	s_addc_u32 s86, s53, -1
	s_lshl_b64 s[52:53], s[30:31], 2
	s_lshl_b64 s[60:61], s[50:51], 2
	v_or_b32_e32 v45, 0x1000, v3
	s_lshl_b64 s[62:63], s[30:31], 4
	v_addc_co_u32_e32 v47, vcc, 0, v37, vcc
	v_lshl_or_b32 v48, v2, 2, v17
	v_mov_b32_e32 v3, 16
	v_pk_mov_b32 v[12:13], s[64:65], s[64:65] op_sel:[0,1]
	v_mov_b32_e32 v49, 1
	s_branch .LBB181_14
.LBB181_13:                             ;   in Loop: Header=BB181_14 Depth=1
	s_or_b64 exec, exec, s[20:21]
	s_barrier
	ds_read_b32 v4, v5 offset:5184
	v_ashrrev_i32_e32 v3, 31, v14
	v_add_co_u32_e32 v12, vcc, v12, v14
	v_addc_co_u32_e32 v13, vcc, v13, v3, vcc
	s_waitcnt lgkmcnt(0)
	v_cmp_le_i32_e32 vcc, s49, v4
	v_readfirstlane_b32 s31, v4
	v_add_u32_e32 v3, 16, v4
	s_barrier
	s_cbranch_vccnz .LBB181_94
.LBB181_14:                             ; =>This Loop Header: Depth=1
                                        ;     Child Loop BB181_18 Depth 2
                                        ;     Child Loop BB181_27 Depth 2
                                        ;       Child Loop BB181_40 Depth 3
                                        ;         Child Loop BB181_49 Depth 4
                                        ;         Child Loop BB181_54 Depth 4
                                        ;     Child Loop BB181_65 Depth 2
                                        ;     Child Loop BB181_74 Depth 2
	;; [unrolled: 1-line block ×3, first 2 shown]
	s_and_saveexec_b64 s[20:21], s[2:3]
	s_cbranch_execz .LBB181_16
; %bb.15:                               ;   in Loop: Header=BB181_14 Depth=1
	ds_write_b32 v40, v5
.LBB181_16:                             ;   in Loop: Header=BB181_14 Depth=1
	s_or_b64 exec, exec, s[20:21]
	s_mov_b32 s51, 0
	s_mov_b64 s[20:21], 0
	v_mov_b32_e32 v4, v31
	s_branch .LBB181_18
.LBB181_17:                             ;   in Loop: Header=BB181_18 Depth=2
	s_or_b64 exec, exec, s[64:65]
	s_add_i32 s51, s51, 2
	v_cmp_eq_u32_e64 s[22:23], 4, s51
	s_or_b64 s[20:21], s[22:23], s[20:21]
	v_add_u32_e32 v4, 0x800, v4
	s_andn2_b64 exec, exec, s[20:21]
	s_cbranch_execz .LBB181_22
.LBB181_18:                             ;   Parent Loop BB181_14 Depth=1
                                        ; =>  This Inner Loop Header: Depth=2
	s_or_b32 s22, s51, 1
	v_cmp_le_u32_e64 s[22:23], s22, 3
	v_cmp_le_u32_e64 s[66:67], s51, 3
	s_and_saveexec_b64 s[64:65], s[66:67]
	s_cbranch_execz .LBB181_20
; %bb.19:                               ;   in Loop: Header=BB181_18 Depth=2
	ds_write_b32 v4, v5
.LBB181_20:                             ;   in Loop: Header=BB181_18 Depth=2
	s_or_b64 exec, exec, s[64:65]
	s_and_saveexec_b64 s[64:65], s[22:23]
	s_cbranch_execz .LBB181_17
; %bb.21:                               ;   in Loop: Header=BB181_18 Depth=2
	ds_write_b32 v4, v5 offset:1024
	s_branch .LBB181_17
.LBB181_22:                             ;   in Loop: Header=BB181_14 Depth=1
	s_or_b64 exec, exec, s[20:21]
	s_and_saveexec_b64 s[20:21], s[4:5]
	s_cbranch_execz .LBB181_24
; %bb.23:                               ;   in Loop: Header=BB181_14 Depth=1
	v_mov_b32_e32 v4, s49
	ds_write_b32 v5, v4 offset:5184
.LBB181_24:                             ;   in Loop: Header=BB181_14 Depth=1
	s_or_b64 exec, exec, s[20:21]
	s_andn2_b64 vcc, exec, s[28:29]
	v_mov_b32_e32 v4, s49
	s_waitcnt lgkmcnt(0)
	s_barrier
	s_cbranch_vccnz .LBB181_60
; %bb.25:                               ;   in Loop: Header=BB181_14 Depth=1
	s_cmp_lg_u32 s31, 0
	s_cselect_b64 s[64:65], -1, 0
	v_mov_b32_e32 v4, s49
	s_mov_b64 s[66:67], s[34:35]
	s_branch .LBB181_27
.LBB181_26:                             ;   in Loop: Header=BB181_27 Depth=2
	s_or_b64 exec, exec, s[22:23]
	s_add_u32 s66, s66, 4
	s_addc_u32 s67, s67, 0
	v_pk_mov_b32 v[14:15], s[56:57], s[56:57] op_sel:[0,1]
	v_cmp_lt_i64_e32 vcc, s[66:67], v[14:15]
	s_cbranch_vccz .LBB181_60
.LBB181_27:                             ;   Parent Loop BB181_14 Depth=1
                                        ; =>  This Loop Header: Depth=2
                                        ;       Child Loop BB181_40 Depth 3
                                        ;         Child Loop BB181_49 Depth 4
                                        ;         Child Loop BB181_54 Depth 4
	v_mov_b32_e32 v15, s67
	v_add_co_u32_e32 v14, vcc, s66, v2
	v_addc_co_u32_e32 v15, vcc, 0, v15, vcc
	v_cmp_gt_i64_e64 s[20:21], s[56:57], v[14:15]
	s_barrier
	s_and_saveexec_b64 s[22:23], s[20:21]
	s_cbranch_execz .LBB181_31
; %bb.28:                               ;   in Loop: Header=BB181_27 Depth=2
	v_mov_b32_e32 v16, 0
	s_and_saveexec_b64 s[68:69], s[6:7]
	s_cbranch_execz .LBB181_30
; %bb.29:                               ;   in Loop: Header=BB181_27 Depth=2
	v_mad_u64_u32 v[16:17], s[70:71], v14, s30, 0
	v_mov_b32_e32 v18, v17
	v_mad_u64_u32 v[18:19], s[70:71], v15, s30, v[18:19]
	v_mov_b32_e32 v17, v18
	v_lshlrev_b64 v[16:17], 2, v[16:17]
	v_add_co_u32_e32 v16, vcc, v33, v16
	v_addc_co_u32_e32 v17, vcc, v34, v17, vcc
	global_load_dword v16, v[16:17], off
.LBB181_30:                             ;   in Loop: Header=BB181_27 Depth=2
	s_or_b64 exec, exec, s[68:69]
	s_waitcnt vmcnt(0)
	ds_write_b32 v32, v16
.LBB181_31:                             ;   in Loop: Header=BB181_27 Depth=2
	s_or_b64 exec, exec, s[22:23]
	v_pk_mov_b32 v[16:17], 0, 0
	s_waitcnt lgkmcnt(0)
	s_barrier
	s_and_saveexec_b64 s[68:69], s[20:21]
	s_cbranch_execz .LBB181_57
; %bb.32:                               ;   in Loop: Header=BB181_27 Depth=2
	v_lshlrev_b64 v[16:17], 2, v[14:15]
	v_mov_b32_e32 v18, s37
	v_add_co_u32_e32 v16, vcc, s36, v16
	v_addc_co_u32_e32 v17, vcc, v18, v17, vcc
	global_load_dword v16, v[16:17], off
	s_and_b64 vcc, exec, s[64:65]
	s_waitcnt vmcnt(0)
	v_subrev_u32_e32 v18, s44, v16
	v_ashrrev_i32_e32 v19, 31, v18
	s_cbranch_vccz .LBB181_59
; %bb.33:                               ;   in Loop: Header=BB181_27 Depth=2
	v_lshlrev_b64 v[16:17], 3, v[14:15]
	v_mov_b32_e32 v20, s59
	v_add_co_u32_e32 v16, vcc, s58, v16
	v_addc_co_u32_e32 v17, vcc, v20, v17, vcc
	global_load_dwordx2 v[16:17], v[16:17], off
	s_cbranch_execnz .LBB181_35
.LBB181_34:                             ;   in Loop: Header=BB181_27 Depth=2
	s_waitcnt vmcnt(0)
	v_lshlrev_b64 v[16:17], 3, v[18:19]
	v_mov_b32_e32 v20, s41
	v_add_co_u32_e32 v16, vcc, s40, v16
	v_addc_co_u32_e32 v17, vcc, v20, v17, vcc
	global_load_dwordx2 v[16:17], v[16:17], off
	v_mov_b32_e32 v20, s82
	s_waitcnt vmcnt(0)
	v_subrev_co_u32_e32 v16, vcc, s33, v16
	v_subb_co_u32_e32 v17, vcc, v17, v20, vcc
.LBB181_35:                             ;   in Loop: Header=BB181_27 Depth=2
	v_lshlrev_b64 v[18:19], 3, v[18:19]
	v_mov_b32_e32 v20, s84
	v_add_co_u32_e32 v18, vcc, s83, v18
	v_addc_co_u32_e32 v19, vcc, v20, v19, vcc
	global_load_dwordx2 v[18:19], v[18:19], off
	v_mov_b32_e32 v20, s82
	s_waitcnt vmcnt(0)
	v_subrev_co_u32_e32 v18, vcc, s33, v18
	v_subb_co_u32_e32 v19, vcc, v19, v20, vcc
	v_cmp_lt_i64_e32 vcc, v[16:17], v[18:19]
	s_and_saveexec_b64 s[70:71], vcc
	s_cbranch_execz .LBB181_56
; %bb.36:                               ;   in Loop: Header=BB181_27 Depth=2
	v_mad_u64_u32 v[20:21], s[22:23], s52, v16, v[8:9]
	v_mul_lo_u32 v24, s52, v17
	v_mul_lo_u32 v25, s53, v16
	v_mad_u64_u32 v[22:23], s[22:23], s52, v16, v[10:11]
	v_add3_u32 v21, v25, v21, v24
	v_add3_u32 v23, v25, v23, v24
	s_mov_b64 s[72:73], 0
	v_pk_mov_b32 v[24:25], v[16:17], v[16:17] op_sel:[0,1]
	s_branch .LBB181_40
.LBB181_37:                             ;   in Loop: Header=BB181_40 Depth=3
	v_lshlrev_b32_e32 v26, 6, v50
	v_or3_b32 v26, v26, v35, v30
	v_lshlrev_b32_e32 v26, 2, v26
	v_mul_f32_e32 v27, v28, v51
	ds_add_f32 v26, v27
.LBB181_38:                             ;   in Loop: Header=BB181_40 Depth=3
	s_or_b64 exec, exec, s[78:79]
	s_or_b64 s[74:75], s[74:75], exec
.LBB181_39:                             ;   in Loop: Header=BB181_40 Depth=3
	s_or_b64 exec, exec, s[76:77]
	v_add_co_u32_e32 v16, vcc, 1, v16
	v_addc_co_u32_e32 v17, vcc, 0, v17, vcc
	v_cmp_ge_i64_e32 vcc, v[16:17], v[18:19]
	s_xor_b64 s[22:23], s[74:75], -1
	s_or_b64 s[22:23], s[22:23], vcc
	v_mov_b32_e32 v26, s53
	v_add_co_u32_e32 v20, vcc, s52, v20
	v_addc_co_u32_e32 v21, vcc, v21, v26, vcc
	s_and_b64 s[22:23], exec, s[22:23]
	v_add_co_u32_e32 v22, vcc, s52, v22
	s_or_b64 s[72:73], s[22:23], s[72:73]
	v_addc_co_u32_e32 v23, vcc, v23, v26, vcc
	s_andn2_b64 exec, exec, s[72:73]
	s_cbranch_execz .LBB181_55
.LBB181_40:                             ;   Parent Loop BB181_14 Depth=1
                                        ;     Parent Loop BB181_27 Depth=2
                                        ; =>    This Loop Header: Depth=3
                                        ;         Child Loop BB181_49 Depth 4
                                        ;         Child Loop BB181_54 Depth 4
	v_lshlrev_b64 v[26:27], 2, v[16:17]
	v_mov_b32_e32 v50, s43
	v_add_co_u32_e32 v26, vcc, s42, v26
	v_addc_co_u32_e32 v27, vcc, v50, v27, vcc
	global_load_dword v26, v[26:27], off
                                        ; implicit-def: $sgpr74_sgpr75
	s_waitcnt vmcnt(0)
	v_subrev_u32_e32 v26, s45, v26
	v_cmp_gt_i32_e64 s[22:23], s31, v26
	v_cmp_ge_i32_e32 vcc, v26, v3
	s_or_b64 s[22:23], s[22:23], vcc
	s_and_saveexec_b64 s[76:77], s[22:23]
	s_xor_b64 s[22:23], exec, s[76:77]
	s_cbranch_execz .LBB181_44
; %bb.41:                               ;   in Loop: Header=BB181_40 Depth=3
	s_mov_b64 s[74:75], -1
	s_and_saveexec_b64 s[76:77], vcc
; %bb.42:                               ;   in Loop: Header=BB181_40 Depth=3
	v_min_i32_e32 v4, v26, v4
	s_xor_b64 s[74:75], exec, -1
	v_pk_mov_b32 v[24:25], v[16:17], v[16:17] op_sel:[0,1]
; %bb.43:                               ;   in Loop: Header=BB181_40 Depth=3
	s_or_b64 exec, exec, s[76:77]
	s_and_b64 s[74:75], s[74:75], exec
                                        ; implicit-def: $vgpr26
.LBB181_44:                             ;   in Loop: Header=BB181_40 Depth=3
	s_andn2_saveexec_b64 s[76:77], s[22:23]
	s_cbranch_execz .LBB181_39
; %bb.45:                               ;   in Loop: Header=BB181_40 Depth=3
	v_subrev_u32_e32 v50, s31, v26
	v_lshlrev_b32_e32 v26, 2, v50
	ds_write_b32 v26, v49 offset:5120
	s_and_saveexec_b64 s[78:79], s[6:7]
	s_cbranch_execz .LBB181_38
; %bb.46:                               ;   in Loop: Header=BB181_40 Depth=3
	v_cndmask_b32_e64 v26, 0, 1, s[54:55]
	s_andn2_b64 vcc, exec, s[38:39]
	v_cmp_ne_u32_e64 s[22:23], 1, v26
	s_cbranch_vccnz .LBB181_51
; %bb.47:                               ;   in Loop: Header=BB181_40 Depth=3
	v_mov_b32_e32 v51, 0
	s_and_b64 vcc, exec, s[22:23]
	s_cbranch_vccnz .LBB181_50
; %bb.48:                               ;   in Loop: Header=BB181_40 Depth=3
	v_pk_mov_b32 v[26:27], v[20:21], v[20:21] op_sel:[0,1]
	s_mov_b32 s51, s50
	v_mov_b32_e32 v52, v44
.LBB181_49:                             ;   Parent Loop BB181_14 Depth=1
                                        ;     Parent Loop BB181_27 Depth=2
                                        ;       Parent Loop BB181_40 Depth=3
                                        ; =>      This Inner Loop Header: Depth=4
	global_load_dword v53, v[26:27], off
	ds_read_b32 v54, v52
	s_add_i32 s51, s51, -1
	v_add_co_u32_e32 v26, vcc, 4, v26
	v_add_u32_e32 v52, 32, v52
	v_addc_co_u32_e32 v27, vcc, 0, v27, vcc
	s_cmp_lg_u32 s51, 0
	s_waitcnt vmcnt(0) lgkmcnt(0)
	v_fmac_f32_e32 v51, v54, v53
	s_cbranch_scc1 .LBB181_49
.LBB181_50:                             ;   in Loop: Header=BB181_40 Depth=3
	s_cbranch_execnz .LBB181_37
	s_branch .LBB181_52
.LBB181_51:                             ;   in Loop: Header=BB181_40 Depth=3
                                        ; implicit-def: $vgpr51
.LBB181_52:                             ;   in Loop: Header=BB181_40 Depth=3
	v_mov_b32_e32 v51, 0
	s_and_b64 vcc, exec, s[22:23]
	s_cbranch_vccnz .LBB181_37
; %bb.53:                               ;   in Loop: Header=BB181_40 Depth=3
	v_mov_b32_e32 v52, v45
	v_pk_mov_b32 v[26:27], v[22:23], v[22:23] op_sel:[0,1]
	s_mov_b32 s22, s50
.LBB181_54:                             ;   Parent Loop BB181_14 Depth=1
                                        ;     Parent Loop BB181_27 Depth=2
                                        ;       Parent Loop BB181_40 Depth=3
                                        ; =>      This Inner Loop Header: Depth=4
	global_load_dword v53, v[26:27], off
	ds_read_b32 v54, v52
	s_add_i32 s22, s22, -1
	v_mov_b32_e32 v55, s61
	v_add_co_u32_e32 v26, vcc, s60, v26
	v_add_u32_e32 v52, 4, v52
	v_addc_co_u32_e32 v27, vcc, v27, v55, vcc
	s_cmp_eq_u32 s22, 0
	s_waitcnt vmcnt(0) lgkmcnt(0)
	v_fmac_f32_e32 v51, v54, v53
	s_cbranch_scc0 .LBB181_54
	s_branch .LBB181_37
.LBB181_55:                             ;   in Loop: Header=BB181_27 Depth=2
	s_or_b64 exec, exec, s[72:73]
	v_pk_mov_b32 v[16:17], v[24:25], v[24:25] op_sel:[0,1]
.LBB181_56:                             ;   in Loop: Header=BB181_27 Depth=2
	s_or_b64 exec, exec, s[70:71]
.LBB181_57:                             ;   in Loop: Header=BB181_27 Depth=2
	s_or_b64 exec, exec, s[68:69]
	s_waitcnt lgkmcnt(0)
	s_barrier
	s_and_saveexec_b64 s[22:23], s[20:21]
	s_cbranch_execz .LBB181_26
; %bb.58:                               ;   in Loop: Header=BB181_27 Depth=2
	v_lshlrev_b64 v[14:15], 3, v[14:15]
	v_mov_b32_e32 v18, s59
	v_add_co_u32_e32 v14, vcc, s58, v14
	v_addc_co_u32_e32 v15, vcc, v18, v15, vcc
	global_store_dwordx2 v[14:15], v[16:17], off
	s_branch .LBB181_26
.LBB181_59:                             ;   in Loop: Header=BB181_27 Depth=2
                                        ; implicit-def: $vgpr16_vgpr17
	s_branch .LBB181_34
.LBB181_60:                             ;   in Loop: Header=BB181_14 Depth=1
	s_andn2_b64 vcc, exec, s[0:1]
	s_cbranch_vccnz .LBB181_72
; %bb.61:                               ;   in Loop: Header=BB181_14 Depth=1
	s_load_dwordx4 s[20:23], s[24:25], 0x0
	s_waitcnt lgkmcnt(0)
	s_sub_u32 s64, s22, s48
	v_mov_b32_e32 v14, s21
	v_add_co_u32_e32 v18, vcc, s20, v36
	s_subb_u32 s65, s23, 0
	v_addc_co_u32_e32 v19, vcc, v14, v37, vcc
	v_cmp_gt_i64_e32 vcc, s[64:65], v[18:19]
	s_and_saveexec_b64 s[66:67], vcc
	s_cbranch_execz .LBB181_71
; %bb.62:                               ;   in Loop: Header=BB181_14 Depth=1
	v_lshlrev_b64 v[14:15], 2, v[18:19]
	v_mov_b32_e32 v16, s27
	v_add_co_u32_e32 v14, vcc, s26, v14
	v_addc_co_u32_e32 v15, vcc, v16, v15, vcc
	v_mad_u64_u32 v[16:17], s[22:23], s52, v18, v[6:7]
	v_mul_lo_u32 v19, s52, v19
	v_mul_lo_u32 v18, s53, v18
	v_add3_u32 v17, v18, v17, v19
	v_mov_b32_e32 v19, s21
	v_add_co_u32_e32 v18, vcc, s20, v46
	v_addc_co_u32_e32 v19, vcc, v47, v19, vcc
	s_mov_b64 s[68:69], 0
	s_branch .LBB181_65
.LBB181_63:                             ;   in Loop: Header=BB181_65 Depth=2
	s_or_b64 exec, exec, s[70:71]
	s_or_b64 s[20:21], s[20:21], exec
.LBB181_64:                             ;   in Loop: Header=BB181_65 Depth=2
	s_or_b64 exec, exec, s[22:23]
	v_cmp_le_i64_e32 vcc, s[64:65], v[18:19]
	s_xor_b64 s[20:21], s[20:21], -1
	s_or_b64 s[20:21], s[20:21], vcc
	v_add_co_u32_e32 v14, vcc, 16, v14
	v_addc_co_u32_e32 v15, vcc, 0, v15, vcc
	v_mov_b32_e32 v20, s63
	v_add_co_u32_e32 v16, vcc, s62, v16
	v_addc_co_u32_e32 v17, vcc, v17, v20, vcc
	s_and_b64 s[20:21], exec, s[20:21]
	v_add_co_u32_e32 v18, vcc, 4, v18
	s_or_b64 s[68:69], s[20:21], s[68:69]
	v_addc_co_u32_e32 v19, vcc, 0, v19, vcc
	s_andn2_b64 exec, exec, s[68:69]
	s_cbranch_execz .LBB181_70
.LBB181_65:                             ;   Parent Loop BB181_14 Depth=1
                                        ; =>  This Inner Loop Header: Depth=2
	global_load_dword v20, v[14:15], off
	s_waitcnt vmcnt(0)
	v_subrev_u32_e32 v20, s47, v20
	v_cmp_gt_i32_e64 s[20:21], s31, v20
	v_cmp_ge_i32_e64 s[22:23], v20, v3
	v_cmp_lt_i32_e32 vcc, v20, v3
	s_or_b64 s[22:23], s[20:21], s[22:23]
                                        ; implicit-def: $sgpr20_sgpr21
	s_and_saveexec_b64 s[70:71], s[22:23]
	s_xor_b64 s[22:23], exec, s[70:71]
; %bb.66:                               ;   in Loop: Header=BB181_65 Depth=2
	v_min_i32_e32 v20, v20, v4
	v_cndmask_b32_e32 v4, v20, v4, vcc
	s_and_b64 s[20:21], vcc, exec
                                        ; implicit-def: $vgpr20
; %bb.67:                               ;   in Loop: Header=BB181_65 Depth=2
	s_andn2_saveexec_b64 s[22:23], s[22:23]
	s_cbranch_execz .LBB181_64
; %bb.68:                               ;   in Loop: Header=BB181_65 Depth=2
	v_subrev_u32_e32 v20, s31, v20
	v_lshlrev_b32_e32 v21, 2, v20
	ds_write_b32 v21, v49 offset:5120
	s_and_saveexec_b64 s[70:71], s[6:7]
	s_cbranch_execz .LBB181_63
; %bb.69:                               ;   in Loop: Header=BB181_65 Depth=2
	global_load_dword v21, v[16:17], off
	v_lshlrev_b32_e32 v20, 6, v20
	v_or3_b32 v20, v20, v35, v30
	v_lshlrev_b32_e32 v20, 2, v20
	s_waitcnt vmcnt(0)
	v_mul_f32_e32 v21, v29, v21
	ds_add_f32 v20, v21
	s_branch .LBB181_63
.LBB181_70:                             ;   in Loop: Header=BB181_14 Depth=1
	s_or_b64 exec, exec, s[68:69]
.LBB181_71:                             ;   in Loop: Header=BB181_14 Depth=1
	s_or_b64 exec, exec, s[66:67]
.LBB181_72:                             ;   in Loop: Header=BB181_14 Depth=1
	s_and_saveexec_b64 s[20:21], s[8:9]
	s_cbranch_execz .LBB181_77
; %bb.73:                               ;   in Loop: Header=BB181_14 Depth=1
	s_mov_b64 s[22:23], exec
	s_brev_b32 s51, -2
.LBB181_74:                             ;   Parent Loop BB181_14 Depth=1
                                        ; =>  This Inner Loop Header: Depth=2
	s_ff1_i32_b64 s64, s[22:23]
	v_readlane_b32 s66, v4, s64
	s_lshl_b64 s[64:65], 1, s64
	s_min_i32 s51, s51, s66
	s_andn2_b64 s[22:23], s[22:23], s[64:65]
	s_cmp_lg_u64 s[22:23], 0
	s_cbranch_scc1 .LBB181_74
; %bb.75:                               ;   in Loop: Header=BB181_14 Depth=1
	v_mbcnt_lo_u32_b32 v3, exec_lo, 0
	v_mbcnt_hi_u32_b32 v3, exec_hi, v3
	v_cmp_eq_u32_e32 vcc, 0, v3
	s_and_saveexec_b64 s[22:23], vcc
	s_xor_b64 s[22:23], exec, s[22:23]
	s_cbranch_execz .LBB181_77
; %bb.76:                               ;   in Loop: Header=BB181_14 Depth=1
	v_mov_b32_e32 v3, s51
	ds_min_i32 v5, v3 offset:5184
.LBB181_77:                             ;   in Loop: Header=BB181_14 Depth=1
	s_or_b64 exec, exec, s[20:21]
	s_waitcnt lgkmcnt(0)
	s_barrier
	ds_read_b32 v3, v38
	s_waitcnt lgkmcnt(0)
	s_barrier
	s_and_saveexec_b64 s[20:21], s[12:13]
	s_cbranch_execz .LBB181_79
; %bb.78:                               ;   in Loop: Header=BB181_14 Depth=1
	ds_read_b32 v4, v39
	s_waitcnt lgkmcnt(0)
	v_add_u32_e32 v3, v4, v3
.LBB181_79:                             ;   in Loop: Header=BB181_14 Depth=1
	s_or_b64 exec, exec, s[20:21]
	s_barrier
	ds_write_b32 v38, v3
	s_waitcnt lgkmcnt(0)
	s_barrier
	s_and_saveexec_b64 s[20:21], s[14:15]
	s_cbranch_execz .LBB181_81
; %bb.80:                               ;   in Loop: Header=BB181_14 Depth=1
	ds_read_b32 v4, v41
	s_waitcnt lgkmcnt(0)
	v_add_u32_e32 v3, v4, v3
.LBB181_81:                             ;   in Loop: Header=BB181_14 Depth=1
	s_or_b64 exec, exec, s[20:21]
	s_barrier
	ds_write_b32 v38, v3
	;; [unrolled: 12-line block ×4, first 2 shown]
	s_waitcnt lgkmcnt(0)
	s_barrier
	ds_read_b32 v14, v5 offset:5180
	v_mov_b32_e32 v4, 0
	s_and_saveexec_b64 s[20:21], s[10:11]
	s_cbranch_execz .LBB181_87
; %bb.86:                               ;   in Loop: Header=BB181_14 Depth=1
	ds_read_b32 v4, v39
.LBB181_87:                             ;   in Loop: Header=BB181_14 Depth=1
	s_or_b64 exec, exec, s[20:21]
	s_waitcnt lgkmcnt(0)
	v_cmp_eq_u32_e32 vcc, v3, v4
	s_and_b64 s[22:23], s[10:11], vcc
	s_barrier
	s_and_saveexec_b64 s[20:21], s[22:23]
	s_cbranch_execz .LBB181_89
; %bb.88:                               ;   in Loop: Header=BB181_14 Depth=1
	ds_write_b32 v38, v5
.LBB181_89:                             ;   in Loop: Header=BB181_14 Depth=1
	s_or_b64 exec, exec, s[20:21]
	v_add_co_u32_e32 v15, vcc, -1, v12
	v_addc_co_u32_e32 v16, vcc, -1, v13, vcc
	s_add_i32 s31, s46, s31
	s_mov_b64 s[20:21], 0
	v_mov_b32_e32 v17, v48
	v_mov_b32_e32 v18, v31
	;; [unrolled: 1-line block ×3, first 2 shown]
	s_waitcnt lgkmcnt(0)
	s_barrier
	s_branch .LBB181_91
.LBB181_90:                             ;   in Loop: Header=BB181_91 Depth=2
	s_or_b64 exec, exec, s[22:23]
	v_add_u32_e32 v3, 4, v19
	v_cmp_lt_u32_e32 vcc, 11, v19
	v_add_u32_e32 v18, 0x400, v18
	v_add_u32_e32 v17, 16, v17
	s_or_b64 s[20:21], vcc, s[20:21]
	v_mov_b32_e32 v19, v3
	s_andn2_b64 exec, exec, s[20:21]
	s_cbranch_execz .LBB181_13
.LBB181_91:                             ;   Parent Loop BB181_14 Depth=1
                                        ; =>  This Inner Loop Header: Depth=2
	ds_read_b32 v4, v17
	s_waitcnt lgkmcnt(0)
	v_cmp_ne_u32_e32 vcc, 0, v4
	s_and_saveexec_b64 s[22:23], vcc
	s_cbranch_execz .LBB181_90
; %bb.92:                               ;   in Loop: Header=BB181_91 Depth=2
	v_ashrrev_i32_e32 v3, 31, v4
	v_add_co_u32_e32 v20, vcc, v12, v4
	v_addc_co_u32_e32 v21, vcc, v13, v3, vcc
	v_lshlrev_b64 v[20:21], 2, v[20:21]
	v_mov_b32_e32 v23, s86
	v_add_co_u32_e32 v20, vcc, s85, v20
	v_add_u32_e32 v22, s31, v19
	v_addc_co_u32_e32 v21, vcc, v23, v21, vcc
	global_store_dword v[20:21], v22, off
	s_and_b64 exec, exec, s[6:7]
	s_cbranch_execz .LBB181_90
; %bb.93:                               ;   in Loop: Header=BB181_91 Depth=2
	v_add_co_u32_e32 v4, vcc, v15, v4
	v_mad_u64_u32 v[20:21], s[64:65], v4, s30, 0
	v_addc_co_u32_e32 v3, vcc, v16, v3, vcc
	v_mov_b32_e32 v4, v21
	ds_read_b32 v24, v18
	v_mad_u64_u32 v[22:23], s[64:65], v3, s30, v[4:5]
	v_mov_b32_e32 v21, v22
	v_lshlrev_b64 v[20:21], 2, v[20:21]
	v_add_co_u32_e32 v20, vcc, v0, v20
	v_addc_co_u32_e32 v21, vcc, v1, v21, vcc
	s_waitcnt lgkmcnt(0)
	global_store_dword v[20:21], v24, off
	s_branch .LBB181_90
.LBB181_94:
	s_endpgm
	.section	.rodata,"a",@progbits
	.p2align	6, 0x0
	.amdhsa_kernel _ZN9rocsparseL38bsrgemm_block_per_row_atomic_multipassILj256ELj16ELj8ElifEEv20rocsparse_direction_T3_S2_PKS2_S4_NS_24const_host_device_scalarIT4_EEPKT2_S4_PKS6_SA_S4_SC_S7_SA_S4_SC_SA_PS2_PS6_PS8_21rocsparse_index_base_SG_SG_SG_bbb
		.amdhsa_group_segment_fixed_size 5188
		.amdhsa_private_segment_fixed_size 0
		.amdhsa_kernarg_size 172
		.amdhsa_user_sgpr_count 6
		.amdhsa_user_sgpr_private_segment_buffer 1
		.amdhsa_user_sgpr_dispatch_ptr 0
		.amdhsa_user_sgpr_queue_ptr 0
		.amdhsa_user_sgpr_kernarg_segment_ptr 1
		.amdhsa_user_sgpr_dispatch_id 0
		.amdhsa_user_sgpr_flat_scratch_init 0
		.amdhsa_user_sgpr_kernarg_preload_length 0
		.amdhsa_user_sgpr_kernarg_preload_offset 0
		.amdhsa_user_sgpr_private_segment_size 0
		.amdhsa_uses_dynamic_stack 0
		.amdhsa_system_sgpr_private_segment_wavefront_offset 0
		.amdhsa_system_sgpr_workgroup_id_x 1
		.amdhsa_system_sgpr_workgroup_id_y 0
		.amdhsa_system_sgpr_workgroup_id_z 0
		.amdhsa_system_sgpr_workgroup_info 0
		.amdhsa_system_vgpr_workitem_id 0
		.amdhsa_next_free_vgpr 56
		.amdhsa_next_free_sgpr 87
		.amdhsa_accum_offset 56
		.amdhsa_reserve_vcc 1
		.amdhsa_reserve_flat_scratch 0
		.amdhsa_float_round_mode_32 0
		.amdhsa_float_round_mode_16_64 0
		.amdhsa_float_denorm_mode_32 3
		.amdhsa_float_denorm_mode_16_64 3
		.amdhsa_dx10_clamp 1
		.amdhsa_ieee_mode 1
		.amdhsa_fp16_overflow 0
		.amdhsa_tg_split 0
		.amdhsa_exception_fp_ieee_invalid_op 0
		.amdhsa_exception_fp_denorm_src 0
		.amdhsa_exception_fp_ieee_div_zero 0
		.amdhsa_exception_fp_ieee_overflow 0
		.amdhsa_exception_fp_ieee_underflow 0
		.amdhsa_exception_fp_ieee_inexact 0
		.amdhsa_exception_int_div_zero 0
	.end_amdhsa_kernel
	.section	.text._ZN9rocsparseL38bsrgemm_block_per_row_atomic_multipassILj256ELj16ELj8ElifEEv20rocsparse_direction_T3_S2_PKS2_S4_NS_24const_host_device_scalarIT4_EEPKT2_S4_PKS6_SA_S4_SC_S7_SA_S4_SC_SA_PS2_PS6_PS8_21rocsparse_index_base_SG_SG_SG_bbb,"axG",@progbits,_ZN9rocsparseL38bsrgemm_block_per_row_atomic_multipassILj256ELj16ELj8ElifEEv20rocsparse_direction_T3_S2_PKS2_S4_NS_24const_host_device_scalarIT4_EEPKT2_S4_PKS6_SA_S4_SC_S7_SA_S4_SC_SA_PS2_PS6_PS8_21rocsparse_index_base_SG_SG_SG_bbb,comdat
.Lfunc_end181:
	.size	_ZN9rocsparseL38bsrgemm_block_per_row_atomic_multipassILj256ELj16ELj8ElifEEv20rocsparse_direction_T3_S2_PKS2_S4_NS_24const_host_device_scalarIT4_EEPKT2_S4_PKS6_SA_S4_SC_S7_SA_S4_SC_SA_PS2_PS6_PS8_21rocsparse_index_base_SG_SG_SG_bbb, .Lfunc_end181-_ZN9rocsparseL38bsrgemm_block_per_row_atomic_multipassILj256ELj16ELj8ElifEEv20rocsparse_direction_T3_S2_PKS2_S4_NS_24const_host_device_scalarIT4_EEPKT2_S4_PKS6_SA_S4_SC_S7_SA_S4_SC_SA_PS2_PS6_PS8_21rocsparse_index_base_SG_SG_SG_bbb
                                        ; -- End function
	.section	.AMDGPU.csdata,"",@progbits
; Kernel info:
; codeLenInByte = 3240
; NumSgprs: 91
; NumVgprs: 56
; NumAgprs: 0
; TotalNumVgprs: 56
; ScratchSize: 0
; MemoryBound: 0
; FloatMode: 240
; IeeeMode: 1
; LDSByteSize: 5188 bytes/workgroup (compile time only)
; SGPRBlocks: 11
; VGPRBlocks: 6
; NumSGPRsForWavesPerEU: 91
; NumVGPRsForWavesPerEU: 56
; AccumOffset: 56
; Occupancy: 8
; WaveLimiterHint : 1
; COMPUTE_PGM_RSRC2:SCRATCH_EN: 0
; COMPUTE_PGM_RSRC2:USER_SGPR: 6
; COMPUTE_PGM_RSRC2:TRAP_HANDLER: 0
; COMPUTE_PGM_RSRC2:TGID_X_EN: 1
; COMPUTE_PGM_RSRC2:TGID_Y_EN: 0
; COMPUTE_PGM_RSRC2:TGID_Z_EN: 0
; COMPUTE_PGM_RSRC2:TIDIG_COMP_CNT: 0
; COMPUTE_PGM_RSRC3_GFX90A:ACCUM_OFFSET: 13
; COMPUTE_PGM_RSRC3_GFX90A:TG_SPLIT: 0
	.section	.text._ZN9rocsparseL38bsrgemm_block_per_row_atomic_multipassILj256ELj32ELj8ElifEEv20rocsparse_direction_T3_S2_PKS2_S4_NS_24const_host_device_scalarIT4_EEPKT2_S4_PKS6_SA_S4_SC_S7_SA_S4_SC_SA_PS2_PS6_PS8_21rocsparse_index_base_SG_SG_SG_bbb,"axG",@progbits,_ZN9rocsparseL38bsrgemm_block_per_row_atomic_multipassILj256ELj32ELj8ElifEEv20rocsparse_direction_T3_S2_PKS2_S4_NS_24const_host_device_scalarIT4_EEPKT2_S4_PKS6_SA_S4_SC_S7_SA_S4_SC_SA_PS2_PS6_PS8_21rocsparse_index_base_SG_SG_SG_bbb,comdat
	.globl	_ZN9rocsparseL38bsrgemm_block_per_row_atomic_multipassILj256ELj32ELj8ElifEEv20rocsparse_direction_T3_S2_PKS2_S4_NS_24const_host_device_scalarIT4_EEPKT2_S4_PKS6_SA_S4_SC_S7_SA_S4_SC_SA_PS2_PS6_PS8_21rocsparse_index_base_SG_SG_SG_bbb ; -- Begin function _ZN9rocsparseL38bsrgemm_block_per_row_atomic_multipassILj256ELj32ELj8ElifEEv20rocsparse_direction_T3_S2_PKS2_S4_NS_24const_host_device_scalarIT4_EEPKT2_S4_PKS6_SA_S4_SC_S7_SA_S4_SC_SA_PS2_PS6_PS8_21rocsparse_index_base_SG_SG_SG_bbb
	.p2align	8
	.type	_ZN9rocsparseL38bsrgemm_block_per_row_atomic_multipassILj256ELj32ELj8ElifEEv20rocsparse_direction_T3_S2_PKS2_S4_NS_24const_host_device_scalarIT4_EEPKT2_S4_PKS6_SA_S4_SC_S7_SA_S4_SC_SA_PS2_PS6_PS8_21rocsparse_index_base_SG_SG_SG_bbb,@function
_ZN9rocsparseL38bsrgemm_block_per_row_atomic_multipassILj256ELj32ELj8ElifEEv20rocsparse_direction_T3_S2_PKS2_S4_NS_24const_host_device_scalarIT4_EEPKT2_S4_PKS6_SA_S4_SC_S7_SA_S4_SC_SA_PS2_PS6_PS8_21rocsparse_index_base_SG_SG_SG_bbb: ; @_ZN9rocsparseL38bsrgemm_block_per_row_atomic_multipassILj256ELj32ELj8ElifEEv20rocsparse_direction_T3_S2_PKS2_S4_NS_24const_host_device_scalarIT4_EEPKT2_S4_PKS6_SA_S4_SC_S7_SA_S4_SC_SA_PS2_PS6_PS8_21rocsparse_index_base_SG_SG_SG_bbb
; %bb.0:
	s_load_dword s7, s[4:5], 0xa8
	s_load_dwordx4 s[44:47], s[4:5], 0x98
	s_load_dwordx2 s[0:1], s[4:5], 0x20
	s_load_dwordx2 s[8:9], s[4:5], 0x58
	s_waitcnt lgkmcnt(0)
	s_bitcmp1_b32 s7, 0
	s_cselect_b64 s[12:13], -1, 0
	s_bitcmp1_b32 s7, 16
	s_cselect_b64 s[10:11], -1, 0
	s_xor_b64 s[2:3], s[12:13], -1
	s_or_b64 s[2:3], s[2:3], s[10:11]
	s_and_b64 vcc, exec, s[2:3]
	s_cbranch_vccnz .LBB182_2
; %bb.1:
	s_load_dword s0, s[0:1], 0x0
	s_waitcnt lgkmcnt(0)
	v_mov_b32_e32 v28, s0
	s_branch .LBB182_3
.LBB182_2:
	v_mov_b32_e32 v1, s0
	v_cndmask_b32_e64 v28, 0, v1, s[12:13]
.LBB182_3:
	s_load_dwordx2 s[2:3], s[4:5], 0x18
	s_bitcmp1_b32 s7, 8
	s_cselect_b64 s[0:1], -1, 0
	s_xor_b64 s[14:15], s[0:1], -1
	s_or_b64 s[10:11], s[14:15], s[10:11]
	s_and_b64 vcc, exec, s[10:11]
	s_cbranch_vccnz .LBB182_5
; %bb.4:
	s_load_dword s7, s[8:9], 0x0
	s_waitcnt lgkmcnt(0)
	v_mov_b32_e32 v29, s7
	s_load_dwordx2 s[8:9], s[4:5], 0x28
	s_cmp_eq_u64 s[2:3], 0
	s_mov_b64 s[34:35], 0
	s_cbranch_scc0 .LBB182_6
	s_branch .LBB182_7
.LBB182_5:
	v_mov_b32_e32 v1, s8
	v_cndmask_b32_e64 v29, 0, v1, s[0:1]
	s_load_dwordx2 s[8:9], s[4:5], 0x28
	s_waitcnt lgkmcnt(0)
	s_cmp_eq_u64 s[2:3], 0
	s_mov_b64 s[34:35], 0
	s_cbranch_scc1 .LBB182_7
.LBB182_6:
	s_load_dwordx2 s[10:11], s[4:5], 0x10
	s_waitcnt lgkmcnt(0)
	s_load_dword s7, s[10:11], 0x0
	s_waitcnt lgkmcnt(0)
	s_add_i32 s6, s7, s6
	s_mov_b32 s7, 0
	s_lshl_b64 s[6:7], s[6:7], 2
	s_add_u32 s2, s2, s6
	s_addc_u32 s3, s3, s7
	s_load_dword s6, s[2:3], 0x0
.LBB182_7:
	v_cndmask_b32_e64 v1, 0, 1, s[12:13]
	v_cmp_ne_u32_e64 s[2:3], 1, v1
	s_andn2_b64 vcc, exec, s[12:13]
	s_cbranch_vccz .LBB182_10
; %bb.8:
	s_and_b64 vcc, exec, s[2:3]
	s_mov_b64 s[56:57], 0
	s_cbranch_vccz .LBB182_11
.LBB182_9:
	s_load_dwordx4 s[48:51], s[4:5], 0x0
	s_waitcnt lgkmcnt(0)
	s_cmp_lt_i32 s49, 1
	s_cbranch_scc0 .LBB182_12
	s_branch .LBB182_96
.LBB182_10:
	s_waitcnt lgkmcnt(0)
	s_ashr_i32 s7, s6, 31
	s_lshl_b64 s[10:11], s[6:7], 3
	s_add_u32 s10, s8, s10
	s_addc_u32 s11, s9, s11
	s_load_dwordx2 s[10:11], s[10:11], 0x0
	s_waitcnt lgkmcnt(0)
	s_sub_u32 s34, s10, s44
	s_subb_u32 s35, s11, 0
	s_and_b64 vcc, exec, s[2:3]
	s_mov_b64 s[56:57], 0
	s_cbranch_vccnz .LBB182_9
.LBB182_11:
	s_waitcnt lgkmcnt(0)
	s_ashr_i32 s7, s6, 31
	s_lshl_b64 s[2:3], s[6:7], 3
	s_add_u32 s2, s8, s2
	s_addc_u32 s3, s9, s3
	s_load_dwordx2 s[2:3], s[2:3], 0x8
	s_waitcnt lgkmcnt(0)
	s_sub_u32 s56, s2, s44
	s_subb_u32 s57, s3, 0
	s_load_dwordx4 s[48:51], s[4:5], 0x0
	s_waitcnt lgkmcnt(0)
	s_cmp_lt_i32 s49, 1
	s_cbranch_scc1 .LBB182_96
.LBB182_12:
	s_load_dwordx2 s[58:59], s[4:5], 0x90
	s_load_dwordx4 s[52:55], s[4:5], 0x80
	s_load_dwordx8 s[24:31], s[4:5], 0x60
	s_load_dwordx2 s[66:67], s[4:5], 0x50
	s_load_dwordx8 s[36:43], s[4:5], 0x30
	v_and_b32_e32 v30, 7, v0
	v_bfe_u32 v3, v0, 3, 3
	v_pk_mov_b32 v[4:5], s[56:57], s[56:57] op_sel:[0,1]
	s_ashr_i32 s7, s6, 31
	v_cmp_lt_i64_e32 vcc, s[34:35], v[4:5]
	v_max_i32_e32 v4, v30, v3
	s_lshl_b64 s[10:11], s[6:7], 3
	v_mov_b32_e32 v5, 0
	v_cmp_gt_i32_e64 s[6:7], s50, v4
	v_mul_lo_u32 v4, v3, s50
	v_lshlrev_b64 v[6:7], 2, v[4:5]
	s_waitcnt lgkmcnt(0)
	v_mov_b32_e32 v4, s39
	v_add_co_u32_e64 v8, s[8:9], s38, v6
	v_addc_co_u32_e64 v4, s[8:9], v4, v7, s[8:9]
	v_lshlrev_b32_e32 v10, 2, v30
	v_add_co_u32_e64 v33, s[8:9], v8, v10
	v_addc_co_u32_e64 v34, s[8:9], 0, v4, s[8:9]
	v_mul_lo_u32 v4, v30, s50
	v_lshlrev_b64 v[8:9], 2, v[4:5]
	v_mov_b32_e32 v4, s55
	v_add_co_u32_e64 v11, s[8:9], s54, v8
	v_lshlrev_b32_e32 v3, 2, v3
	v_addc_co_u32_e64 v12, s[8:9], v4, v9, s[8:9]
	v_add_co_u32_e64 v11, s[8:9], v11, v3
	v_addc_co_u32_e64 v12, s[8:9], 0, v12, s[8:9]
	v_add_co_u32_e64 v13, s[8:9], s54, v6
	;; [unrolled: 2-line block ×3, first 2 shown]
	s_add_u32 s2, s30, s10
	v_lshrrev_b32_e32 v2, 6, v0
	v_addc_co_u32_e64 v4, s[8:9], 0, v4, s[8:9]
	s_addc_u32 s3, s31, s11
	v_subrev_co_u32_e64 v36, s[8:9], s47, v2
	s_load_dwordx2 s[2:3], s[2:3], 0x0
	v_subb_co_u32_e64 v37, s[8:9], 0, 0, s[8:9]
	v_mov_b32_e32 v14, s29
	v_add_co_u32_e64 v15, s[8:9], s28, v8
	v_addc_co_u32_e64 v16, s[8:9], v14, v9, s[8:9]
	v_add_co_u32_e64 v15, s[8:9], v15, v3
	v_addc_co_u32_e64 v16, s[8:9], 0, v16, s[8:9]
	s_waitcnt lgkmcnt(0)
	s_sub_u32 s30, s2, s46
	v_add_co_u32_e64 v6, s[8:9], s28, v6
	s_subb_u32 s31, s3, 0
	v_addc_co_u32_e64 v7, s[8:9], v14, v7, s[8:9]
	s_cmp_eq_u32 s48, 0
	v_add_co_u32_e64 v6, s[8:9], v6, v10
	v_and_b32_e32 v1, 63, v0
	v_cmp_gt_u32_e64 s[2:3], 32, v0
	v_cmp_eq_u32_e64 s[4:5], 0, v0
	v_lshlrev_b32_e32 v31, 2, v0
	s_cselect_b64 s[22:23], -1, 0
	s_cmp_lg_u32 s48, 0
	v_and_b32_e32 v35, 56, v0
	v_addc_co_u32_e64 v7, s[8:9], 0, v7, s[8:9]
	v_and_b32_e32 v0, 31, v0
	s_cselect_b64 s[38:39], -1, 0
	s_cmp_gt_i32 s50, 0
	v_cmp_eq_u32_e64 s[8:9], 63, v1
	v_lshlrev_b32_e32 v1, 2, v0
	s_movk_i32 s51, 0x2000
	s_cselect_b64 s[54:55], -1, 0
	s_add_u32 s62, s24, s10
	v_or_b32_e32 v38, 0x2400, v1
	v_add_u32_e32 v41, 0x23f8, v1
	v_add_u32_e32 v42, 0x23f0, v1
	;; [unrolled: 1-line block ×4, first 2 shown]
	v_cndmask_b32_e64 v1, v12, v4, s[22:23]
	v_lshlrev_b32_e32 v4, 8, v2
	s_addc_u32 s63, s25, s11
	s_and_b64 s[64:65], s[12:13], vcc
	v_or3_b32 v45, v4, v3, s51
	v_mov_b32_e32 v3, s67
	v_add_co_u32_e32 v8, vcc, s66, v8
	v_addc_co_u32_e32 v9, vcc, v3, v9, vcc
	s_add_u32 s85, s40, 8
	v_add_co_u32_e32 v10, vcc, s66, v10
	s_mov_b32 s61, 0
	v_add_co_u32_e64 v14, s[10:11], -1, v0
	v_cmp_ne_u32_e64 s[12:13], 0, v0
	v_cmp_lt_u32_e64 s[14:15], 1, v0
	v_cmp_lt_u32_e64 s[16:17], 3, v0
	;; [unrolled: 1-line block ×4, first 2 shown]
	v_cndmask_b32_e64 v0, v11, v13, s[22:23]
	s_addc_u32 s86, s41, 0
	v_addc_co_u32_e32 v11, vcc, 0, v3, vcc
	s_mul_i32 s60, s50, s50
	v_mov_b32_e32 v17, 0x2400
	s_add_u32 s87, s52, -4
	s_mov_b32 s51, s61
	v_and_b32_e32 v3, 0x3e0, v31
	v_add_co_u32_e32 v47, vcc, 4, v36
	v_or_b32_e32 v32, 0x2000, v31
	s_mov_b32 s33, s45
	s_mov_b32 s84, s61
	;; [unrolled: 1-line block ×3, first 2 shown]
	v_lshl_add_u32 v39, v14, 2, v17
	v_or_b32_e32 v40, 0x2400, v31
	v_cndmask_b32_e64 v7, v16, v7, s[22:23]
	v_cndmask_b32_e64 v6, v15, v6, s[22:23]
	s_addc_u32 s88, s53, -1
	s_lshl_b64 s[52:53], s[60:61], 2
	s_lshl_b64 s[66:67], s[50:51], 2
	v_or_b32_e32 v46, 0x2000, v3
	s_lshl_b64 s[68:69], s[60:61], 4
	v_addc_co_u32_e32 v48, vcc, 0, v37, vcc
	v_lshl_or_b32 v49, v2, 2, v17
	v_mov_b32_e32 v3, 32
	v_pk_mov_b32 v[12:13], s[30:31], s[30:31] op_sel:[0,1]
	v_mov_b32_e32 v50, 1
	s_branch .LBB182_14
.LBB182_13:                             ;   in Loop: Header=BB182_14 Depth=1
	s_or_b64 exec, exec, s[22:23]
	s_barrier
	ds_read_b32 v4, v5 offset:9344
	v_ashrrev_i32_e32 v3, 31, v14
	v_add_co_u32_e32 v12, vcc, v12, v14
	v_addc_co_u32_e32 v13, vcc, v13, v3, vcc
	s_waitcnt lgkmcnt(0)
	v_cmp_le_i32_e32 vcc, s49, v4
	v_readfirstlane_b32 s61, v4
	v_add_u32_e32 v3, 32, v4
	s_barrier
	s_cbranch_vccnz .LBB182_96
.LBB182_14:                             ; =>This Loop Header: Depth=1
                                        ;     Child Loop BB182_18 Depth 2
                                        ;     Child Loop BB182_27 Depth 2
                                        ;       Child Loop BB182_40 Depth 3
                                        ;         Child Loop BB182_49 Depth 4
                                        ;         Child Loop BB182_54 Depth 4
                                        ;     Child Loop BB182_65 Depth 2
                                        ;     Child Loop BB182_74 Depth 2
	;; [unrolled: 1-line block ×3, first 2 shown]
	s_and_saveexec_b64 s[22:23], s[2:3]
	s_cbranch_execz .LBB182_16
; %bb.15:                               ;   in Loop: Header=BB182_14 Depth=1
	ds_write_b32 v40, v5
.LBB182_16:                             ;   in Loop: Header=BB182_14 Depth=1
	s_or_b64 exec, exec, s[22:23]
	s_mov_b32 s30, 0
	s_mov_b64 s[22:23], 0
	v_mov_b32_e32 v4, v31
	s_branch .LBB182_18
.LBB182_17:                             ;   in Loop: Header=BB182_18 Depth=2
	s_or_b64 exec, exec, s[28:29]
	s_add_i32 s30, s30, 2
	v_cmp_eq_u32_e64 s[24:25], 8, s30
	s_or_b64 s[22:23], s[24:25], s[22:23]
	v_add_u32_e32 v4, 0x800, v4
	s_andn2_b64 exec, exec, s[22:23]
	s_cbranch_execz .LBB182_22
.LBB182_18:                             ;   Parent Loop BB182_14 Depth=1
                                        ; =>  This Inner Loop Header: Depth=2
	s_or_b32 s24, s30, 1
	v_cmp_le_u32_e64 s[24:25], s24, 7
	v_cmp_le_u32_e64 s[70:71], s30, 7
	s_and_saveexec_b64 s[28:29], s[70:71]
	s_cbranch_execz .LBB182_20
; %bb.19:                               ;   in Loop: Header=BB182_18 Depth=2
	ds_write_b32 v4, v5
.LBB182_20:                             ;   in Loop: Header=BB182_18 Depth=2
	s_or_b64 exec, exec, s[28:29]
	s_and_saveexec_b64 s[28:29], s[24:25]
	s_cbranch_execz .LBB182_17
; %bb.21:                               ;   in Loop: Header=BB182_18 Depth=2
	ds_write_b32 v4, v5 offset:1024
	s_branch .LBB182_17
.LBB182_22:                             ;   in Loop: Header=BB182_14 Depth=1
	s_or_b64 exec, exec, s[22:23]
	s_and_saveexec_b64 s[22:23], s[4:5]
	s_cbranch_execz .LBB182_24
; %bb.23:                               ;   in Loop: Header=BB182_14 Depth=1
	v_mov_b32_e32 v4, s49
	ds_write_b32 v5, v4 offset:9344
.LBB182_24:                             ;   in Loop: Header=BB182_14 Depth=1
	s_or_b64 exec, exec, s[22:23]
	s_andn2_b64 vcc, exec, s[64:65]
	v_mov_b32_e32 v4, s49
	s_waitcnt lgkmcnt(0)
	s_barrier
	s_cbranch_vccnz .LBB182_60
; %bb.25:                               ;   in Loop: Header=BB182_14 Depth=1
	s_cmp_lg_u32 s61, 0
	s_cselect_b64 s[28:29], -1, 0
	v_mov_b32_e32 v4, s49
	s_mov_b64 s[30:31], s[34:35]
	s_branch .LBB182_27
.LBB182_26:                             ;   in Loop: Header=BB182_27 Depth=2
	s_or_b64 exec, exec, s[24:25]
	s_add_u32 s30, s30, 4
	s_addc_u32 s31, s31, 0
	v_pk_mov_b32 v[14:15], s[56:57], s[56:57] op_sel:[0,1]
	v_cmp_lt_i64_e32 vcc, s[30:31], v[14:15]
	s_cbranch_vccz .LBB182_60
.LBB182_27:                             ;   Parent Loop BB182_14 Depth=1
                                        ; =>  This Loop Header: Depth=2
                                        ;       Child Loop BB182_40 Depth 3
                                        ;         Child Loop BB182_49 Depth 4
                                        ;         Child Loop BB182_54 Depth 4
	v_mov_b32_e32 v15, s31
	v_add_co_u32_e32 v14, vcc, s30, v2
	v_addc_co_u32_e32 v15, vcc, 0, v15, vcc
	v_cmp_gt_i64_e64 s[22:23], s[56:57], v[14:15]
	s_barrier
	s_and_saveexec_b64 s[24:25], s[22:23]
	s_cbranch_execz .LBB182_31
; %bb.28:                               ;   in Loop: Header=BB182_27 Depth=2
	v_mov_b32_e32 v16, 0
	s_and_saveexec_b64 s[70:71], s[6:7]
	s_cbranch_execz .LBB182_30
; %bb.29:                               ;   in Loop: Header=BB182_27 Depth=2
	v_mad_u64_u32 v[16:17], s[72:73], v14, s60, 0
	v_mov_b32_e32 v18, v17
	v_mad_u64_u32 v[18:19], s[72:73], v15, s60, v[18:19]
	v_mov_b32_e32 v17, v18
	v_lshlrev_b64 v[16:17], 2, v[16:17]
	v_add_co_u32_e32 v16, vcc, v33, v16
	v_addc_co_u32_e32 v17, vcc, v34, v17, vcc
	global_load_dword v16, v[16:17], off
.LBB182_30:                             ;   in Loop: Header=BB182_27 Depth=2
	s_or_b64 exec, exec, s[70:71]
	s_waitcnt vmcnt(0)
	ds_write_b32 v32, v16
.LBB182_31:                             ;   in Loop: Header=BB182_27 Depth=2
	s_or_b64 exec, exec, s[24:25]
	v_pk_mov_b32 v[16:17], 0, 0
	s_waitcnt lgkmcnt(0)
	s_barrier
	s_and_saveexec_b64 s[70:71], s[22:23]
	s_cbranch_execz .LBB182_57
; %bb.32:                               ;   in Loop: Header=BB182_27 Depth=2
	v_lshlrev_b64 v[16:17], 2, v[14:15]
	v_mov_b32_e32 v18, s37
	v_add_co_u32_e32 v16, vcc, s36, v16
	v_addc_co_u32_e32 v17, vcc, v18, v17, vcc
	global_load_dword v16, v[16:17], off
	s_and_b64 vcc, exec, s[28:29]
	s_waitcnt vmcnt(0)
	v_subrev_u32_e32 v18, s44, v16
	v_ashrrev_i32_e32 v19, 31, v18
	s_cbranch_vccz .LBB182_59
; %bb.33:                               ;   in Loop: Header=BB182_27 Depth=2
	v_lshlrev_b64 v[16:17], 3, v[14:15]
	v_mov_b32_e32 v20, s59
	v_add_co_u32_e32 v16, vcc, s58, v16
	v_addc_co_u32_e32 v17, vcc, v20, v17, vcc
	global_load_dwordx2 v[16:17], v[16:17], off
	s_cbranch_execnz .LBB182_35
.LBB182_34:                             ;   in Loop: Header=BB182_27 Depth=2
	s_waitcnt vmcnt(0)
	v_lshlrev_b64 v[16:17], 3, v[18:19]
	v_mov_b32_e32 v20, s41
	v_add_co_u32_e32 v16, vcc, s40, v16
	v_addc_co_u32_e32 v17, vcc, v20, v17, vcc
	global_load_dwordx2 v[16:17], v[16:17], off
	v_mov_b32_e32 v20, s84
	s_waitcnt vmcnt(0)
	v_subrev_co_u32_e32 v16, vcc, s33, v16
	v_subb_co_u32_e32 v17, vcc, v17, v20, vcc
.LBB182_35:                             ;   in Loop: Header=BB182_27 Depth=2
	v_lshlrev_b64 v[18:19], 3, v[18:19]
	v_mov_b32_e32 v20, s86
	v_add_co_u32_e32 v18, vcc, s85, v18
	v_addc_co_u32_e32 v19, vcc, v20, v19, vcc
	global_load_dwordx2 v[18:19], v[18:19], off
	v_mov_b32_e32 v20, s84
	s_waitcnt vmcnt(0)
	v_subrev_co_u32_e32 v18, vcc, s33, v18
	v_subb_co_u32_e32 v19, vcc, v19, v20, vcc
	v_cmp_lt_i64_e32 vcc, v[16:17], v[18:19]
	s_and_saveexec_b64 s[72:73], vcc
	s_cbranch_execz .LBB182_56
; %bb.36:                               ;   in Loop: Header=BB182_27 Depth=2
	v_mad_u64_u32 v[20:21], s[24:25], s52, v16, v[8:9]
	v_mul_lo_u32 v24, s52, v17
	v_mul_lo_u32 v25, s53, v16
	v_mad_u64_u32 v[22:23], s[24:25], s52, v16, v[10:11]
	v_add3_u32 v21, v25, v21, v24
	v_add3_u32 v23, v25, v23, v24
	s_mov_b64 s[74:75], 0
	v_pk_mov_b32 v[24:25], v[16:17], v[16:17] op_sel:[0,1]
	s_branch .LBB182_40
.LBB182_37:                             ;   in Loop: Header=BB182_40 Depth=3
	v_lshlrev_b32_e32 v26, 6, v51
	v_or3_b32 v26, v26, v35, v30
	v_lshlrev_b32_e32 v26, 2, v26
	v_mul_f32_e32 v27, v28, v52
	ds_add_f32 v26, v27
.LBB182_38:                             ;   in Loop: Header=BB182_40 Depth=3
	s_or_b64 exec, exec, s[80:81]
	s_or_b64 s[76:77], s[76:77], exec
.LBB182_39:                             ;   in Loop: Header=BB182_40 Depth=3
	s_or_b64 exec, exec, s[78:79]
	v_add_co_u32_e32 v16, vcc, 1, v16
	v_addc_co_u32_e32 v17, vcc, 0, v17, vcc
	v_cmp_ge_i64_e32 vcc, v[16:17], v[18:19]
	s_xor_b64 s[24:25], s[76:77], -1
	s_or_b64 s[24:25], s[24:25], vcc
	v_mov_b32_e32 v26, s53
	v_add_co_u32_e32 v20, vcc, s52, v20
	v_addc_co_u32_e32 v21, vcc, v21, v26, vcc
	s_and_b64 s[24:25], exec, s[24:25]
	v_add_co_u32_e32 v22, vcc, s52, v22
	s_or_b64 s[74:75], s[24:25], s[74:75]
	v_addc_co_u32_e32 v23, vcc, v23, v26, vcc
	s_andn2_b64 exec, exec, s[74:75]
	s_cbranch_execz .LBB182_55
.LBB182_40:                             ;   Parent Loop BB182_14 Depth=1
                                        ;     Parent Loop BB182_27 Depth=2
                                        ; =>    This Loop Header: Depth=3
                                        ;         Child Loop BB182_49 Depth 4
                                        ;         Child Loop BB182_54 Depth 4
	v_lshlrev_b64 v[26:27], 2, v[16:17]
	v_mov_b32_e32 v51, s43
	v_add_co_u32_e32 v26, vcc, s42, v26
	v_addc_co_u32_e32 v27, vcc, v51, v27, vcc
	global_load_dword v26, v[26:27], off
                                        ; implicit-def: $sgpr76_sgpr77
	s_waitcnt vmcnt(0)
	v_subrev_u32_e32 v26, s45, v26
	v_cmp_gt_i32_e64 s[24:25], s61, v26
	v_cmp_ge_i32_e32 vcc, v26, v3
	s_or_b64 s[24:25], s[24:25], vcc
	s_and_saveexec_b64 s[78:79], s[24:25]
	s_xor_b64 s[24:25], exec, s[78:79]
	s_cbranch_execz .LBB182_44
; %bb.41:                               ;   in Loop: Header=BB182_40 Depth=3
	s_mov_b64 s[76:77], -1
	s_and_saveexec_b64 s[78:79], vcc
; %bb.42:                               ;   in Loop: Header=BB182_40 Depth=3
	v_min_i32_e32 v4, v26, v4
	s_xor_b64 s[76:77], exec, -1
	v_pk_mov_b32 v[24:25], v[16:17], v[16:17] op_sel:[0,1]
; %bb.43:                               ;   in Loop: Header=BB182_40 Depth=3
	s_or_b64 exec, exec, s[78:79]
	s_and_b64 s[76:77], s[76:77], exec
                                        ; implicit-def: $vgpr26
.LBB182_44:                             ;   in Loop: Header=BB182_40 Depth=3
	s_andn2_saveexec_b64 s[78:79], s[24:25]
	s_cbranch_execz .LBB182_39
; %bb.45:                               ;   in Loop: Header=BB182_40 Depth=3
	v_subrev_u32_e32 v51, s61, v26
	v_lshlrev_b32_e32 v26, 2, v51
	ds_write_b32 v26, v50 offset:9216
	s_and_saveexec_b64 s[80:81], s[6:7]
	s_cbranch_execz .LBB182_38
; %bb.46:                               ;   in Loop: Header=BB182_40 Depth=3
	v_cndmask_b32_e64 v26, 0, 1, s[54:55]
	s_andn2_b64 vcc, exec, s[38:39]
	v_cmp_ne_u32_e64 s[24:25], 1, v26
	s_cbranch_vccnz .LBB182_51
; %bb.47:                               ;   in Loop: Header=BB182_40 Depth=3
	v_mov_b32_e32 v52, 0
	s_and_b64 vcc, exec, s[24:25]
	s_cbranch_vccnz .LBB182_50
; %bb.48:                               ;   in Loop: Header=BB182_40 Depth=3
	v_pk_mov_b32 v[26:27], v[20:21], v[20:21] op_sel:[0,1]
	s_mov_b32 s51, s50
	v_mov_b32_e32 v53, v45
.LBB182_49:                             ;   Parent Loop BB182_14 Depth=1
                                        ;     Parent Loop BB182_27 Depth=2
                                        ;       Parent Loop BB182_40 Depth=3
                                        ; =>      This Inner Loop Header: Depth=4
	global_load_dword v54, v[26:27], off
	ds_read_b32 v55, v53
	s_add_i32 s51, s51, -1
	v_add_co_u32_e32 v26, vcc, 4, v26
	v_add_u32_e32 v53, 32, v53
	v_addc_co_u32_e32 v27, vcc, 0, v27, vcc
	s_cmp_lg_u32 s51, 0
	s_waitcnt vmcnt(0) lgkmcnt(0)
	v_fmac_f32_e32 v52, v55, v54
	s_cbranch_scc1 .LBB182_49
.LBB182_50:                             ;   in Loop: Header=BB182_40 Depth=3
	s_cbranch_execnz .LBB182_37
	s_branch .LBB182_52
.LBB182_51:                             ;   in Loop: Header=BB182_40 Depth=3
                                        ; implicit-def: $vgpr52
.LBB182_52:                             ;   in Loop: Header=BB182_40 Depth=3
	v_mov_b32_e32 v52, 0
	s_and_b64 vcc, exec, s[24:25]
	s_cbranch_vccnz .LBB182_37
; %bb.53:                               ;   in Loop: Header=BB182_40 Depth=3
	v_mov_b32_e32 v53, v46
	v_pk_mov_b32 v[26:27], v[22:23], v[22:23] op_sel:[0,1]
	s_mov_b32 s24, s50
.LBB182_54:                             ;   Parent Loop BB182_14 Depth=1
                                        ;     Parent Loop BB182_27 Depth=2
                                        ;       Parent Loop BB182_40 Depth=3
                                        ; =>      This Inner Loop Header: Depth=4
	global_load_dword v54, v[26:27], off
	ds_read_b32 v55, v53
	s_add_i32 s24, s24, -1
	v_mov_b32_e32 v56, s67
	v_add_co_u32_e32 v26, vcc, s66, v26
	v_add_u32_e32 v53, 4, v53
	v_addc_co_u32_e32 v27, vcc, v27, v56, vcc
	s_cmp_eq_u32 s24, 0
	s_waitcnt vmcnt(0) lgkmcnt(0)
	v_fmac_f32_e32 v52, v55, v54
	s_cbranch_scc0 .LBB182_54
	s_branch .LBB182_37
.LBB182_55:                             ;   in Loop: Header=BB182_27 Depth=2
	s_or_b64 exec, exec, s[74:75]
	v_pk_mov_b32 v[16:17], v[24:25], v[24:25] op_sel:[0,1]
.LBB182_56:                             ;   in Loop: Header=BB182_27 Depth=2
	s_or_b64 exec, exec, s[72:73]
.LBB182_57:                             ;   in Loop: Header=BB182_27 Depth=2
	s_or_b64 exec, exec, s[70:71]
	s_waitcnt lgkmcnt(0)
	s_barrier
	s_and_saveexec_b64 s[24:25], s[22:23]
	s_cbranch_execz .LBB182_26
; %bb.58:                               ;   in Loop: Header=BB182_27 Depth=2
	v_lshlrev_b64 v[14:15], 3, v[14:15]
	v_mov_b32_e32 v18, s59
	v_add_co_u32_e32 v14, vcc, s58, v14
	v_addc_co_u32_e32 v15, vcc, v18, v15, vcc
	global_store_dwordx2 v[14:15], v[16:17], off
	s_branch .LBB182_26
.LBB182_59:                             ;   in Loop: Header=BB182_27 Depth=2
                                        ; implicit-def: $vgpr16_vgpr17
	s_branch .LBB182_34
.LBB182_60:                             ;   in Loop: Header=BB182_14 Depth=1
	s_andn2_b64 vcc, exec, s[0:1]
	s_cbranch_vccnz .LBB182_72
; %bb.61:                               ;   in Loop: Header=BB182_14 Depth=1
	s_load_dwordx4 s[28:31], s[62:63], 0x0
	s_waitcnt lgkmcnt(0)
	s_sub_u32 s30, s30, s48
	v_mov_b32_e32 v14, s29
	v_add_co_u32_e32 v18, vcc, s28, v36
	s_subb_u32 s31, s31, 0
	v_addc_co_u32_e32 v19, vcc, v14, v37, vcc
	v_cmp_gt_i64_e32 vcc, s[30:31], v[18:19]
	s_and_saveexec_b64 s[70:71], vcc
	s_cbranch_execz .LBB182_71
; %bb.62:                               ;   in Loop: Header=BB182_14 Depth=1
	v_lshlrev_b64 v[14:15], 2, v[18:19]
	v_mov_b32_e32 v16, s27
	v_add_co_u32_e32 v14, vcc, s26, v14
	v_addc_co_u32_e32 v15, vcc, v16, v15, vcc
	v_mad_u64_u32 v[16:17], s[22:23], s52, v18, v[6:7]
	v_mul_lo_u32 v19, s52, v19
	v_mul_lo_u32 v18, s53, v18
	v_add3_u32 v17, v18, v17, v19
	v_mov_b32_e32 v19, s29
	v_add_co_u32_e32 v18, vcc, s28, v47
	v_addc_co_u32_e32 v19, vcc, v48, v19, vcc
	s_mov_b64 s[28:29], 0
	s_branch .LBB182_65
.LBB182_63:                             ;   in Loop: Header=BB182_65 Depth=2
	s_or_b64 exec, exec, s[72:73]
	s_or_b64 s[22:23], s[22:23], exec
.LBB182_64:                             ;   in Loop: Header=BB182_65 Depth=2
	s_or_b64 exec, exec, s[24:25]
	v_cmp_le_i64_e32 vcc, s[30:31], v[18:19]
	s_xor_b64 s[22:23], s[22:23], -1
	s_or_b64 s[22:23], s[22:23], vcc
	v_add_co_u32_e32 v14, vcc, 16, v14
	v_addc_co_u32_e32 v15, vcc, 0, v15, vcc
	v_mov_b32_e32 v20, s69
	v_add_co_u32_e32 v16, vcc, s68, v16
	v_addc_co_u32_e32 v17, vcc, v17, v20, vcc
	s_and_b64 s[22:23], exec, s[22:23]
	v_add_co_u32_e32 v18, vcc, 4, v18
	s_or_b64 s[28:29], s[22:23], s[28:29]
	v_addc_co_u32_e32 v19, vcc, 0, v19, vcc
	s_andn2_b64 exec, exec, s[28:29]
	s_cbranch_execz .LBB182_70
.LBB182_65:                             ;   Parent Loop BB182_14 Depth=1
                                        ; =>  This Inner Loop Header: Depth=2
	global_load_dword v20, v[14:15], off
	s_waitcnt vmcnt(0)
	v_subrev_u32_e32 v20, s47, v20
	v_cmp_gt_i32_e64 s[22:23], s61, v20
	v_cmp_ge_i32_e64 s[24:25], v20, v3
	v_cmp_lt_i32_e32 vcc, v20, v3
	s_or_b64 s[24:25], s[22:23], s[24:25]
                                        ; implicit-def: $sgpr22_sgpr23
	s_and_saveexec_b64 s[72:73], s[24:25]
	s_xor_b64 s[24:25], exec, s[72:73]
; %bb.66:                               ;   in Loop: Header=BB182_65 Depth=2
	v_min_i32_e32 v20, v20, v4
	v_cndmask_b32_e32 v4, v20, v4, vcc
	s_and_b64 s[22:23], vcc, exec
                                        ; implicit-def: $vgpr20
; %bb.67:                               ;   in Loop: Header=BB182_65 Depth=2
	s_andn2_saveexec_b64 s[24:25], s[24:25]
	s_cbranch_execz .LBB182_64
; %bb.68:                               ;   in Loop: Header=BB182_65 Depth=2
	v_subrev_u32_e32 v20, s61, v20
	v_lshlrev_b32_e32 v21, 2, v20
	ds_write_b32 v21, v50 offset:9216
	s_and_saveexec_b64 s[72:73], s[6:7]
	s_cbranch_execz .LBB182_63
; %bb.69:                               ;   in Loop: Header=BB182_65 Depth=2
	global_load_dword v21, v[16:17], off
	v_lshlrev_b32_e32 v20, 6, v20
	v_or3_b32 v20, v20, v35, v30
	v_lshlrev_b32_e32 v20, 2, v20
	s_waitcnt vmcnt(0)
	v_mul_f32_e32 v21, v29, v21
	ds_add_f32 v20, v21
	s_branch .LBB182_63
.LBB182_70:                             ;   in Loop: Header=BB182_14 Depth=1
	s_or_b64 exec, exec, s[28:29]
.LBB182_71:                             ;   in Loop: Header=BB182_14 Depth=1
	s_or_b64 exec, exec, s[70:71]
.LBB182_72:                             ;   in Loop: Header=BB182_14 Depth=1
	s_and_saveexec_b64 s[22:23], s[8:9]
	s_cbranch_execz .LBB182_77
; %bb.73:                               ;   in Loop: Header=BB182_14 Depth=1
	s_mov_b64 s[24:25], exec
	s_brev_b32 s28, -2
.LBB182_74:                             ;   Parent Loop BB182_14 Depth=1
                                        ; =>  This Inner Loop Header: Depth=2
	s_ff1_i32_b64 s29, s[24:25]
	v_readlane_b32 s51, v4, s29
	s_lshl_b64 s[30:31], 1, s29
	s_min_i32 s28, s28, s51
	s_andn2_b64 s[24:25], s[24:25], s[30:31]
	s_cmp_lg_u64 s[24:25], 0
	s_cbranch_scc1 .LBB182_74
; %bb.75:                               ;   in Loop: Header=BB182_14 Depth=1
	v_mbcnt_lo_u32_b32 v3, exec_lo, 0
	v_mbcnt_hi_u32_b32 v3, exec_hi, v3
	v_cmp_eq_u32_e32 vcc, 0, v3
	s_and_saveexec_b64 s[24:25], vcc
	s_xor_b64 s[24:25], exec, s[24:25]
	s_cbranch_execz .LBB182_77
; %bb.76:                               ;   in Loop: Header=BB182_14 Depth=1
	v_mov_b32_e32 v3, s28
	ds_min_i32 v5, v3 offset:9344
.LBB182_77:                             ;   in Loop: Header=BB182_14 Depth=1
	s_or_b64 exec, exec, s[22:23]
	s_waitcnt lgkmcnt(0)
	s_barrier
	ds_read_b32 v3, v38
	s_waitcnt lgkmcnt(0)
	s_barrier
	s_and_saveexec_b64 s[22:23], s[12:13]
	s_cbranch_execz .LBB182_79
; %bb.78:                               ;   in Loop: Header=BB182_14 Depth=1
	ds_read_b32 v4, v39
	s_waitcnt lgkmcnt(0)
	v_add_u32_e32 v3, v4, v3
.LBB182_79:                             ;   in Loop: Header=BB182_14 Depth=1
	s_or_b64 exec, exec, s[22:23]
	s_barrier
	ds_write_b32 v38, v3
	s_waitcnt lgkmcnt(0)
	s_barrier
	s_and_saveexec_b64 s[22:23], s[14:15]
	s_cbranch_execz .LBB182_81
; %bb.80:                               ;   in Loop: Header=BB182_14 Depth=1
	ds_read_b32 v4, v41
	s_waitcnt lgkmcnt(0)
	v_add_u32_e32 v3, v4, v3
.LBB182_81:                             ;   in Loop: Header=BB182_14 Depth=1
	s_or_b64 exec, exec, s[22:23]
	s_barrier
	ds_write_b32 v38, v3
	;; [unrolled: 12-line block ×5, first 2 shown]
	s_waitcnt lgkmcnt(0)
	s_barrier
	ds_read_b32 v14, v5 offset:9340
	v_mov_b32_e32 v4, 0
	s_and_saveexec_b64 s[22:23], s[10:11]
	s_cbranch_execz .LBB182_89
; %bb.88:                               ;   in Loop: Header=BB182_14 Depth=1
	ds_read_b32 v4, v39
.LBB182_89:                             ;   in Loop: Header=BB182_14 Depth=1
	s_or_b64 exec, exec, s[22:23]
	s_waitcnt lgkmcnt(0)
	v_cmp_eq_u32_e32 vcc, v3, v4
	s_and_b64 s[24:25], s[10:11], vcc
	s_barrier
	s_and_saveexec_b64 s[22:23], s[24:25]
	s_cbranch_execz .LBB182_91
; %bb.90:                               ;   in Loop: Header=BB182_14 Depth=1
	ds_write_b32 v38, v5
.LBB182_91:                             ;   in Loop: Header=BB182_14 Depth=1
	s_or_b64 exec, exec, s[22:23]
	v_add_co_u32_e32 v15, vcc, -1, v12
	v_addc_co_u32_e32 v16, vcc, -1, v13, vcc
	s_add_i32 s28, s46, s61
	s_mov_b64 s[22:23], 0
	v_mov_b32_e32 v17, v49
	v_mov_b32_e32 v18, v31
	;; [unrolled: 1-line block ×3, first 2 shown]
	s_waitcnt lgkmcnt(0)
	s_barrier
	s_branch .LBB182_93
.LBB182_92:                             ;   in Loop: Header=BB182_93 Depth=2
	s_or_b64 exec, exec, s[24:25]
	v_add_u32_e32 v3, 4, v19
	v_cmp_lt_u32_e32 vcc, 27, v19
	v_add_u32_e32 v18, 0x400, v18
	v_add_u32_e32 v17, 16, v17
	s_or_b64 s[22:23], vcc, s[22:23]
	v_mov_b32_e32 v19, v3
	s_andn2_b64 exec, exec, s[22:23]
	s_cbranch_execz .LBB182_13
.LBB182_93:                             ;   Parent Loop BB182_14 Depth=1
                                        ; =>  This Inner Loop Header: Depth=2
	ds_read_b32 v4, v17
	s_waitcnt lgkmcnt(0)
	v_cmp_ne_u32_e32 vcc, 0, v4
	s_and_saveexec_b64 s[24:25], vcc
	s_cbranch_execz .LBB182_92
; %bb.94:                               ;   in Loop: Header=BB182_93 Depth=2
	v_ashrrev_i32_e32 v3, 31, v4
	v_add_co_u32_e32 v20, vcc, v12, v4
	v_addc_co_u32_e32 v21, vcc, v13, v3, vcc
	v_lshlrev_b64 v[20:21], 2, v[20:21]
	v_mov_b32_e32 v23, s88
	v_add_co_u32_e32 v20, vcc, s87, v20
	v_add_u32_e32 v22, s28, v19
	v_addc_co_u32_e32 v21, vcc, v23, v21, vcc
	global_store_dword v[20:21], v22, off
	s_and_b64 exec, exec, s[6:7]
	s_cbranch_execz .LBB182_92
; %bb.95:                               ;   in Loop: Header=BB182_93 Depth=2
	v_add_co_u32_e32 v4, vcc, v15, v4
	v_mad_u64_u32 v[20:21], s[30:31], v4, s60, 0
	v_addc_co_u32_e32 v3, vcc, v16, v3, vcc
	v_mov_b32_e32 v4, v21
	ds_read_b32 v24, v18
	v_mad_u64_u32 v[22:23], s[30:31], v3, s60, v[4:5]
	v_mov_b32_e32 v21, v22
	v_lshlrev_b64 v[20:21], 2, v[20:21]
	v_add_co_u32_e32 v20, vcc, v0, v20
	v_addc_co_u32_e32 v21, vcc, v1, v21, vcc
	s_waitcnt lgkmcnt(0)
	global_store_dword v[20:21], v24, off
	s_branch .LBB182_92
.LBB182_96:
	s_endpgm
	.section	.rodata,"a",@progbits
	.p2align	6, 0x0
	.amdhsa_kernel _ZN9rocsparseL38bsrgemm_block_per_row_atomic_multipassILj256ELj32ELj8ElifEEv20rocsparse_direction_T3_S2_PKS2_S4_NS_24const_host_device_scalarIT4_EEPKT2_S4_PKS6_SA_S4_SC_S7_SA_S4_SC_SA_PS2_PS6_PS8_21rocsparse_index_base_SG_SG_SG_bbb
		.amdhsa_group_segment_fixed_size 9348
		.amdhsa_private_segment_fixed_size 0
		.amdhsa_kernarg_size 172
		.amdhsa_user_sgpr_count 6
		.amdhsa_user_sgpr_private_segment_buffer 1
		.amdhsa_user_sgpr_dispatch_ptr 0
		.amdhsa_user_sgpr_queue_ptr 0
		.amdhsa_user_sgpr_kernarg_segment_ptr 1
		.amdhsa_user_sgpr_dispatch_id 0
		.amdhsa_user_sgpr_flat_scratch_init 0
		.amdhsa_user_sgpr_kernarg_preload_length 0
		.amdhsa_user_sgpr_kernarg_preload_offset 0
		.amdhsa_user_sgpr_private_segment_size 0
		.amdhsa_uses_dynamic_stack 0
		.amdhsa_system_sgpr_private_segment_wavefront_offset 0
		.amdhsa_system_sgpr_workgroup_id_x 1
		.amdhsa_system_sgpr_workgroup_id_y 0
		.amdhsa_system_sgpr_workgroup_id_z 0
		.amdhsa_system_sgpr_workgroup_info 0
		.amdhsa_system_vgpr_workitem_id 0
		.amdhsa_next_free_vgpr 57
		.amdhsa_next_free_sgpr 89
		.amdhsa_accum_offset 60
		.amdhsa_reserve_vcc 1
		.amdhsa_reserve_flat_scratch 0
		.amdhsa_float_round_mode_32 0
		.amdhsa_float_round_mode_16_64 0
		.amdhsa_float_denorm_mode_32 3
		.amdhsa_float_denorm_mode_16_64 3
		.amdhsa_dx10_clamp 1
		.amdhsa_ieee_mode 1
		.amdhsa_fp16_overflow 0
		.amdhsa_tg_split 0
		.amdhsa_exception_fp_ieee_invalid_op 0
		.amdhsa_exception_fp_denorm_src 0
		.amdhsa_exception_fp_ieee_div_zero 0
		.amdhsa_exception_fp_ieee_overflow 0
		.amdhsa_exception_fp_ieee_underflow 0
		.amdhsa_exception_fp_ieee_inexact 0
		.amdhsa_exception_int_div_zero 0
	.end_amdhsa_kernel
	.section	.text._ZN9rocsparseL38bsrgemm_block_per_row_atomic_multipassILj256ELj32ELj8ElifEEv20rocsparse_direction_T3_S2_PKS2_S4_NS_24const_host_device_scalarIT4_EEPKT2_S4_PKS6_SA_S4_SC_S7_SA_S4_SC_SA_PS2_PS6_PS8_21rocsparse_index_base_SG_SG_SG_bbb,"axG",@progbits,_ZN9rocsparseL38bsrgemm_block_per_row_atomic_multipassILj256ELj32ELj8ElifEEv20rocsparse_direction_T3_S2_PKS2_S4_NS_24const_host_device_scalarIT4_EEPKT2_S4_PKS6_SA_S4_SC_S7_SA_S4_SC_SA_PS2_PS6_PS8_21rocsparse_index_base_SG_SG_SG_bbb,comdat
.Lfunc_end182:
	.size	_ZN9rocsparseL38bsrgemm_block_per_row_atomic_multipassILj256ELj32ELj8ElifEEv20rocsparse_direction_T3_S2_PKS2_S4_NS_24const_host_device_scalarIT4_EEPKT2_S4_PKS6_SA_S4_SC_S7_SA_S4_SC_SA_PS2_PS6_PS8_21rocsparse_index_base_SG_SG_SG_bbb, .Lfunc_end182-_ZN9rocsparseL38bsrgemm_block_per_row_atomic_multipassILj256ELj32ELj8ElifEEv20rocsparse_direction_T3_S2_PKS2_S4_NS_24const_host_device_scalarIT4_EEPKT2_S4_PKS6_SA_S4_SC_S7_SA_S4_SC_SA_PS2_PS6_PS8_21rocsparse_index_base_SG_SG_SG_bbb
                                        ; -- End function
	.section	.AMDGPU.csdata,"",@progbits
; Kernel info:
; codeLenInByte = 3304
; NumSgprs: 93
; NumVgprs: 57
; NumAgprs: 0
; TotalNumVgprs: 57
; ScratchSize: 0
; MemoryBound: 0
; FloatMode: 240
; IeeeMode: 1
; LDSByteSize: 9348 bytes/workgroup (compile time only)
; SGPRBlocks: 11
; VGPRBlocks: 7
; NumSGPRsForWavesPerEU: 93
; NumVGPRsForWavesPerEU: 57
; AccumOffset: 60
; Occupancy: 7
; WaveLimiterHint : 1
; COMPUTE_PGM_RSRC2:SCRATCH_EN: 0
; COMPUTE_PGM_RSRC2:USER_SGPR: 6
; COMPUTE_PGM_RSRC2:TRAP_HANDLER: 0
; COMPUTE_PGM_RSRC2:TGID_X_EN: 1
; COMPUTE_PGM_RSRC2:TGID_Y_EN: 0
; COMPUTE_PGM_RSRC2:TGID_Z_EN: 0
; COMPUTE_PGM_RSRC2:TIDIG_COMP_CNT: 0
; COMPUTE_PGM_RSRC3_GFX90A:ACCUM_OFFSET: 14
; COMPUTE_PGM_RSRC3_GFX90A:TG_SPLIT: 0
	.section	.text._ZN9rocsparseL31bsrgemm_block_per_row_multipassILj256ELj8ELj16ElifEEv20rocsparse_direction_T3_S2_PKS2_S4_NS_24const_host_device_scalarIT4_EEPKT2_S4_PKS6_SA_S4_SC_S7_SA_S4_SC_SA_PS2_PS6_PS8_21rocsparse_index_base_SG_SG_SG_bbb,"axG",@progbits,_ZN9rocsparseL31bsrgemm_block_per_row_multipassILj256ELj8ELj16ElifEEv20rocsparse_direction_T3_S2_PKS2_S4_NS_24const_host_device_scalarIT4_EEPKT2_S4_PKS6_SA_S4_SC_S7_SA_S4_SC_SA_PS2_PS6_PS8_21rocsparse_index_base_SG_SG_SG_bbb,comdat
	.globl	_ZN9rocsparseL31bsrgemm_block_per_row_multipassILj256ELj8ELj16ElifEEv20rocsparse_direction_T3_S2_PKS2_S4_NS_24const_host_device_scalarIT4_EEPKT2_S4_PKS6_SA_S4_SC_S7_SA_S4_SC_SA_PS2_PS6_PS8_21rocsparse_index_base_SG_SG_SG_bbb ; -- Begin function _ZN9rocsparseL31bsrgemm_block_per_row_multipassILj256ELj8ELj16ElifEEv20rocsparse_direction_T3_S2_PKS2_S4_NS_24const_host_device_scalarIT4_EEPKT2_S4_PKS6_SA_S4_SC_S7_SA_S4_SC_SA_PS2_PS6_PS8_21rocsparse_index_base_SG_SG_SG_bbb
	.p2align	8
	.type	_ZN9rocsparseL31bsrgemm_block_per_row_multipassILj256ELj8ELj16ElifEEv20rocsparse_direction_T3_S2_PKS2_S4_NS_24const_host_device_scalarIT4_EEPKT2_S4_PKS6_SA_S4_SC_S7_SA_S4_SC_SA_PS2_PS6_PS8_21rocsparse_index_base_SG_SG_SG_bbb,@function
_ZN9rocsparseL31bsrgemm_block_per_row_multipassILj256ELj8ELj16ElifEEv20rocsparse_direction_T3_S2_PKS2_S4_NS_24const_host_device_scalarIT4_EEPKT2_S4_PKS6_SA_S4_SC_S7_SA_S4_SC_SA_PS2_PS6_PS8_21rocsparse_index_base_SG_SG_SG_bbb: ; @_ZN9rocsparseL31bsrgemm_block_per_row_multipassILj256ELj8ELj16ElifEEv20rocsparse_direction_T3_S2_PKS2_S4_NS_24const_host_device_scalarIT4_EEPKT2_S4_PKS6_SA_S4_SC_S7_SA_S4_SC_SA_PS2_PS6_PS8_21rocsparse_index_base_SG_SG_SG_bbb
; %bb.0:
	s_load_dword s7, s[4:5], 0xa8
	s_load_dwordx4 s[28:31], s[4:5], 0x98
	s_load_dwordx2 s[0:1], s[4:5], 0x20
	s_load_dwordx2 s[10:11], s[4:5], 0x58
	s_waitcnt lgkmcnt(0)
	s_bitcmp1_b32 s7, 0
	s_cselect_b64 s[8:9], -1, 0
	s_bitcmp1_b32 s7, 16
	s_cselect_b64 s[12:13], -1, 0
	s_xor_b64 s[2:3], s[8:9], -1
	s_or_b64 s[2:3], s[2:3], s[12:13]
	s_and_b64 vcc, exec, s[2:3]
	s_cbranch_vccnz .LBB183_2
; %bb.1:
	s_load_dword s0, s[0:1], 0x0
	s_waitcnt lgkmcnt(0)
	v_mov_b32_e32 v28, s0
	s_branch .LBB183_3
.LBB183_2:
	v_mov_b32_e32 v1, s0
	v_cndmask_b32_e64 v28, 0, v1, s[8:9]
.LBB183_3:
	s_load_dwordx2 s[2:3], s[4:5], 0x18
	s_bitcmp1_b32 s7, 8
	s_cselect_b64 s[0:1], -1, 0
	s_xor_b64 s[14:15], s[0:1], -1
	s_or_b64 s[12:13], s[14:15], s[12:13]
	s_and_b64 vcc, exec, s[12:13]
	s_cbranch_vccnz .LBB183_5
; %bb.4:
	s_load_dword s7, s[10:11], 0x0
	s_waitcnt lgkmcnt(0)
	v_mov_b32_e32 v29, s7
	s_load_dwordx2 s[12:13], s[4:5], 0x28
	s_cmp_eq_u64 s[2:3], 0
	s_mov_b64 s[10:11], 0
	s_cbranch_scc0 .LBB183_6
	s_branch .LBB183_7
.LBB183_5:
	v_mov_b32_e32 v1, s10
	v_cndmask_b32_e64 v29, 0, v1, s[0:1]
	s_load_dwordx2 s[12:13], s[4:5], 0x28
	s_waitcnt lgkmcnt(0)
	s_cmp_eq_u64 s[2:3], 0
	s_mov_b64 s[10:11], 0
	s_cbranch_scc1 .LBB183_7
.LBB183_6:
	s_load_dwordx2 s[14:15], s[4:5], 0x10
	s_waitcnt lgkmcnt(0)
	s_load_dword s7, s[14:15], 0x0
	s_waitcnt lgkmcnt(0)
	s_add_i32 s6, s7, s6
	s_mov_b32 s7, 0
	s_lshl_b64 s[6:7], s[6:7], 2
	s_add_u32 s2, s2, s6
	s_addc_u32 s3, s3, s7
	s_load_dword s6, s[2:3], 0x0
.LBB183_7:
	v_cndmask_b32_e64 v1, 0, 1, s[8:9]
	v_cmp_ne_u32_e64 s[2:3], 1, v1
	s_andn2_b64 vcc, exec, s[8:9]
	s_cbranch_vccz .LBB183_10
; %bb.8:
	s_and_b64 vcc, exec, s[2:3]
	s_mov_b64 s[34:35], 0
	s_cbranch_vccz .LBB183_11
.LBB183_9:
	s_load_dwordx4 s[36:39], s[4:5], 0x0
	s_waitcnt lgkmcnt(0)
	s_cmp_lt_i32 s37, 1
	s_cbranch_scc0 .LBB183_12
	s_branch .LBB183_99
.LBB183_10:
	s_waitcnt lgkmcnt(0)
	s_ashr_i32 s7, s6, 31
	s_lshl_b64 s[10:11], s[6:7], 3
	s_add_u32 s10, s12, s10
	s_addc_u32 s11, s13, s11
	s_load_dwordx2 s[10:11], s[10:11], 0x0
	s_waitcnt lgkmcnt(0)
	s_sub_u32 s10, s10, s28
	s_subb_u32 s11, s11, 0
	s_and_b64 vcc, exec, s[2:3]
	s_mov_b64 s[34:35], 0
	s_cbranch_vccnz .LBB183_9
.LBB183_11:
	s_waitcnt lgkmcnt(0)
	s_ashr_i32 s7, s6, 31
	s_lshl_b64 s[2:3], s[6:7], 3
	s_add_u32 s2, s12, s2
	s_addc_u32 s3, s13, s3
	s_load_dwordx2 s[2:3], s[2:3], 0x8
	s_waitcnt lgkmcnt(0)
	s_sub_u32 s34, s2, s28
	s_subb_u32 s35, s3, 0
	s_load_dwordx4 s[36:39], s[4:5], 0x0
	s_waitcnt lgkmcnt(0)
	s_cmp_lt_i32 s37, 1
	s_cbranch_scc1 .LBB183_99
.LBB183_12:
	s_load_dwordx8 s[20:27], s[4:5], 0x60
	s_load_dwordx2 s[44:45], s[4:5], 0x90
	s_load_dwordx4 s[40:43], s[4:5], 0x80
	s_load_dwordx2 s[50:51], s[4:5], 0x50
	s_ashr_i32 s7, s6, 31
	s_lshl_b64 s[48:49], s[6:7], 3
	s_waitcnt lgkmcnt(0)
	s_add_u32 s2, s26, s48
	s_addc_u32 s3, s27, s49
	s_load_dwordx2 s[6:7], s[2:3], 0x0
	s_load_dwordx8 s[12:19], s[4:5], 0x30
	v_and_b32_e32 v30, 15, v0
	v_pk_mov_b32 v[2:3], s[34:35], s[34:35] op_sel:[0,1]
	v_lshrrev_b32_e32 v1, 4, v0
	s_waitcnt lgkmcnt(0)
	s_sub_u32 s52, s6, s30
	v_cmp_lt_i64_e32 vcc, s[10:11], v[2:3]
	v_mul_lo_u32 v2, v30, s38
	v_mov_b32_e32 v3, 0
	s_subb_u32 s53, s7, 0
	v_cmp_gt_u32_e64 s[4:5], s38, v30
	v_cmp_gt_i32_e64 s[6:7], s38, v1
	v_lshlrev_b64 v[6:7], 2, v[2:3]
	s_and_b64 s[26:27], s[4:5], s[6:7]
	v_mov_b32_e32 v2, s25
	v_add_co_u32_e64 v8, s[4:5], s24, v6
	v_addc_co_u32_e64 v9, s[4:5], v2, v7, s[4:5]
	v_lshlrev_b32_e32 v10, 2, v1
	v_mul_lo_u32 v4, v1, s38
	v_mov_b32_e32 v5, v3
	v_add_co_u32_e64 v1, s[4:5], v8, v10
	v_addc_co_u32_e64 v8, s[4:5], 0, v9, s[4:5]
	v_lshlrev_b64 v[12:13], 2, v[4:5]
	v_add_co_u32_e64 v4, s[4:5], s24, v12
	v_addc_co_u32_e64 v2, s[4:5], v2, v13, s[4:5]
	v_lshlrev_b32_e32 v11, 2, v30
	v_add_co_u32_e64 v4, s[4:5], v4, v11
	v_mov_b32_e32 v5, s43
	v_add_co_u32_e64 v9, s[6:7], s42, v6
	s_cmp_eq_u32 s36, 0
	v_addc_co_u32_e64 v2, s[4:5], 0, v2, s[4:5]
	v_addc_co_u32_e64 v14, s[6:7], v5, v7, s[6:7]
	s_cselect_b64 s[4:5], -1, 0
	s_cmp_lg_u32 s36, 0
	v_add_co_u32_e64 v32, s[6:7], v9, v10
	s_cselect_b64 s[24:25], -1, 0
	s_cmp_gt_i32 s38, 0
	v_addc_co_u32_e64 v33, s[6:7], 0, v14, s[6:7]
	s_cselect_b64 s[54:55], -1, 0
	s_add_u32 s20, s20, s48
	v_add_co_u32_e64 v9, s[6:7], s42, v12
	s_addc_u32 s21, s21, s49
	v_addc_co_u32_e64 v5, s[6:7], v5, v13, s[6:7]
	s_and_b64 s[8:9], s[8:9], vcc
	v_and_b32_e32 v31, 0xf0, v0
	v_add_co_u32_e64 v34, s[6:7], v9, v11
	s_add_u32 s36, s16, 8
	s_mul_i32 s46, s38, s38
	v_addc_co_u32_e64 v35, s[6:7], 0, v5, s[6:7]
	v_or_b32_e32 v5, v31, v30
	s_addc_u32 s63, s17, 0
	s_mov_b32 s33, 0
	v_lshlrev_b32_e32 v37, 2, v5
	v_cndmask_b32_e64 v5, v8, v2, s[4:5]
	v_cndmask_b32_e64 v4, v1, v4, s[4:5]
	;; [unrolled: 1-line block ×4, first 2 shown]
	s_add_u32 s64, s40, -4
	s_mul_i32 s4, s11, s46
	s_mul_hi_u32 s5, s10, s46
	s_mov_b32 s47, s33
	s_addc_u32 s65, s41, -1
	s_add_i32 s5, s5, s4
	s_mul_i32 s4, s10, s46
	s_lshl_b64 s[42:43], s[46:47], 2
	s_lshl_b64 s[4:5], s[4:5], 2
	v_mov_b32_e32 v14, s51
	v_add_co_u32_e32 v6, vcc, s50, v6
	s_add_u32 s4, s14, s4
	v_addc_co_u32_e32 v7, vcc, v14, v7, vcc
	s_addc_u32 s5, s15, s5
	v_mov_b32_e32 v9, s5
	v_add_co_u32_e32 v8, vcc, s4, v10
	v_addc_co_u32_e32 v9, vcc, 0, v9, vcc
	v_add_co_u32_e32 v10, vcc, s50, v11
	s_mov_b32 s48, s31
	s_mov_b32 s49, s33
	;; [unrolled: 1-line block ×3, first 2 shown]
	v_addc_co_u32_e32 v11, vcc, 0, v14, vcc
	s_lshl_b64 s[14:15], s[38:39], 2
	v_mov_b32_e32 v14, s5
	v_add_co_u32_e32 v12, vcc, s4, v12
	s_lshl_b64 s[4:5], s[48:49], 2
	s_sub_u32 s39, s22, s4
	s_subb_u32 s47, s23, s5
	s_sub_u32 s49, 1, s31
	v_cmp_gt_u32_e64 s[2:3], 8, v0
	s_mov_b32 s62, s29
	v_lshlrev_b32_e32 v36, 2, v0
	v_addc_co_u32_e32 v13, vcc, v14, v13, vcc
	s_subb_u32 s66, 0, 0
	s_mov_b32 s69, 8
	v_pk_mov_b32 v[14:15], s[52:53], s[52:53] op_sel:[0,1]
	v_mov_b32_e32 v38, 1
	v_cndmask_b32_e64 v39, 0, 1, s[54:55]
	v_mov_b32_e32 v40, s15
	s_mov_b32 s68, 0
	s_branch .LBB183_15
.LBB183_13:                             ;   in Loop: Header=BB183_15 Depth=1
	s_or_b64 exec, exec, s[4:5]
.LBB183_14:                             ;   in Loop: Header=BB183_15 Depth=1
	s_min_i32 s68, s67, s37
	s_add_i32 s69, s68, 8
	s_cmp_lt_i32 s67, s37
	v_pk_mov_b32 v[14:15], v[16:17], v[16:17] op_sel:[0,1]
	s_waitcnt lgkmcnt(0)
	s_barrier
	s_barrier
	s_cbranch_scc0 .LBB183_99
.LBB183_15:                             ; =>This Loop Header: Depth=1
                                        ;     Child Loop BB183_19 Depth 2
                                        ;     Child Loop BB183_25 Depth 2
                                        ;       Child Loop BB183_30 Depth 3
                                        ;         Child Loop BB183_39 Depth 4
                                        ;         Child Loop BB183_44 Depth 4
                                        ;     Child Loop BB183_58 Depth 2
	s_and_saveexec_b64 s[4:5], s[2:3]
	s_cbranch_execz .LBB183_17
; %bb.16:                               ;   in Loop: Header=BB183_15 Depth=1
	ds_write_b8 v0, v3 offset:8192
.LBB183_17:                             ;   in Loop: Header=BB183_15 Depth=1
	s_or_b64 exec, exec, s[4:5]
	s_mov_b32 s50, 0
	s_mov_b64 s[4:5], 0
	v_mov_b32_e32 v16, v36
	s_branch .LBB183_19
.LBB183_18:                             ;   in Loop: Header=BB183_19 Depth=2
	s_or_b64 exec, exec, s[22:23]
	s_add_i32 s50, s50, 2
	v_cmp_eq_u32_e64 s[6:7], 8, s50
	s_or_b64 s[4:5], s[6:7], s[4:5]
	v_add_u32_e32 v16, 0x800, v16
	s_andn2_b64 exec, exec, s[4:5]
	s_cbranch_execz .LBB183_23
.LBB183_19:                             ;   Parent Loop BB183_15 Depth=1
                                        ; =>  This Inner Loop Header: Depth=2
	s_or_b32 s6, s50, 1
	v_cmp_le_u32_e64 s[6:7], s6, 7
	v_cmp_le_u32_e64 s[52:53], s50, 7
	s_and_saveexec_b64 s[22:23], s[52:53]
	s_cbranch_execz .LBB183_21
; %bb.20:                               ;   in Loop: Header=BB183_19 Depth=2
	ds_write_b32 v16, v3
.LBB183_21:                             ;   in Loop: Header=BB183_19 Depth=2
	s_or_b64 exec, exec, s[22:23]
	s_and_saveexec_b64 s[22:23], s[6:7]
	s_cbranch_execz .LBB183_18
; %bb.22:                               ;   in Loop: Header=BB183_19 Depth=2
	ds_write_b32 v16, v3 offset:1024
	s_branch .LBB183_18
.LBB183_23:                             ;   in Loop: Header=BB183_15 Depth=1
	s_or_b64 exec, exec, s[4:5]
	s_andn2_b64 vcc, exec, s[8:9]
	s_mov_b32 s67, s37
	s_waitcnt lgkmcnt(0)
	s_barrier
	s_cbranch_vccnz .LBB183_53
; %bb.24:                               ;   in Loop: Header=BB183_15 Depth=1
	s_cmp_lg_u32 s68, 0
	s_cselect_b64 s[6:7], -1, 0
	v_pk_mov_b32 v[16:17], v[12:13], v[12:13] op_sel:[0,1]
	v_pk_mov_b32 v[18:19], v[8:9], v[8:9] op_sel:[0,1]
	s_mov_b32 s70, s37
	s_mov_b64 s[22:23], s[10:11]
.LBB183_25:                             ;   Parent Loop BB183_15 Depth=1
                                        ; =>  This Loop Header: Depth=2
                                        ;       Child Loop BB183_30 Depth 3
                                        ;         Child Loop BB183_39 Depth 4
                                        ;         Child Loop BB183_44 Depth 4
	s_lshl_b64 s[4:5], s[22:23], 2
	s_add_u32 s4, s12, s4
	s_addc_u32 s5, s13, s5
	s_load_dword s4, s[4:5], 0x0
	s_and_b64 vcc, exec, s[6:7]
	s_waitcnt lgkmcnt(0)
	s_sub_i32 s4, s4, s28
	s_cbranch_vccz .LBB183_52
; %bb.26:                               ;   in Loop: Header=BB183_25 Depth=2
	s_lshl_b64 s[50:51], s[22:23], 3
	s_add_u32 s50, s44, s50
	s_addc_u32 s51, s45, s51
	global_load_dwordx2 v[20:21], v3, s[50:51]
	s_ashr_i32 s5, s4, 31
	s_waitcnt vmcnt(0)
	v_readfirstlane_b32 s50, v20
	v_readfirstlane_b32 s51, v21
	s_cbranch_execnz .LBB183_28
.LBB183_27:                             ;   in Loop: Header=BB183_25 Depth=2
	s_ashr_i32 s5, s4, 31
	s_lshl_b64 s[50:51], s[4:5], 3
	s_add_u32 s50, s16, s50
	s_addc_u32 s51, s17, s51
	s_load_dwordx2 s[50:51], s[50:51], 0x0
	s_waitcnt lgkmcnt(0)
	s_sub_u32 s50, s50, s62
	s_subb_u32 s51, s51, 0
.LBB183_28:                             ;   in Loop: Header=BB183_25 Depth=2
	s_lshl_b64 s[4:5], s[4:5], 3
	s_add_u32 s4, s36, s4
	s_addc_u32 s5, s63, s5
	s_load_dwordx2 s[4:5], s[4:5], 0x0
	s_waitcnt lgkmcnt(0)
	s_sub_u32 s52, s4, s62
	s_subb_u32 s53, s5, 0
	v_pk_mov_b32 v[20:21], s[52:53], s[52:53] op_sel:[0,1]
	v_cmp_ge_i64_e32 vcc, s[50:51], v[20:21]
	s_cbranch_vccnz .LBB183_49
; %bb.29:                               ;   in Loop: Header=BB183_25 Depth=2
	v_mov_b32_e32 v22, s50
	v_mad_u64_u32 v[20:21], s[4:5], s42, v22, v[6:7]
	s_mul_i32 s4, s43, s50
	s_mul_i32 s5, s42, s51
	s_add_i32 s54, s5, s4
	v_mad_u64_u32 v[22:23], s[4:5], s42, v22, v[10:11]
	v_add_u32_e32 v21, s54, v21
	v_add_u32_e32 v23, s54, v23
	s_mov_b64 s[54:55], s[50:51]
.LBB183_30:                             ;   Parent Loop BB183_15 Depth=1
                                        ;     Parent Loop BB183_25 Depth=2
                                        ; =>    This Loop Header: Depth=3
                                        ;         Child Loop BB183_39 Depth 4
                                        ;         Child Loop BB183_44 Depth 4
	s_lshl_b64 s[4:5], s[50:51], 2
	s_add_u32 s4, s18, s4
	s_addc_u32 s5, s19, s5
	s_load_dword s4, s[4:5], 0x0
	s_mov_b64 s[58:59], -1
                                        ; implicit-def: $sgpr67
                                        ; implicit-def: $sgpr56_sgpr57
	s_waitcnt lgkmcnt(0)
	s_sub_i32 s71, s4, s29
	s_cmp_lt_i32 s71, s68
	s_cselect_b64 s[4:5], -1, 0
	s_cmp_ge_i32 s71, s69
	s_cselect_b64 s[60:61], -1, 0
	s_or_b64 s[4:5], s[4:5], s[60:61]
	s_and_b64 vcc, exec, s[4:5]
                                        ; implicit-def: $sgpr4_sgpr5
	s_cbranch_vccz .LBB183_34
; %bb.31:                               ;   in Loop: Header=BB183_30 Depth=3
	s_mov_b64 s[56:57], -1
	s_andn2_b64 vcc, exec, s[60:61]
	s_mov_b64 s[4:5], s[54:55]
	s_mov_b32 s67, s70
	s_cbranch_vccnz .LBB183_33
; %bb.32:                               ;   in Loop: Header=BB183_30 Depth=3
	s_min_i32 s67, s71, s70
	s_mov_b64 s[56:57], 0
	s_mov_b64 s[4:5], s[50:51]
.LBB183_33:                             ;   in Loop: Header=BB183_30 Depth=3
	s_mov_b64 s[58:59], 0
.LBB183_34:                             ;   in Loop: Header=BB183_30 Depth=3
	s_andn2_b64 vcc, exec, s[58:59]
	s_cbranch_vccnz .LBB183_47
; %bb.35:                               ;   in Loop: Header=BB183_30 Depth=3
	s_sub_i32 s60, s71, s68
	v_mov_b32_e32 v24, s60
	ds_write_b8 v24, v38 offset:8192
	s_and_saveexec_b64 s[56:57], s[26:27]
	s_cbranch_execz .LBB183_46
; %bb.36:                               ;   in Loop: Header=BB183_30 Depth=3
	s_andn2_b64 vcc, exec, s[24:25]
	v_cmp_ne_u32_e64 s[4:5], 1, v39
	s_cbranch_vccnz .LBB183_41
; %bb.37:                               ;   in Loop: Header=BB183_30 Depth=3
	v_mov_b32_e32 v41, 0
	s_and_b64 vcc, exec, s[4:5]
	s_cbranch_vccnz .LBB183_40
; %bb.38:                               ;   in Loop: Header=BB183_30 Depth=3
	v_pk_mov_b32 v[24:25], v[18:19], v[18:19] op_sel:[0,1]
	v_pk_mov_b32 v[26:27], v[20:21], v[20:21] op_sel:[0,1]
	s_mov_b32 s58, s38
.LBB183_39:                             ;   Parent Loop BB183_15 Depth=1
                                        ;     Parent Loop BB183_25 Depth=2
                                        ;       Parent Loop BB183_30 Depth=3
                                        ; =>      This Inner Loop Header: Depth=4
	global_load_dword v42, v[24:25], off
	global_load_dword v43, v[26:27], off
	v_add_co_u32_e32 v26, vcc, 4, v26
	v_addc_co_u32_e32 v27, vcc, 0, v27, vcc
	s_add_i32 s58, s58, -1
	v_add_co_u32_e32 v24, vcc, s14, v24
	v_addc_co_u32_e32 v25, vcc, v25, v40, vcc
	s_cmp_lg_u32 s58, 0
	s_waitcnt vmcnt(0)
	v_fmac_f32_e32 v41, v42, v43
	s_cbranch_scc1 .LBB183_39
.LBB183_40:                             ;   in Loop: Header=BB183_30 Depth=3
	s_cbranch_execz .LBB183_42
	s_branch .LBB183_45
.LBB183_41:                             ;   in Loop: Header=BB183_30 Depth=3
                                        ; implicit-def: $vgpr41
.LBB183_42:                             ;   in Loop: Header=BB183_30 Depth=3
	v_mov_b32_e32 v41, 0
	s_and_b64 vcc, exec, s[4:5]
	s_cbranch_vccnz .LBB183_45
; %bb.43:                               ;   in Loop: Header=BB183_30 Depth=3
	v_pk_mov_b32 v[24:25], v[16:17], v[16:17] op_sel:[0,1]
	v_pk_mov_b32 v[26:27], v[22:23], v[22:23] op_sel:[0,1]
	s_mov_b32 s4, s38
.LBB183_44:                             ;   Parent Loop BB183_15 Depth=1
                                        ;     Parent Loop BB183_25 Depth=2
                                        ;       Parent Loop BB183_30 Depth=3
                                        ; =>      This Inner Loop Header: Depth=4
	global_load_dword v42, v[24:25], off
	global_load_dword v43, v[26:27], off
	v_add_co_u32_e32 v24, vcc, 4, v24
	v_addc_co_u32_e32 v25, vcc, 0, v25, vcc
	s_add_i32 s4, s4, -1
	v_mov_b32_e32 v44, s15
	v_add_co_u32_e32 v26, vcc, s14, v26
	v_addc_co_u32_e32 v27, vcc, v27, v44, vcc
	s_cmp_eq_u32 s4, 0
	s_waitcnt vmcnt(0)
	v_fmac_f32_e32 v41, v42, v43
	s_cbranch_scc0 .LBB183_44
.LBB183_45:                             ;   in Loop: Header=BB183_30 Depth=3
	s_lshl_b32 s4, s60, 8
	v_or3_b32 v24, s4, v31, v30
	v_lshlrev_b32_e32 v24, 2, v24
	ds_read_b32 v25, v24
	s_waitcnt lgkmcnt(0)
	v_fmac_f32_e32 v25, v28, v41
	ds_write_b32 v24, v25
.LBB183_46:                             ;   in Loop: Header=BB183_30 Depth=3
	s_or_b64 exec, exec, s[56:57]
	s_mov_b64 s[56:57], -1
	s_mov_b64 s[4:5], s[54:55]
	s_mov_b32 s67, s70
	s_waitcnt lgkmcnt(0)
	s_barrier
.LBB183_47:                             ;   in Loop: Header=BB183_30 Depth=3
	s_add_u32 s50, s50, 1
	s_addc_u32 s51, s51, 0
	v_pk_mov_b32 v[24:25], s[52:53], s[52:53] op_sel:[0,1]
	v_cmp_lt_i64_e32 vcc, s[50:51], v[24:25]
	s_and_b64 s[54:55], s[56:57], vcc
	v_mov_b32_e32 v24, s43
	v_add_co_u32_e32 v20, vcc, s42, v20
	v_addc_co_u32_e32 v21, vcc, v21, v24, vcc
	v_add_co_u32_e32 v22, vcc, s42, v22
	v_addc_co_u32_e32 v23, vcc, v23, v24, vcc
	s_and_b64 vcc, exec, s[54:55]
	s_cbranch_vccz .LBB183_50
; %bb.48:                               ;   in Loop: Header=BB183_30 Depth=3
	s_mov_b64 s[54:55], s[4:5]
	s_mov_b32 s70, s67
	s_branch .LBB183_30
.LBB183_49:                             ;   in Loop: Header=BB183_25 Depth=2
	s_mov_b64 s[4:5], s[50:51]
	s_mov_b32 s67, s70
.LBB183_50:                             ;   in Loop: Header=BB183_25 Depth=2
	s_lshl_b64 s[50:51], s[22:23], 3
	s_add_u32 s50, s44, s50
	s_addc_u32 s51, s45, s51
	v_pk_mov_b32 v[20:21], s[4:5], s[4:5] op_sel:[0,1]
	global_store_dwordx2 v3, v[20:21], s[50:51]
	v_mov_b32_e32 v20, s43
	v_add_co_u32_e32 v18, vcc, s42, v18
	v_addc_co_u32_e32 v19, vcc, v19, v20, vcc
	s_add_u32 s22, s22, 1
	v_add_co_u32_e32 v16, vcc, s42, v16
	s_addc_u32 s23, s23, 0
	v_addc_co_u32_e32 v17, vcc, v17, v20, vcc
	v_pk_mov_b32 v[20:21], s[34:35], s[34:35] op_sel:[0,1]
	v_cmp_lt_i64_e32 vcc, s[22:23], v[20:21]
	s_cbranch_vccz .LBB183_53
; %bb.51:                               ;   in Loop: Header=BB183_25 Depth=2
	s_mov_b32 s70, s67
	s_branch .LBB183_25
.LBB183_52:                             ;   in Loop: Header=BB183_25 Depth=2
                                        ; implicit-def: $sgpr50_sgpr51
	s_branch .LBB183_27
.LBB183_53:                             ;   in Loop: Header=BB183_15 Depth=1
	s_andn2_b64 vcc, exec, s[0:1]
	s_cbranch_vccnz .LBB183_63
; %bb.54:                               ;   in Loop: Header=BB183_15 Depth=1
	s_load_dwordx4 s[4:7], s[20:21], 0x0
	s_waitcnt lgkmcnt(0)
	v_pk_mov_b32 v[16:17], s[6:7], s[6:7] op_sel:[0,1]
	v_cmp_ge_i64_e32 vcc, s[4:5], v[16:17]
	s_cbranch_vccnz .LBB183_63
; %bb.55:                               ;   in Loop: Header=BB183_15 Depth=1
	s_sub_u32 s6, s6, s48
	s_subb_u32 s7, s7, 0
	s_sub_u32 s50, s4, s48
	s_subb_u32 s51, s5, 0
	s_lshl_b64 s[22:23], s[4:5], 2
	s_add_u32 s22, s39, s22
	s_mul_i32 s52, s43, s50
	s_mul_i32 s51, s42, s51
	s_addc_u32 s23, s47, s23
	s_add_i32 s52, s51, s52
	v_mov_b32_e32 v16, s50
	v_mad_u64_u32 v[16:17], s[50:51], s42, v16, v[4:5]
	s_add_u32 s4, s49, s4
	v_add_u32_e32 v17, s52, v17
	s_addc_u32 s5, s66, s5
	s_branch .LBB183_58
.LBB183_56:                             ;   in Loop: Header=BB183_58 Depth=2
	s_or_b64 exec, exec, s[50:51]
	s_mov_b64 s[50:51], -1
	s_mov_b32 s54, s67
	s_waitcnt lgkmcnt(0)
	s_barrier
.LBB183_57:                             ;   in Loop: Header=BB183_58 Depth=2
	v_pk_mov_b32 v[18:19], s[6:7], s[6:7] op_sel:[0,1]
	v_cmp_lt_i64_e32 vcc, s[4:5], v[18:19]
	s_and_b64 s[50:51], s[50:51], vcc
	s_add_u32 s22, s22, 4
	s_addc_u32 s23, s23, 0
	v_mov_b32_e32 v18, s43
	v_add_co_u32_e32 v16, vcc, s42, v16
	v_addc_co_u32_e32 v17, vcc, v17, v18, vcc
	s_add_u32 s4, s4, 1
	s_addc_u32 s5, s5, 0
	s_mov_b32 s67, s54
	s_and_b64 vcc, exec, s[50:51]
	s_cbranch_vccz .LBB183_63
.LBB183_58:                             ;   Parent Loop BB183_15 Depth=1
                                        ; =>  This Inner Loop Header: Depth=2
	s_load_dword s50, s[22:23], 0x0
                                        ; implicit-def: $sgpr54
	s_waitcnt lgkmcnt(0)
	s_sub_i32 s55, s50, s31
	s_cmp_lt_i32 s55, s68
	s_cselect_b64 s[52:53], -1, 0
	s_cmp_lt_i32 s55, s69
	s_cselect_b64 s[50:51], -1, 0
	s_cmp_ge_i32 s55, s69
	s_cselect_b64 s[56:57], -1, 0
	s_or_b64 s[56:57], s[52:53], s[56:57]
	s_mov_b64 s[52:53], -1
	s_and_b64 vcc, exec, s[56:57]
	s_cbranch_vccz .LBB183_60
; %bb.59:                               ;   in Loop: Header=BB183_58 Depth=2
	s_min_i32 s54, s55, s67
	s_and_b64 s[52:53], s[50:51], exec
	s_cselect_b32 s54, s67, s54
	s_mov_b64 s[52:53], 0
.LBB183_60:                             ;   in Loop: Header=BB183_58 Depth=2
	s_andn2_b64 vcc, exec, s[52:53]
	s_cbranch_vccnz .LBB183_57
; %bb.61:                               ;   in Loop: Header=BB183_58 Depth=2
	s_sub_i32 s52, s55, s68
	v_mov_b32_e32 v18, s52
	ds_write_b8 v18, v38 offset:8192
	s_and_saveexec_b64 s[50:51], s[26:27]
	s_cbranch_execz .LBB183_56
; %bb.62:                               ;   in Loop: Header=BB183_58 Depth=2
	global_load_dword v18, v[16:17], off
	s_lshl_b32 s52, s52, 8
	v_or3_b32 v19, s52, v31, v30
	v_lshlrev_b32_e32 v19, 2, v19
	ds_read_b32 v20, v19
	s_waitcnt vmcnt(0) lgkmcnt(0)
	v_fmac_f32_e32 v20, v29, v18
	ds_write_b32 v19, v20
	s_branch .LBB183_56
.LBB183_63:                             ;   in Loop: Header=BB183_15 Depth=1
	s_barrier
	ds_read_u8 v16, v3 offset:8192
	s_add_i32 s6, s68, s30
	s_mov_b32 s7, 0
	s_waitcnt lgkmcnt(0)
	v_cmp_eq_u32_e32 vcc, 0, v16
	s_cbranch_vccnz .LBB183_67
; %bb.64:                               ;   in Loop: Header=BB183_15 Depth=1
	v_lshlrev_b64 v[16:17], 2, v[14:15]
	v_mov_b32_e32 v18, s41
	v_add_co_u32_e32 v16, vcc, s40, v16
	v_addc_co_u32_e32 v17, vcc, v18, v17, vcc
	v_mov_b32_e32 v18, s6
	global_store_dword v[16:17], v18, off
	s_and_saveexec_b64 s[4:5], s[26:27]
	s_cbranch_execz .LBB183_66
; %bb.65:                               ;   in Loop: Header=BB183_15 Depth=1
	v_mad_u64_u32 v[16:17], s[22:23], v14, s46, 0
	v_mov_b32_e32 v18, v17
	v_mad_u64_u32 v[18:19], s[22:23], v15, s46, v[18:19]
	v_mov_b32_e32 v17, v18
	ds_read_b32 v18, v36
	v_lshlrev_b64 v[16:17], 2, v[16:17]
	v_add_co_u32_e32 v16, vcc, v2, v16
	v_addc_co_u32_e32 v17, vcc, v1, v17, vcc
	s_waitcnt lgkmcnt(0)
	global_store_dword v[16:17], v18, off
.LBB183_66:                             ;   in Loop: Header=BB183_15 Depth=1
	s_or_b64 exec, exec, s[4:5]
	s_mov_b32 s7, 1
.LBB183_67:                             ;   in Loop: Header=BB183_15 Depth=1
	ds_read_u8 v16, v3 offset:8193
	v_add_co_u32_e64 v18, s[4:5], -1, v14
	v_addc_co_u32_e64 v19, s[4:5], -1, v15, s[4:5]
	s_waitcnt lgkmcnt(0)
	v_cmp_eq_u32_e32 vcc, 0, v16
	s_cbranch_vccz .LBB183_73
; %bb.68:                               ;   in Loop: Header=BB183_15 Depth=1
	ds_read_u8 v16, v3 offset:8194
	s_waitcnt lgkmcnt(0)
	v_cmp_eq_u32_e32 vcc, 0, v16
	s_cbranch_vccz .LBB183_76
.LBB183_69:                             ;   in Loop: Header=BB183_15 Depth=1
	ds_read_u8 v16, v3 offset:8195
	s_waitcnt lgkmcnt(0)
	v_cmp_eq_u32_e32 vcc, 0, v16
	s_cbranch_vccz .LBB183_79
.LBB183_70:                             ;   in Loop: Header=BB183_15 Depth=1
	ds_read_u8 v16, v3 offset:8196
	s_waitcnt lgkmcnt(0)
	v_cmp_eq_u32_e32 vcc, 0, v16
	s_cbranch_vccz .LBB183_82
.LBB183_71:                             ;   in Loop: Header=BB183_15 Depth=1
	ds_read_u8 v16, v3 offset:8197
	s_waitcnt lgkmcnt(0)
	v_cmp_eq_u32_e32 vcc, 0, v16
	s_cbranch_vccz .LBB183_85
.LBB183_72:                             ;   in Loop: Header=BB183_15 Depth=1
	ds_read_u8 v16, v3 offset:8198
	s_waitcnt lgkmcnt(0)
	v_cmp_eq_u32_e32 vcc, 0, v16
	s_cbranch_vccz .LBB183_88
	s_branch .LBB183_91
.LBB183_73:                             ;   in Loop: Header=BB183_15 Depth=1
	s_add_i32 s7, s7, 1
	v_add_co_u32_e32 v16, vcc, s7, v14
	v_addc_co_u32_e32 v17, vcc, 0, v15, vcc
	v_lshlrev_b64 v[16:17], 2, v[16:17]
	s_add_i32 s4, s6, 1
	v_mov_b32_e32 v20, s65
	v_add_co_u32_e32 v16, vcc, s64, v16
	v_addc_co_u32_e32 v17, vcc, v20, v17, vcc
	v_mov_b32_e32 v20, s4
	global_store_dword v[16:17], v20, off
	s_and_saveexec_b64 s[4:5], s[26:27]
	s_cbranch_execz .LBB183_75
; %bb.74:                               ;   in Loop: Header=BB183_15 Depth=1
	v_mov_b32_e32 v16, s33
	v_add_co_u32_e32 v17, vcc, s7, v18
	v_addc_co_u32_e32 v21, vcc, v19, v16, vcc
	v_mad_u64_u32 v[16:17], s[22:23], v17, s46, 0
	v_mov_b32_e32 v20, v17
	v_mad_u64_u32 v[20:21], s[22:23], v21, s46, v[20:21]
	v_mov_b32_e32 v17, v20
	ds_read_b32 v20, v37 offset:1024
	v_lshlrev_b64 v[16:17], 2, v[16:17]
	v_add_co_u32_e32 v16, vcc, v2, v16
	v_addc_co_u32_e32 v17, vcc, v1, v17, vcc
	s_waitcnt lgkmcnt(0)
	global_store_dword v[16:17], v20, off
.LBB183_75:                             ;   in Loop: Header=BB183_15 Depth=1
	s_or_b64 exec, exec, s[4:5]
	ds_read_u8 v16, v3 offset:8194
	s_waitcnt lgkmcnt(0)
	v_cmp_eq_u32_e32 vcc, 0, v16
	s_cbranch_vccnz .LBB183_69
.LBB183_76:                             ;   in Loop: Header=BB183_15 Depth=1
	s_add_i32 s7, s7, 1
	v_add_co_u32_e32 v16, vcc, s7, v14
	v_addc_co_u32_e32 v17, vcc, 0, v15, vcc
	v_lshlrev_b64 v[16:17], 2, v[16:17]
	s_add_i32 s4, s6, 2
	v_mov_b32_e32 v20, s65
	v_add_co_u32_e32 v16, vcc, s64, v16
	v_addc_co_u32_e32 v17, vcc, v20, v17, vcc
	v_mov_b32_e32 v20, s4
	global_store_dword v[16:17], v20, off
	s_and_saveexec_b64 s[4:5], s[26:27]
	s_cbranch_execz .LBB183_78
; %bb.77:                               ;   in Loop: Header=BB183_15 Depth=1
	v_mov_b32_e32 v16, s33
	v_add_co_u32_e32 v17, vcc, s7, v18
	v_addc_co_u32_e32 v21, vcc, v19, v16, vcc
	v_mad_u64_u32 v[16:17], s[22:23], v17, s46, 0
	v_mov_b32_e32 v20, v17
	v_mad_u64_u32 v[20:21], s[22:23], v21, s46, v[20:21]
	v_mov_b32_e32 v17, v20
	ds_read_b32 v20, v37 offset:2048
	v_lshlrev_b64 v[16:17], 2, v[16:17]
	v_add_co_u32_e32 v16, vcc, v2, v16
	v_addc_co_u32_e32 v17, vcc, v1, v17, vcc
	s_waitcnt lgkmcnt(0)
	global_store_dword v[16:17], v20, off
.LBB183_78:                             ;   in Loop: Header=BB183_15 Depth=1
	s_or_b64 exec, exec, s[4:5]
	ds_read_u8 v16, v3 offset:8195
	s_waitcnt lgkmcnt(0)
	v_cmp_eq_u32_e32 vcc, 0, v16
	s_cbranch_vccnz .LBB183_70
.LBB183_79:                             ;   in Loop: Header=BB183_15 Depth=1
	s_add_i32 s7, s7, 1
	v_add_co_u32_e32 v16, vcc, s7, v14
	v_addc_co_u32_e32 v17, vcc, 0, v15, vcc
	v_lshlrev_b64 v[16:17], 2, v[16:17]
	s_add_i32 s4, s6, 3
	v_mov_b32_e32 v20, s65
	v_add_co_u32_e32 v16, vcc, s64, v16
	v_addc_co_u32_e32 v17, vcc, v20, v17, vcc
	v_mov_b32_e32 v20, s4
	global_store_dword v[16:17], v20, off
	s_and_saveexec_b64 s[4:5], s[26:27]
	s_cbranch_execz .LBB183_81
; %bb.80:                               ;   in Loop: Header=BB183_15 Depth=1
	v_mov_b32_e32 v16, s33
	v_add_co_u32_e32 v17, vcc, s7, v18
	v_addc_co_u32_e32 v21, vcc, v19, v16, vcc
	v_mad_u64_u32 v[16:17], s[22:23], v17, s46, 0
	v_mov_b32_e32 v20, v17
	v_mad_u64_u32 v[20:21], s[22:23], v21, s46, v[20:21]
	v_mov_b32_e32 v17, v20
	ds_read_b32 v20, v37 offset:3072
	v_lshlrev_b64 v[16:17], 2, v[16:17]
	v_add_co_u32_e32 v16, vcc, v2, v16
	v_addc_co_u32_e32 v17, vcc, v1, v17, vcc
	s_waitcnt lgkmcnt(0)
	global_store_dword v[16:17], v20, off
.LBB183_81:                             ;   in Loop: Header=BB183_15 Depth=1
	s_or_b64 exec, exec, s[4:5]
	ds_read_u8 v16, v3 offset:8196
	s_waitcnt lgkmcnt(0)
	v_cmp_eq_u32_e32 vcc, 0, v16
	s_cbranch_vccnz .LBB183_71
.LBB183_82:                             ;   in Loop: Header=BB183_15 Depth=1
	s_add_i32 s7, s7, 1
	v_add_co_u32_e32 v16, vcc, s7, v14
	v_addc_co_u32_e32 v17, vcc, 0, v15, vcc
	v_lshlrev_b64 v[16:17], 2, v[16:17]
	s_add_i32 s4, s6, 4
	v_mov_b32_e32 v20, s65
	v_add_co_u32_e32 v16, vcc, s64, v16
	v_addc_co_u32_e32 v17, vcc, v20, v17, vcc
	v_mov_b32_e32 v20, s4
	global_store_dword v[16:17], v20, off
	s_and_saveexec_b64 s[4:5], s[26:27]
	s_cbranch_execz .LBB183_84
; %bb.83:                               ;   in Loop: Header=BB183_15 Depth=1
	v_mov_b32_e32 v16, s33
	v_add_co_u32_e32 v17, vcc, s7, v18
	v_addc_co_u32_e32 v21, vcc, v19, v16, vcc
	v_mad_u64_u32 v[16:17], s[22:23], v17, s46, 0
	v_mov_b32_e32 v20, v17
	v_mad_u64_u32 v[20:21], s[22:23], v21, s46, v[20:21]
	v_mov_b32_e32 v17, v20
	ds_read_b32 v20, v36 offset:4096
	v_lshlrev_b64 v[16:17], 2, v[16:17]
	v_add_co_u32_e32 v16, vcc, v2, v16
	v_addc_co_u32_e32 v17, vcc, v1, v17, vcc
	s_waitcnt lgkmcnt(0)
	global_store_dword v[16:17], v20, off
.LBB183_84:                             ;   in Loop: Header=BB183_15 Depth=1
	s_or_b64 exec, exec, s[4:5]
	ds_read_u8 v16, v3 offset:8197
	s_waitcnt lgkmcnt(0)
	v_cmp_eq_u32_e32 vcc, 0, v16
	s_cbranch_vccnz .LBB183_72
.LBB183_85:                             ;   in Loop: Header=BB183_15 Depth=1
	s_add_i32 s7, s7, 1
	v_add_co_u32_e32 v16, vcc, s7, v14
	v_addc_co_u32_e32 v17, vcc, 0, v15, vcc
	v_lshlrev_b64 v[16:17], 2, v[16:17]
	s_add_i32 s4, s6, 5
	v_mov_b32_e32 v20, s65
	v_add_co_u32_e32 v16, vcc, s64, v16
	v_addc_co_u32_e32 v17, vcc, v20, v17, vcc
	v_mov_b32_e32 v20, s4
	global_store_dword v[16:17], v20, off
	s_and_saveexec_b64 s[4:5], s[26:27]
	s_cbranch_execz .LBB183_87
; %bb.86:                               ;   in Loop: Header=BB183_15 Depth=1
	v_mov_b32_e32 v16, s33
	v_add_co_u32_e32 v17, vcc, s7, v18
	v_addc_co_u32_e32 v21, vcc, v19, v16, vcc
	v_mad_u64_u32 v[16:17], s[22:23], v17, s46, 0
	v_mov_b32_e32 v20, v17
	v_mad_u64_u32 v[20:21], s[22:23], v21, s46, v[20:21]
	v_mov_b32_e32 v17, v20
	ds_read_b32 v20, v37 offset:5120
	v_lshlrev_b64 v[16:17], 2, v[16:17]
	v_add_co_u32_e32 v16, vcc, v2, v16
	v_addc_co_u32_e32 v17, vcc, v1, v17, vcc
	s_waitcnt lgkmcnt(0)
	global_store_dword v[16:17], v20, off
.LBB183_87:                             ;   in Loop: Header=BB183_15 Depth=1
	s_or_b64 exec, exec, s[4:5]
	ds_read_u8 v16, v3 offset:8198
	s_waitcnt lgkmcnt(0)
	v_cmp_eq_u32_e32 vcc, 0, v16
	s_cbranch_vccnz .LBB183_91
.LBB183_88:                             ;   in Loop: Header=BB183_15 Depth=1
	s_add_i32 s7, s7, 1
	v_add_co_u32_e32 v16, vcc, s7, v14
	v_addc_co_u32_e32 v17, vcc, 0, v15, vcc
	v_lshlrev_b64 v[16:17], 2, v[16:17]
	s_add_i32 s4, s6, 6
	v_mov_b32_e32 v20, s65
	v_add_co_u32_e32 v16, vcc, s64, v16
	v_addc_co_u32_e32 v17, vcc, v20, v17, vcc
	v_mov_b32_e32 v20, s4
	global_store_dword v[16:17], v20, off
	s_and_saveexec_b64 s[4:5], s[26:27]
	s_cbranch_execz .LBB183_90
; %bb.89:                               ;   in Loop: Header=BB183_15 Depth=1
	v_mov_b32_e32 v16, s33
	v_add_co_u32_e32 v17, vcc, s7, v18
	v_addc_co_u32_e32 v21, vcc, v19, v16, vcc
	v_mad_u64_u32 v[16:17], s[22:23], v17, s46, 0
	v_mov_b32_e32 v20, v17
	v_mad_u64_u32 v[20:21], s[22:23], v21, s46, v[20:21]
	v_mov_b32_e32 v17, v20
	ds_read_b32 v20, v37 offset:6144
	v_lshlrev_b64 v[16:17], 2, v[16:17]
	v_add_co_u32_e32 v16, vcc, v2, v16
	v_addc_co_u32_e32 v17, vcc, v1, v17, vcc
	s_waitcnt lgkmcnt(0)
	global_store_dword v[16:17], v20, off
.LBB183_90:                             ;   in Loop: Header=BB183_15 Depth=1
	s_or_b64 exec, exec, s[4:5]
.LBB183_91:                             ;   in Loop: Header=BB183_15 Depth=1
	ds_read_u8 v16, v3 offset:8199
	s_waitcnt lgkmcnt(0)
	v_readfirstlane_b32 s4, v16
	s_bitcmp1_b32 s4, 0
	s_cselect_b64 s[4:5], -1, 0
	s_and_b64 vcc, exec, s[4:5]
	s_cbranch_vccnz .LBB183_93
; %bb.92:                               ;   in Loop: Header=BB183_15 Depth=1
	v_add_co_u32_e32 v16, vcc, s7, v14
	v_addc_co_u32_e32 v17, vcc, 0, v15, vcc
	s_cbranch_execnz .LBB183_14
	s_branch .LBB183_94
.LBB183_93:                             ;   in Loop: Header=BB183_15 Depth=1
                                        ; implicit-def: $vgpr16_vgpr17
.LBB183_94:                             ;   in Loop: Header=BB183_15 Depth=1
	s_add_i32 s7, s7, 1
	v_add_co_u32_e32 v16, vcc, s7, v14
	v_addc_co_u32_e32 v17, vcc, 0, v15, vcc
	v_lshlrev_b64 v[14:15], 2, v[16:17]
	s_add_i32 s4, s6, 7
	v_mov_b32_e32 v20, s65
	v_add_co_u32_e32 v14, vcc, s64, v14
	v_addc_co_u32_e32 v15, vcc, v20, v15, vcc
	v_mov_b32_e32 v20, s4
	global_store_dword v[14:15], v20, off
	s_and_saveexec_b64 s[4:5], s[26:27]
	s_cbranch_execz .LBB183_13
; %bb.95:                               ;   in Loop: Header=BB183_15 Depth=1
	v_mov_b32_e32 v14, s33
	v_add_co_u32_e32 v15, vcc, s7, v18
	v_addc_co_u32_e32 v19, vcc, v19, v14, vcc
	v_mad_u64_u32 v[14:15], s[6:7], v15, s46, 0
	v_mov_b32_e32 v18, v15
	v_mad_u64_u32 v[20:21], s[6:7], v19, s46, v[18:19]
	ds_read_b32 v18, v37 offset:7168
	v_mov_b32_e32 v15, v20
	s_andn2_b64 vcc, exec, s[24:25]
	v_lshlrev_b64 v[14:15], 2, v[14:15]
	s_cbranch_vccnz .LBB183_97
; %bb.96:                               ;   in Loop: Header=BB183_15 Depth=1
	v_add_co_u32_e32 v20, vcc, v32, v14
	v_addc_co_u32_e32 v21, vcc, v33, v15, vcc
	s_waitcnt lgkmcnt(0)
	global_store_dword v[20:21], v18, off
	s_cbranch_execnz .LBB183_13
	s_branch .LBB183_98
.LBB183_97:                             ;   in Loop: Header=BB183_15 Depth=1
.LBB183_98:                             ;   in Loop: Header=BB183_15 Depth=1
	v_add_co_u32_e32 v14, vcc, v34, v14
	v_addc_co_u32_e32 v15, vcc, v35, v15, vcc
	s_waitcnt lgkmcnt(0)
	global_store_dword v[14:15], v18, off
	s_branch .LBB183_13
.LBB183_99:
	s_endpgm
	.section	.rodata,"a",@progbits
	.p2align	6, 0x0
	.amdhsa_kernel _ZN9rocsparseL31bsrgemm_block_per_row_multipassILj256ELj8ELj16ElifEEv20rocsparse_direction_T3_S2_PKS2_S4_NS_24const_host_device_scalarIT4_EEPKT2_S4_PKS6_SA_S4_SC_S7_SA_S4_SC_SA_PS2_PS6_PS8_21rocsparse_index_base_SG_SG_SG_bbb
		.amdhsa_group_segment_fixed_size 8200
		.amdhsa_private_segment_fixed_size 0
		.amdhsa_kernarg_size 172
		.amdhsa_user_sgpr_count 6
		.amdhsa_user_sgpr_private_segment_buffer 1
		.amdhsa_user_sgpr_dispatch_ptr 0
		.amdhsa_user_sgpr_queue_ptr 0
		.amdhsa_user_sgpr_kernarg_segment_ptr 1
		.amdhsa_user_sgpr_dispatch_id 0
		.amdhsa_user_sgpr_flat_scratch_init 0
		.amdhsa_user_sgpr_kernarg_preload_length 0
		.amdhsa_user_sgpr_kernarg_preload_offset 0
		.amdhsa_user_sgpr_private_segment_size 0
		.amdhsa_uses_dynamic_stack 0
		.amdhsa_system_sgpr_private_segment_wavefront_offset 0
		.amdhsa_system_sgpr_workgroup_id_x 1
		.amdhsa_system_sgpr_workgroup_id_y 0
		.amdhsa_system_sgpr_workgroup_id_z 0
		.amdhsa_system_sgpr_workgroup_info 0
		.amdhsa_system_vgpr_workitem_id 0
		.amdhsa_next_free_vgpr 45
		.amdhsa_next_free_sgpr 72
		.amdhsa_accum_offset 48
		.amdhsa_reserve_vcc 1
		.amdhsa_reserve_flat_scratch 0
		.amdhsa_float_round_mode_32 0
		.amdhsa_float_round_mode_16_64 0
		.amdhsa_float_denorm_mode_32 3
		.amdhsa_float_denorm_mode_16_64 3
		.amdhsa_dx10_clamp 1
		.amdhsa_ieee_mode 1
		.amdhsa_fp16_overflow 0
		.amdhsa_tg_split 0
		.amdhsa_exception_fp_ieee_invalid_op 0
		.amdhsa_exception_fp_denorm_src 0
		.amdhsa_exception_fp_ieee_div_zero 0
		.amdhsa_exception_fp_ieee_overflow 0
		.amdhsa_exception_fp_ieee_underflow 0
		.amdhsa_exception_fp_ieee_inexact 0
		.amdhsa_exception_int_div_zero 0
	.end_amdhsa_kernel
	.section	.text._ZN9rocsparseL31bsrgemm_block_per_row_multipassILj256ELj8ELj16ElifEEv20rocsparse_direction_T3_S2_PKS2_S4_NS_24const_host_device_scalarIT4_EEPKT2_S4_PKS6_SA_S4_SC_S7_SA_S4_SC_SA_PS2_PS6_PS8_21rocsparse_index_base_SG_SG_SG_bbb,"axG",@progbits,_ZN9rocsparseL31bsrgemm_block_per_row_multipassILj256ELj8ELj16ElifEEv20rocsparse_direction_T3_S2_PKS2_S4_NS_24const_host_device_scalarIT4_EEPKT2_S4_PKS6_SA_S4_SC_S7_SA_S4_SC_SA_PS2_PS6_PS8_21rocsparse_index_base_SG_SG_SG_bbb,comdat
.Lfunc_end183:
	.size	_ZN9rocsparseL31bsrgemm_block_per_row_multipassILj256ELj8ELj16ElifEEv20rocsparse_direction_T3_S2_PKS2_S4_NS_24const_host_device_scalarIT4_EEPKT2_S4_PKS6_SA_S4_SC_S7_SA_S4_SC_SA_PS2_PS6_PS8_21rocsparse_index_base_SG_SG_SG_bbb, .Lfunc_end183-_ZN9rocsparseL31bsrgemm_block_per_row_multipassILj256ELj8ELj16ElifEEv20rocsparse_direction_T3_S2_PKS2_S4_NS_24const_host_device_scalarIT4_EEPKT2_S4_PKS6_SA_S4_SC_S7_SA_S4_SC_SA_PS2_PS6_PS8_21rocsparse_index_base_SG_SG_SG_bbb
                                        ; -- End function
	.section	.AMDGPU.csdata,"",@progbits
; Kernel info:
; codeLenInByte = 3716
; NumSgprs: 76
; NumVgprs: 45
; NumAgprs: 0
; TotalNumVgprs: 45
; ScratchSize: 0
; MemoryBound: 1
; FloatMode: 240
; IeeeMode: 1
; LDSByteSize: 8200 bytes/workgroup (compile time only)
; SGPRBlocks: 9
; VGPRBlocks: 5
; NumSGPRsForWavesPerEU: 76
; NumVGPRsForWavesPerEU: 45
; AccumOffset: 48
; Occupancy: 7
; WaveLimiterHint : 1
; COMPUTE_PGM_RSRC2:SCRATCH_EN: 0
; COMPUTE_PGM_RSRC2:USER_SGPR: 6
; COMPUTE_PGM_RSRC2:TRAP_HANDLER: 0
; COMPUTE_PGM_RSRC2:TGID_X_EN: 1
; COMPUTE_PGM_RSRC2:TGID_Y_EN: 0
; COMPUTE_PGM_RSRC2:TGID_Z_EN: 0
; COMPUTE_PGM_RSRC2:TIDIG_COMP_CNT: 0
; COMPUTE_PGM_RSRC3_GFX90A:ACCUM_OFFSET: 11
; COMPUTE_PGM_RSRC3_GFX90A:TG_SPLIT: 0
	.section	.text._ZN9rocsparseL31bsrgemm_block_per_row_multipassILj256ELj2ELj32ElifEEv20rocsparse_direction_T3_S2_PKS2_S4_NS_24const_host_device_scalarIT4_EEPKT2_S4_PKS6_SA_S4_SC_S7_SA_S4_SC_SA_PS2_PS6_PS8_21rocsparse_index_base_SG_SG_SG_bbb,"axG",@progbits,_ZN9rocsparseL31bsrgemm_block_per_row_multipassILj256ELj2ELj32ElifEEv20rocsparse_direction_T3_S2_PKS2_S4_NS_24const_host_device_scalarIT4_EEPKT2_S4_PKS6_SA_S4_SC_S7_SA_S4_SC_SA_PS2_PS6_PS8_21rocsparse_index_base_SG_SG_SG_bbb,comdat
	.globl	_ZN9rocsparseL31bsrgemm_block_per_row_multipassILj256ELj2ELj32ElifEEv20rocsparse_direction_T3_S2_PKS2_S4_NS_24const_host_device_scalarIT4_EEPKT2_S4_PKS6_SA_S4_SC_S7_SA_S4_SC_SA_PS2_PS6_PS8_21rocsparse_index_base_SG_SG_SG_bbb ; -- Begin function _ZN9rocsparseL31bsrgemm_block_per_row_multipassILj256ELj2ELj32ElifEEv20rocsparse_direction_T3_S2_PKS2_S4_NS_24const_host_device_scalarIT4_EEPKT2_S4_PKS6_SA_S4_SC_S7_SA_S4_SC_SA_PS2_PS6_PS8_21rocsparse_index_base_SG_SG_SG_bbb
	.p2align	8
	.type	_ZN9rocsparseL31bsrgemm_block_per_row_multipassILj256ELj2ELj32ElifEEv20rocsparse_direction_T3_S2_PKS2_S4_NS_24const_host_device_scalarIT4_EEPKT2_S4_PKS6_SA_S4_SC_S7_SA_S4_SC_SA_PS2_PS6_PS8_21rocsparse_index_base_SG_SG_SG_bbb,@function
_ZN9rocsparseL31bsrgemm_block_per_row_multipassILj256ELj2ELj32ElifEEv20rocsparse_direction_T3_S2_PKS2_S4_NS_24const_host_device_scalarIT4_EEPKT2_S4_PKS6_SA_S4_SC_S7_SA_S4_SC_SA_PS2_PS6_PS8_21rocsparse_index_base_SG_SG_SG_bbb: ; @_ZN9rocsparseL31bsrgemm_block_per_row_multipassILj256ELj2ELj32ElifEEv20rocsparse_direction_T3_S2_PKS2_S4_NS_24const_host_device_scalarIT4_EEPKT2_S4_PKS6_SA_S4_SC_S7_SA_S4_SC_SA_PS2_PS6_PS8_21rocsparse_index_base_SG_SG_SG_bbb
; %bb.0:
	s_load_dword s7, s[4:5], 0xa8
	s_load_dwordx4 s[28:31], s[4:5], 0x98
	s_load_dwordx2 s[0:1], s[4:5], 0x20
	s_load_dwordx2 s[8:9], s[4:5], 0x58
	s_waitcnt lgkmcnt(0)
	s_bitcmp1_b32 s7, 0
	s_cselect_b64 s[10:11], -1, 0
	s_bitcmp1_b32 s7, 16
	s_cselect_b64 s[12:13], -1, 0
	s_xor_b64 s[2:3], s[10:11], -1
	s_or_b64 s[2:3], s[2:3], s[12:13]
	s_and_b64 vcc, exec, s[2:3]
	s_cbranch_vccnz .LBB184_2
; %bb.1:
	s_load_dword s0, s[0:1], 0x0
	s_waitcnt lgkmcnt(0)
	v_mov_b32_e32 v1, s0
	s_branch .LBB184_3
.LBB184_2:
	v_mov_b32_e32 v1, s0
	v_cndmask_b32_e64 v1, 0, v1, s[10:11]
.LBB184_3:
	s_load_dwordx2 s[2:3], s[4:5], 0x18
	s_bitcmp1_b32 s7, 8
	s_cselect_b64 s[0:1], -1, 0
	s_xor_b64 s[14:15], s[0:1], -1
	s_or_b64 s[12:13], s[14:15], s[12:13]
	s_and_b64 vcc, exec, s[12:13]
	s_cbranch_vccnz .LBB184_5
; %bb.4:
	s_load_dword s7, s[8:9], 0x0
	s_waitcnt lgkmcnt(0)
	v_mov_b32_e32 v3, s7
	s_load_dwordx2 s[8:9], s[4:5], 0x28
	s_cmp_eq_u64 s[2:3], 0
	s_mov_b64 s[34:35], 0
	s_cbranch_scc0 .LBB184_6
	s_branch .LBB184_7
.LBB184_5:
	v_mov_b32_e32 v2, s8
	v_cndmask_b32_e64 v3, 0, v2, s[0:1]
	s_load_dwordx2 s[8:9], s[4:5], 0x28
	s_waitcnt lgkmcnt(0)
	s_cmp_eq_u64 s[2:3], 0
	s_mov_b64 s[34:35], 0
	s_cbranch_scc1 .LBB184_7
.LBB184_6:
	s_load_dwordx2 s[12:13], s[4:5], 0x10
	s_waitcnt lgkmcnt(0)
	s_load_dword s7, s[12:13], 0x0
	s_waitcnt lgkmcnt(0)
	s_add_i32 s6, s7, s6
	s_mov_b32 s7, 0
	s_lshl_b64 s[6:7], s[6:7], 2
	s_add_u32 s2, s2, s6
	s_addc_u32 s3, s3, s7
	s_load_dword s6, s[2:3], 0x0
.LBB184_7:
	v_cndmask_b32_e64 v2, 0, 1, s[10:11]
	v_cmp_ne_u32_e64 s[2:3], 1, v2
	s_andn2_b64 vcc, exec, s[10:11]
	s_cbranch_vccz .LBB184_10
; %bb.8:
	s_and_b64 vcc, exec, s[2:3]
	s_mov_b64 s[44:45], 0
	s_cbranch_vccz .LBB184_11
.LBB184_9:
	s_load_dwordx4 s[36:39], s[4:5], 0x0
	s_waitcnt lgkmcnt(0)
	s_cmp_lt_i32 s37, 1
	s_cbranch_scc0 .LBB184_12
	s_branch .LBB184_126
.LBB184_10:
	s_waitcnt lgkmcnt(0)
	s_ashr_i32 s7, s6, 31
	s_lshl_b64 s[12:13], s[6:7], 3
	s_add_u32 s12, s8, s12
	s_addc_u32 s13, s9, s13
	s_load_dwordx2 s[12:13], s[12:13], 0x0
	s_waitcnt lgkmcnt(0)
	s_sub_u32 s34, s12, s28
	s_subb_u32 s35, s13, 0
	s_and_b64 vcc, exec, s[2:3]
	s_mov_b64 s[44:45], 0
	s_cbranch_vccnz .LBB184_9
.LBB184_11:
	s_waitcnt lgkmcnt(0)
	s_ashr_i32 s7, s6, 31
	s_lshl_b64 s[2:3], s[6:7], 3
	s_add_u32 s2, s8, s2
	s_addc_u32 s3, s9, s3
	s_load_dwordx2 s[2:3], s[2:3], 0x8
	s_waitcnt lgkmcnt(0)
	s_sub_u32 s44, s2, s28
	s_subb_u32 s45, s3, 0
	s_load_dwordx4 s[36:39], s[4:5], 0x0
	s_waitcnt lgkmcnt(0)
	s_cmp_lt_i32 s37, 1
	s_cbranch_scc1 .LBB184_126
.LBB184_12:
	s_load_dwordx8 s[12:19], s[4:5], 0x60
	s_load_dwordx2 s[46:47], s[4:5], 0x90
	s_load_dwordx4 s[40:43], s[4:5], 0x80
	s_load_dwordx2 s[64:65], s[4:5], 0x50
	s_ashr_i32 s7, s6, 31
	s_lshl_b64 s[6:7], s[6:7], 3
	s_waitcnt lgkmcnt(0)
	s_add_u32 s2, s18, s6
	s_addc_u32 s3, s19, s7
	s_load_dwordx2 s[8:9], s[2:3], 0x0
	s_load_dwordx8 s[20:27], s[4:5], 0x30
	v_lshrrev_b32_e32 v8, 3, v0
	v_pk_mov_b32 v[4:5], s[44:45], s[44:45] op_sel:[0,1]
	v_and_b32_e32 v2, 7, v0
	s_waitcnt lgkmcnt(0)
	s_sub_u32 s66, s8, s30
	s_subb_u32 s67, s9, 0
	v_cmp_lt_i64_e64 s[8:9], s[34:35], v[4:5]
	v_mul_lo_u32 v4, v8, s38
	v_mov_b32_e32 v5, 0
	v_lshlrev_b64 v[14:15], 2, v[4:5]
	v_lshlrev_b32_e32 v12, 2, v2
	v_mul_lo_u32 v4, v2, s38
	v_add_co_u32_e64 v60, s[4:5], v14, v12
	v_lshlrev_b32_e32 v34, 2, v8
	v_lshlrev_b64 v[6:7], 2, v[4:5]
	v_addc_co_u32_e64 v61, s[4:5], 0, v15, s[4:5]
	v_add_co_u32_e64 v36, s[4:5], v34, v6
	s_cmp_eq_u32 s36, 0
	v_addc_co_u32_e64 v37, s[4:5], 0, v7, s[4:5]
	s_cselect_b64 s[4:5], -1, 0
	s_cmp_lg_u32 s36, 0
	s_cselect_b64 s[48:49], -1, 0
	s_cmp_gt_i32 s38, 0
	s_cselect_b64 s[50:51], -1, 0
	s_add_u32 s12, s12, s6
	v_cmp_gt_i32_e32 vcc, s38, v8
	v_lshlrev_b32_e32 v62, 5, v8
	s_addc_u32 s13, s13, s7
	v_mov_b32_e32 v8, s43
	v_add_co_u32_e64 v63, s[6:7], s42, v34
	v_addc_co_u32_e64 v64, s[6:7], 0, v8, s[6:7]
	v_add_co_u32_e64 v65, s[6:7], s42, v14
	v_addc_co_u32_e64 v66, s[6:7], v8, v15, s[6:7]
	v_cmp_gt_u32_e64 s[6:7], s38, v2
	v_or_b32_e32 v8, 8, v2
	s_and_b64 s[54:55], vcc, s[6:7]
	v_cmp_gt_u32_e64 s[6:7], s38, v8
	v_or_b32_e32 v9, 16, v2
	s_and_b64 s[56:57], vcc, s[6:7]
	;; [unrolled: 3-line block ×3, first 2 shown]
	v_cmp_gt_u32_e64 s[6:7], s38, v10
	s_and_b64 s[42:43], s[10:11], s[8:9]
	s_lshl_b32 s8, s38, 3
	s_and_b64 s[60:61], vcc, s[6:7]
	s_add_u32 s36, s24, 8
	s_mul_i32 s18, s38, s38
	s_addc_u32 s74, s25, 0
	v_or_b32_e32 v8, v62, v8
	s_add_u32 s75, s40, -4
	s_mul_i32 s6, s35, s18
	s_mul_hi_u32 s7, s34, s18
	s_mov_b32 s19, 0
	v_lshlrev_b32_e32 v67, 2, v8
	v_or_b32_e32 v8, v62, v9
	s_addc_u32 s76, s41, -1
	s_add_i32 s7, s7, s6
	s_mul_i32 s6, s34, s18
	v_lshlrev_b32_e32 v68, 2, v8
	v_or_b32_e32 v8, v62, v10
	s_lshl_b64 s[62:63], s[18:19], 2
	s_lshl_b64 s[6:7], s[6:7], 2
	v_lshlrev_b32_e32 v69, 2, v8
	v_mov_b32_e32 v31, s65
	v_add_co_u32_e32 v8, vcc, s64, v6
	s_add_u32 s6, s22, s6
	v_addc_co_u32_e32 v9, vcc, v31, v7, vcc
	s_addc_u32 s7, s23, s7
	v_mov_b32_e32 v11, s7
	v_add_co_u32_e32 v10, vcc, s6, v34
	v_addc_co_u32_e32 v11, vcc, 0, v11, vcc
	v_add_co_u32_e32 v12, vcc, s64, v12
	v_addc_co_u32_e32 v13, vcc, 0, v31, vcc
	v_add_u32_e32 v16, s8, v4
	v_mov_b32_e32 v17, v5
	v_mov_b32_e32 v18, s7
	v_add_co_u32_e32 v14, vcc, s6, v14
	v_add_u32_e32 v22, s8, v16
	v_addc_co_u32_e32 v15, vcc, v18, v15, vcc
	v_lshlrev_b64 v[16:17], 2, v[16:17]
	v_add_co_u32_e32 v18, vcc, s64, v16
	v_addc_co_u32_e32 v19, vcc, v31, v17, vcc
	v_mov_b32_e32 v23, v5
	v_add_co_u32_e32 v20, vcc, 32, v12
	v_add_u32_e32 v28, s8, v22
	v_addc_co_u32_e32 v21, vcc, 0, v13, vcc
	v_lshlrev_b64 v[22:23], 2, v[22:23]
	v_add_co_u32_e32 v24, vcc, s64, v22
	v_addc_co_u32_e32 v25, vcc, v31, v23, vcc
	v_mov_b32_e32 v29, v5
	v_add_co_u32_e32 v26, vcc, 64, v12
	v_addc_co_u32_e32 v27, vcc, 0, v13, vcc
	v_lshlrev_b64 v[28:29], 2, v[28:29]
	v_add_co_u32_e32 v30, vcc, s64, v28
	v_addc_co_u32_e32 v31, vcc, v31, v29, vcc
	s_movk_i32 s6, 0x60
	v_add_co_u32_e32 v32, vcc, s6, v12
	v_addc_co_u32_e32 v33, vcc, 0, v13, vcc
	s_mov_b32 s52, s31
	s_mov_b32 s53, s19
	;; [unrolled: 1-line block ×3, first 2 shown]
	v_add_co_u32_e32 v71, vcc, v34, v16
	s_lshl_b64 s[22:23], s[38:39], 2
	s_lshl_b64 s[6:7], s[52:53], 2
	v_addc_co_u32_e32 v72, vcc, 0, v17, vcc
	s_sub_u32 s39, s14, s6
	v_add_co_u32_e32 v73, vcc, v34, v22
	s_subb_u32 s53, s15, s7
	v_addc_co_u32_e32 v74, vcc, 0, v23, vcc
	v_or_b32_e32 v4, v62, v2
	v_add_co_u32_e32 v75, vcc, v34, v28
	s_sub_u32 s77, 1, s31
	s_mov_b32 s79, 2
	v_cmp_gt_u32_e64 s[2:3], 2, v0
	s_mov_b32 s33, s29
	v_lshlrev_b32_e32 v4, 2, v4
	v_lshlrev_b32_e32 v70, 2, v0
	v_addc_co_u32_e32 v76, vcc, 0, v29, vcc
	s_subb_u32 s78, 0, 0
	v_pk_mov_b32 v[34:35], s[66:67], s[66:67] op_sel:[0,1]
	v_mov_b32_e32 v77, 1
	v_cndmask_b32_e64 v78, v37, v61, s[4:5]
	v_cndmask_b32_e64 v79, v36, v60, s[4:5]
	s_branch .LBB184_15
.LBB184_13:                             ;   in Loop: Header=BB184_15 Depth=1
	s_or_b64 exec, exec, s[6:7]
.LBB184_14:                             ;   in Loop: Header=BB184_15 Depth=1
	s_min_i32 s19, s81, s37
	s_add_i32 s79, s19, 2
	s_cmp_lt_i32 s81, s37
	v_pk_mov_b32 v[34:35], v[36:37], v[36:37] op_sel:[0,1]
	s_waitcnt lgkmcnt(0)
	s_barrier
	s_barrier
	s_cbranch_scc0 .LBB184_126
.LBB184_15:                             ; =>This Loop Header: Depth=1
                                        ;     Child Loop BB184_19 Depth 2
                                        ;     Child Loop BB184_25 Depth 2
                                        ;       Child Loop BB184_30 Depth 3
                                        ;         Child Loop BB184_42 Depth 4
                                        ;         Child Loop BB184_47 Depth 4
	;; [unrolled: 1-line block ×8, first 2 shown]
                                        ;     Child Loop BB184_91 Depth 2
	s_and_saveexec_b64 s[6:7], s[2:3]
	s_cbranch_execz .LBB184_17
; %bb.16:                               ;   in Loop: Header=BB184_15 Depth=1
	ds_write_b8 v0, v5 offset:8192
.LBB184_17:                             ;   in Loop: Header=BB184_15 Depth=1
	s_or_b64 exec, exec, s[6:7]
	s_mov_b32 s14, 0
	s_mov_b64 s[6:7], 0
	v_mov_b32_e32 v36, v70
	s_branch .LBB184_19
.LBB184_18:                             ;   in Loop: Header=BB184_19 Depth=2
	s_or_b64 exec, exec, s[10:11]
	s_add_i32 s14, s14, 2
	v_cmp_eq_u32_e64 s[8:9], 8, s14
	s_or_b64 s[6:7], s[8:9], s[6:7]
	v_add_u32_e32 v36, 0x800, v36
	s_andn2_b64 exec, exec, s[6:7]
	s_cbranch_execz .LBB184_23
.LBB184_19:                             ;   Parent Loop BB184_15 Depth=1
                                        ; =>  This Inner Loop Header: Depth=2
	s_or_b32 s8, s14, 1
	v_cmp_le_u32_e64 s[8:9], s8, 7
	v_cmp_le_u32_e64 s[64:65], s14, 7
	s_and_saveexec_b64 s[10:11], s[64:65]
	s_cbranch_execz .LBB184_21
; %bb.20:                               ;   in Loop: Header=BB184_19 Depth=2
	ds_write_b32 v36, v5
.LBB184_21:                             ;   in Loop: Header=BB184_19 Depth=2
	s_or_b64 exec, exec, s[10:11]
	s_and_saveexec_b64 s[10:11], s[8:9]
	s_cbranch_execz .LBB184_18
; %bb.22:                               ;   in Loop: Header=BB184_19 Depth=2
	ds_write_b32 v36, v5 offset:1024
	s_branch .LBB184_18
.LBB184_23:                             ;   in Loop: Header=BB184_15 Depth=1
	s_or_b64 exec, exec, s[6:7]
	s_andn2_b64 vcc, exec, s[42:43]
	s_mov_b32 s81, s37
	s_waitcnt lgkmcnt(0)
	s_barrier
	s_cbranch_vccnz .LBB184_86
; %bb.24:                               ;   in Loop: Header=BB184_15 Depth=1
	s_cmp_lg_u32 s19, 0
	s_cselect_b64 s[8:9], -1, 0
	v_pk_mov_b32 v[36:37], v[14:15], v[14:15] op_sel:[0,1]
	v_pk_mov_b32 v[38:39], v[10:11], v[10:11] op_sel:[0,1]
	s_mov_b32 s80, s37
	s_mov_b64 s[10:11], s[34:35]
.LBB184_25:                             ;   Parent Loop BB184_15 Depth=1
                                        ; =>  This Loop Header: Depth=2
                                        ;       Child Loop BB184_30 Depth 3
                                        ;         Child Loop BB184_42 Depth 4
                                        ;         Child Loop BB184_47 Depth 4
	;; [unrolled: 1-line block ×8, first 2 shown]
	s_lshl_b64 s[6:7], s[10:11], 2
	s_add_u32 s6, s20, s6
	s_addc_u32 s7, s21, s7
	s_load_dword s6, s[6:7], 0x0
	s_and_b64 vcc, exec, s[8:9]
	s_waitcnt lgkmcnt(0)
	s_sub_i32 s6, s6, s28
	s_cbranch_vccz .LBB184_85
; %bb.26:                               ;   in Loop: Header=BB184_25 Depth=2
	s_lshl_b64 s[14:15], s[10:11], 3
	s_add_u32 s14, s46, s14
	s_addc_u32 s15, s47, s15
	global_load_dwordx2 v[40:41], v5, s[14:15]
	s_ashr_i32 s7, s6, 31
	s_waitcnt vmcnt(0)
	v_readfirstlane_b32 s14, v40
	v_readfirstlane_b32 s15, v41
	s_cbranch_execnz .LBB184_28
.LBB184_27:                             ;   in Loop: Header=BB184_25 Depth=2
	s_ashr_i32 s7, s6, 31
	s_lshl_b64 s[14:15], s[6:7], 3
	s_add_u32 s14, s24, s14
	s_addc_u32 s15, s25, s15
	s_load_dwordx2 s[14:15], s[14:15], 0x0
	s_waitcnt lgkmcnt(0)
	s_sub_u32 s14, s14, s33
	s_subb_u32 s15, s15, 0
.LBB184_28:                             ;   in Loop: Header=BB184_25 Depth=2
	s_lshl_b64 s[6:7], s[6:7], 3
	s_add_u32 s6, s36, s6
	s_addc_u32 s7, s74, s7
	s_load_dwordx2 s[6:7], s[6:7], 0x0
	s_waitcnt lgkmcnt(0)
	s_sub_u32 s64, s6, s33
	s_subb_u32 s65, s7, 0
	v_pk_mov_b32 v[40:41], s[64:65], s[64:65] op_sel:[0,1]
	v_cmp_ge_i64_e32 vcc, s[14:15], v[40:41]
	s_cbranch_vccnz .LBB184_82
; %bb.29:                               ;   in Loop: Header=BB184_25 Depth=2
	v_mov_b32_e32 v54, s14
	v_mad_u64_u32 v[40:41], s[6:7], s62, v54, v[8:9]
	s_mul_i32 s6, s63, s14
	s_mul_i32 s7, s62, s15
	s_add_i32 s66, s7, s6
	v_mad_u64_u32 v[42:43], s[6:7], s62, v54, v[12:13]
	v_mad_u64_u32 v[44:45], s[6:7], s62, v54, v[18:19]
	;; [unrolled: 1-line block ×7, first 2 shown]
	v_add_u32_e32 v41, s66, v41
	v_add_u32_e32 v43, s66, v43
	;; [unrolled: 1-line block ×8, first 2 shown]
	s_mov_b64 s[66:67], s[14:15]
.LBB184_30:                             ;   Parent Loop BB184_15 Depth=1
                                        ;     Parent Loop BB184_25 Depth=2
                                        ; =>    This Loop Header: Depth=3
                                        ;         Child Loop BB184_42 Depth 4
                                        ;         Child Loop BB184_47 Depth 4
	;; [unrolled: 1-line block ×8, first 2 shown]
	s_lshl_b64 s[6:7], s[14:15], 2
	s_add_u32 s6, s26, s6
	s_addc_u32 s7, s27, s7
	s_load_dword s6, s[6:7], 0x0
	s_mov_b64 s[70:71], -1
                                        ; implicit-def: $sgpr81
                                        ; implicit-def: $sgpr68_sgpr69
	s_waitcnt lgkmcnt(0)
	s_sub_i32 s82, s6, s29
	s_cmp_lt_i32 s82, s19
	s_cselect_b64 s[6:7], -1, 0
	s_cmp_ge_i32 s82, s79
	s_cselect_b64 s[72:73], -1, 0
	s_or_b64 s[6:7], s[6:7], s[72:73]
	s_and_b64 vcc, exec, s[6:7]
                                        ; implicit-def: $sgpr6_sgpr7
	s_cbranch_vccz .LBB184_34
; %bb.31:                               ;   in Loop: Header=BB184_30 Depth=3
	s_mov_b64 s[68:69], -1
	s_andn2_b64 vcc, exec, s[72:73]
	s_mov_b64 s[6:7], s[66:67]
	s_mov_b32 s81, s80
	s_cbranch_vccnz .LBB184_33
; %bb.32:                               ;   in Loop: Header=BB184_30 Depth=3
	s_min_i32 s81, s82, s80
	s_mov_b64 s[68:69], 0
	s_mov_b64 s[6:7], s[14:15]
.LBB184_33:                             ;   in Loop: Header=BB184_30 Depth=3
	s_mov_b64 s[70:71], 0
.LBB184_34:                             ;   in Loop: Header=BB184_30 Depth=3
	s_andn2_b64 vcc, exec, s[70:71]
	s_cbranch_vccnz .LBB184_80
; %bb.35:                               ;   in Loop: Header=BB184_30 Depth=3
	s_sub_i32 s6, s82, s19
	v_mov_b32_e32 v56, s6
	v_lshl_or_b32 v80, s6, 10, v62
	ds_write_b8 v56, v77 offset:8192
	s_and_saveexec_b64 s[6:7], s[54:55]
	s_cbranch_execnz .LBB184_39
; %bb.36:                               ;   in Loop: Header=BB184_30 Depth=3
	s_or_b64 exec, exec, s[6:7]
	s_and_saveexec_b64 s[6:7], s[56:57]
	s_cbranch_execnz .LBB184_49
.LBB184_37:                             ;   in Loop: Header=BB184_30 Depth=3
	s_or_b64 exec, exec, s[6:7]
	s_and_saveexec_b64 s[6:7], s[58:59]
	s_cbranch_execnz .LBB184_59
.LBB184_38:                             ;   in Loop: Header=BB184_30 Depth=3
	s_or_b64 exec, exec, s[6:7]
	s_and_saveexec_b64 s[68:69], s[60:61]
	s_cbranch_execnz .LBB184_69
	s_branch .LBB184_79
.LBB184_39:                             ;   in Loop: Header=BB184_30 Depth=3
	s_andn2_b64 vcc, exec, s[48:49]
	s_cbranch_vccnz .LBB184_44
; %bb.40:                               ;   in Loop: Header=BB184_30 Depth=3
	v_mov_b32_e32 v81, 0
	s_andn2_b64 vcc, exec, s[50:51]
	s_cbranch_vccnz .LBB184_43
; %bb.41:                               ;   in Loop: Header=BB184_30 Depth=3
	v_pk_mov_b32 v[56:57], v[38:39], v[38:39] op_sel:[0,1]
	v_pk_mov_b32 v[58:59], v[40:41], v[40:41] op_sel:[0,1]
	s_mov_b32 s68, s38
.LBB184_42:                             ;   Parent Loop BB184_15 Depth=1
                                        ;     Parent Loop BB184_25 Depth=2
                                        ;       Parent Loop BB184_30 Depth=3
                                        ; =>      This Inner Loop Header: Depth=4
	global_load_dword v82, v[56:57], off
	global_load_dword v83, v[58:59], off
	v_add_co_u32_e32 v58, vcc, 4, v58
	v_addc_co_u32_e32 v59, vcc, 0, v59, vcc
	s_add_i32 s68, s68, -1
	v_mov_b32_e32 v84, s23
	v_add_co_u32_e32 v56, vcc, s22, v56
	v_addc_co_u32_e32 v57, vcc, v57, v84, vcc
	s_cmp_lg_u32 s68, 0
	s_waitcnt vmcnt(0)
	v_fmac_f32_e32 v81, v82, v83
	s_cbranch_scc1 .LBB184_42
.LBB184_43:                             ;   in Loop: Header=BB184_30 Depth=3
	s_cbranch_execz .LBB184_45
	s_branch .LBB184_48
.LBB184_44:                             ;   in Loop: Header=BB184_30 Depth=3
                                        ; implicit-def: $vgpr81
.LBB184_45:                             ;   in Loop: Header=BB184_30 Depth=3
	v_mov_b32_e32 v81, 0
	s_andn2_b64 vcc, exec, s[50:51]
	s_cbranch_vccnz .LBB184_48
; %bb.46:                               ;   in Loop: Header=BB184_30 Depth=3
	v_pk_mov_b32 v[56:57], v[36:37], v[36:37] op_sel:[0,1]
	v_pk_mov_b32 v[58:59], v[42:43], v[42:43] op_sel:[0,1]
	s_mov_b32 s68, s38
.LBB184_47:                             ;   Parent Loop BB184_15 Depth=1
                                        ;     Parent Loop BB184_25 Depth=2
                                        ;       Parent Loop BB184_30 Depth=3
                                        ; =>      This Inner Loop Header: Depth=4
	global_load_dword v82, v[56:57], off
	global_load_dword v83, v[58:59], off
	v_add_co_u32_e32 v56, vcc, 4, v56
	v_addc_co_u32_e32 v57, vcc, 0, v57, vcc
	s_add_i32 s68, s68, -1
	v_mov_b32_e32 v84, s23
	v_add_co_u32_e32 v58, vcc, s22, v58
	v_addc_co_u32_e32 v59, vcc, v59, v84, vcc
	s_cmp_eq_u32 s68, 0
	s_waitcnt vmcnt(0)
	v_fmac_f32_e32 v81, v82, v83
	s_cbranch_scc0 .LBB184_47
.LBB184_48:                             ;   in Loop: Header=BB184_30 Depth=3
	v_or_b32_e32 v56, v80, v2
	v_lshlrev_b32_e32 v56, 2, v56
	ds_read_b32 v57, v56
	s_waitcnt lgkmcnt(0)
	v_fmac_f32_e32 v57, v1, v81
	ds_write_b32 v56, v57
	s_or_b64 exec, exec, s[6:7]
	s_and_saveexec_b64 s[6:7], s[56:57]
	s_cbranch_execz .LBB184_37
.LBB184_49:                             ;   in Loop: Header=BB184_30 Depth=3
	s_andn2_b64 vcc, exec, s[48:49]
	s_cbranch_vccnz .LBB184_54
; %bb.50:                               ;   in Loop: Header=BB184_30 Depth=3
	v_mov_b32_e32 v81, 0
	s_andn2_b64 vcc, exec, s[50:51]
	s_cbranch_vccnz .LBB184_53
; %bb.51:                               ;   in Loop: Header=BB184_30 Depth=3
	v_pk_mov_b32 v[56:57], v[38:39], v[38:39] op_sel:[0,1]
	v_pk_mov_b32 v[58:59], v[44:45], v[44:45] op_sel:[0,1]
	s_mov_b32 s68, s38
.LBB184_52:                             ;   Parent Loop BB184_15 Depth=1
                                        ;     Parent Loop BB184_25 Depth=2
                                        ;       Parent Loop BB184_30 Depth=3
                                        ; =>      This Inner Loop Header: Depth=4
	global_load_dword v82, v[56:57], off
	global_load_dword v83, v[58:59], off
	v_add_co_u32_e32 v58, vcc, 4, v58
	v_addc_co_u32_e32 v59, vcc, 0, v59, vcc
	s_add_i32 s68, s68, -1
	v_mov_b32_e32 v84, s23
	v_add_co_u32_e32 v56, vcc, s22, v56
	v_addc_co_u32_e32 v57, vcc, v57, v84, vcc
	s_cmp_eq_u32 s68, 0
	s_waitcnt vmcnt(0)
	v_fmac_f32_e32 v81, v82, v83
	s_cbranch_scc0 .LBB184_52
.LBB184_53:                             ;   in Loop: Header=BB184_30 Depth=3
	s_cbranch_execz .LBB184_55
	s_branch .LBB184_58
.LBB184_54:                             ;   in Loop: Header=BB184_30 Depth=3
                                        ; implicit-def: $vgpr81
.LBB184_55:                             ;   in Loop: Header=BB184_30 Depth=3
	v_mov_b32_e32 v81, 0
	s_andn2_b64 vcc, exec, s[50:51]
	s_cbranch_vccnz .LBB184_58
; %bb.56:                               ;   in Loop: Header=BB184_30 Depth=3
	v_pk_mov_b32 v[56:57], v[36:37], v[36:37] op_sel:[0,1]
	v_pk_mov_b32 v[58:59], v[46:47], v[46:47] op_sel:[0,1]
	s_mov_b32 s68, s38
.LBB184_57:                             ;   Parent Loop BB184_15 Depth=1
                                        ;     Parent Loop BB184_25 Depth=2
                                        ;       Parent Loop BB184_30 Depth=3
                                        ; =>      This Inner Loop Header: Depth=4
	global_load_dword v82, v[56:57], off
	global_load_dword v83, v[58:59], off
	v_add_co_u32_e32 v56, vcc, 4, v56
	v_addc_co_u32_e32 v57, vcc, 0, v57, vcc
	s_add_i32 s68, s68, -1
	v_mov_b32_e32 v84, s23
	v_add_co_u32_e32 v58, vcc, s22, v58
	v_addc_co_u32_e32 v59, vcc, v59, v84, vcc
	s_cmp_eq_u32 s68, 0
	s_waitcnt vmcnt(0)
	v_fmac_f32_e32 v81, v82, v83
	s_cbranch_scc0 .LBB184_57
.LBB184_58:                             ;   in Loop: Header=BB184_30 Depth=3
	v_add_lshl_u32 v56, v80, v2, 2
	ds_read_b32 v57, v56 offset:32
	s_waitcnt lgkmcnt(0)
	v_fmac_f32_e32 v57, v1, v81
	ds_write_b32 v56, v57 offset:32
	s_or_b64 exec, exec, s[6:7]
	s_and_saveexec_b64 s[6:7], s[58:59]
	s_cbranch_execz .LBB184_38
.LBB184_59:                             ;   in Loop: Header=BB184_30 Depth=3
	s_andn2_b64 vcc, exec, s[48:49]
	s_cbranch_vccnz .LBB184_64
; %bb.60:                               ;   in Loop: Header=BB184_30 Depth=3
	v_mov_b32_e32 v81, 0
	s_andn2_b64 vcc, exec, s[50:51]
	s_cbranch_vccnz .LBB184_63
; %bb.61:                               ;   in Loop: Header=BB184_30 Depth=3
	v_pk_mov_b32 v[56:57], v[38:39], v[38:39] op_sel:[0,1]
	v_pk_mov_b32 v[58:59], v[48:49], v[48:49] op_sel:[0,1]
	s_mov_b32 s68, s38
.LBB184_62:                             ;   Parent Loop BB184_15 Depth=1
                                        ;     Parent Loop BB184_25 Depth=2
                                        ;       Parent Loop BB184_30 Depth=3
                                        ; =>      This Inner Loop Header: Depth=4
	global_load_dword v82, v[56:57], off
	global_load_dword v83, v[58:59], off
	v_add_co_u32_e32 v58, vcc, 4, v58
	v_addc_co_u32_e32 v59, vcc, 0, v59, vcc
	s_add_i32 s68, s68, -1
	v_mov_b32_e32 v84, s23
	v_add_co_u32_e32 v56, vcc, s22, v56
	v_addc_co_u32_e32 v57, vcc, v57, v84, vcc
	s_cmp_eq_u32 s68, 0
	s_waitcnt vmcnt(0)
	v_fmac_f32_e32 v81, v82, v83
	s_cbranch_scc0 .LBB184_62
.LBB184_63:                             ;   in Loop: Header=BB184_30 Depth=3
	s_cbranch_execz .LBB184_65
	s_branch .LBB184_68
.LBB184_64:                             ;   in Loop: Header=BB184_30 Depth=3
                                        ; implicit-def: $vgpr81
.LBB184_65:                             ;   in Loop: Header=BB184_30 Depth=3
	v_mov_b32_e32 v81, 0
	s_andn2_b64 vcc, exec, s[50:51]
	s_cbranch_vccnz .LBB184_68
; %bb.66:                               ;   in Loop: Header=BB184_30 Depth=3
	v_pk_mov_b32 v[56:57], v[36:37], v[36:37] op_sel:[0,1]
	v_pk_mov_b32 v[58:59], v[50:51], v[50:51] op_sel:[0,1]
	s_mov_b32 s68, s38
.LBB184_67:                             ;   Parent Loop BB184_15 Depth=1
                                        ;     Parent Loop BB184_25 Depth=2
                                        ;       Parent Loop BB184_30 Depth=3
                                        ; =>      This Inner Loop Header: Depth=4
	global_load_dword v82, v[56:57], off
	global_load_dword v83, v[58:59], off
	v_add_co_u32_e32 v56, vcc, 4, v56
	v_addc_co_u32_e32 v57, vcc, 0, v57, vcc
	s_add_i32 s68, s68, -1
	v_mov_b32_e32 v84, s23
	v_add_co_u32_e32 v58, vcc, s22, v58
	v_addc_co_u32_e32 v59, vcc, v59, v84, vcc
	s_cmp_eq_u32 s68, 0
	s_waitcnt vmcnt(0)
	v_fmac_f32_e32 v81, v82, v83
	s_cbranch_scc0 .LBB184_67
.LBB184_68:                             ;   in Loop: Header=BB184_30 Depth=3
	v_add_lshl_u32 v56, v80, v2, 2
	ds_read_b32 v57, v56 offset:64
	s_waitcnt lgkmcnt(0)
	v_fmac_f32_e32 v57, v1, v81
	ds_write_b32 v56, v57 offset:64
	s_or_b64 exec, exec, s[6:7]
	s_and_saveexec_b64 s[68:69], s[60:61]
	s_cbranch_execz .LBB184_79
.LBB184_69:                             ;   in Loop: Header=BB184_30 Depth=3
	v_cndmask_b32_e64 v56, 0, 1, s[50:51]
	s_andn2_b64 vcc, exec, s[48:49]
	v_cmp_ne_u32_e64 s[6:7], 1, v56
	s_cbranch_vccnz .LBB184_74
; %bb.70:                               ;   in Loop: Header=BB184_30 Depth=3
	v_mov_b32_e32 v81, 0
	s_and_b64 vcc, exec, s[6:7]
	s_cbranch_vccnz .LBB184_73
; %bb.71:                               ;   in Loop: Header=BB184_30 Depth=3
	v_pk_mov_b32 v[56:57], v[38:39], v[38:39] op_sel:[0,1]
	v_pk_mov_b32 v[58:59], v[52:53], v[52:53] op_sel:[0,1]
	s_mov_b32 s70, s38
.LBB184_72:                             ;   Parent Loop BB184_15 Depth=1
                                        ;     Parent Loop BB184_25 Depth=2
                                        ;       Parent Loop BB184_30 Depth=3
                                        ; =>      This Inner Loop Header: Depth=4
	global_load_dword v82, v[56:57], off
	global_load_dword v83, v[58:59], off
	v_add_co_u32_e32 v58, vcc, 4, v58
	v_addc_co_u32_e32 v59, vcc, 0, v59, vcc
	s_add_i32 s70, s70, -1
	v_mov_b32_e32 v84, s23
	v_add_co_u32_e32 v56, vcc, s22, v56
	v_addc_co_u32_e32 v57, vcc, v57, v84, vcc
	s_cmp_eq_u32 s70, 0
	s_waitcnt vmcnt(0)
	v_fmac_f32_e32 v81, v82, v83
	s_cbranch_scc0 .LBB184_72
.LBB184_73:                             ;   in Loop: Header=BB184_30 Depth=3
	s_cbranch_execz .LBB184_75
	s_branch .LBB184_78
.LBB184_74:                             ;   in Loop: Header=BB184_30 Depth=3
                                        ; implicit-def: $vgpr81
.LBB184_75:                             ;   in Loop: Header=BB184_30 Depth=3
	v_mov_b32_e32 v81, 0
	s_and_b64 vcc, exec, s[6:7]
	s_cbranch_vccnz .LBB184_78
; %bb.76:                               ;   in Loop: Header=BB184_30 Depth=3
	v_pk_mov_b32 v[56:57], v[36:37], v[36:37] op_sel:[0,1]
	v_pk_mov_b32 v[58:59], v[54:55], v[54:55] op_sel:[0,1]
	s_mov_b32 s6, s38
.LBB184_77:                             ;   Parent Loop BB184_15 Depth=1
                                        ;     Parent Loop BB184_25 Depth=2
                                        ;       Parent Loop BB184_30 Depth=3
                                        ; =>      This Inner Loop Header: Depth=4
	global_load_dword v82, v[56:57], off
	global_load_dword v83, v[58:59], off
	v_add_co_u32_e32 v56, vcc, 4, v56
	v_addc_co_u32_e32 v57, vcc, 0, v57, vcc
	s_add_i32 s6, s6, -1
	v_mov_b32_e32 v84, s23
	v_add_co_u32_e32 v58, vcc, s22, v58
	v_addc_co_u32_e32 v59, vcc, v59, v84, vcc
	s_cmp_eq_u32 s6, 0
	s_waitcnt vmcnt(0)
	v_fmac_f32_e32 v81, v82, v83
	s_cbranch_scc0 .LBB184_77
.LBB184_78:                             ;   in Loop: Header=BB184_30 Depth=3
	v_add_lshl_u32 v56, v80, v2, 2
	ds_read_b32 v57, v56 offset:96
	s_waitcnt lgkmcnt(0)
	v_fmac_f32_e32 v57, v1, v81
	ds_write_b32 v56, v57 offset:96
.LBB184_79:                             ;   in Loop: Header=BB184_30 Depth=3
	s_or_b64 exec, exec, s[68:69]
	s_mov_b64 s[68:69], -1
	s_mov_b64 s[6:7], s[66:67]
	s_mov_b32 s81, s80
	s_waitcnt lgkmcnt(0)
	s_barrier
.LBB184_80:                             ;   in Loop: Header=BB184_30 Depth=3
	s_add_u32 s14, s14, 1
	s_addc_u32 s15, s15, 0
	v_pk_mov_b32 v[56:57], s[64:65], s[64:65] op_sel:[0,1]
	v_cmp_lt_i64_e32 vcc, s[14:15], v[56:57]
	s_and_b64 s[66:67], s[68:69], vcc
	v_mov_b32_e32 v56, s63
	v_add_co_u32_e32 v40, vcc, s62, v40
	v_addc_co_u32_e32 v41, vcc, v41, v56, vcc
	v_add_co_u32_e32 v42, vcc, s62, v42
	v_addc_co_u32_e32 v43, vcc, v43, v56, vcc
	;; [unrolled: 2-line block ×8, first 2 shown]
	s_and_b64 vcc, exec, s[66:67]
	s_cbranch_vccz .LBB184_83
; %bb.81:                               ;   in Loop: Header=BB184_30 Depth=3
	s_mov_b64 s[66:67], s[6:7]
	s_mov_b32 s80, s81
	s_branch .LBB184_30
.LBB184_82:                             ;   in Loop: Header=BB184_25 Depth=2
	s_mov_b64 s[6:7], s[14:15]
	s_mov_b32 s81, s80
.LBB184_83:                             ;   in Loop: Header=BB184_25 Depth=2
	s_lshl_b64 s[14:15], s[10:11], 3
	s_add_u32 s14, s46, s14
	s_addc_u32 s15, s47, s15
	v_pk_mov_b32 v[40:41], s[6:7], s[6:7] op_sel:[0,1]
	global_store_dwordx2 v5, v[40:41], s[14:15]
	v_mov_b32_e32 v40, s63
	v_add_co_u32_e32 v38, vcc, s62, v38
	v_addc_co_u32_e32 v39, vcc, v39, v40, vcc
	s_add_u32 s10, s10, 1
	v_add_co_u32_e32 v36, vcc, s62, v36
	s_addc_u32 s11, s11, 0
	v_addc_co_u32_e32 v37, vcc, v37, v40, vcc
	v_pk_mov_b32 v[40:41], s[44:45], s[44:45] op_sel:[0,1]
	v_cmp_lt_i64_e32 vcc, s[10:11], v[40:41]
	s_cbranch_vccz .LBB184_86
; %bb.84:                               ;   in Loop: Header=BB184_25 Depth=2
	s_mov_b32 s80, s81
	s_branch .LBB184_25
.LBB184_85:                             ;   in Loop: Header=BB184_25 Depth=2
                                        ; implicit-def: $sgpr14_sgpr15
	s_branch .LBB184_27
.LBB184_86:                             ;   in Loop: Header=BB184_15 Depth=1
	s_andn2_b64 vcc, exec, s[0:1]
	s_cbranch_vccnz .LBB184_102
; %bb.87:                               ;   in Loop: Header=BB184_15 Depth=1
	s_load_dwordx4 s[8:11], s[12:13], 0x0
	s_waitcnt lgkmcnt(0)
	v_pk_mov_b32 v[36:37], s[10:11], s[10:11] op_sel:[0,1]
	v_cmp_ge_i64_e32 vcc, s[8:9], v[36:37]
	s_cbranch_vccnz .LBB184_102
; %bb.88:                               ;   in Loop: Header=BB184_15 Depth=1
	s_sub_u32 s6, s10, s52
	s_subb_u32 s7, s11, 0
	s_sub_u32 s14, s8, s52
	s_subb_u32 s15, s9, 0
	s_lshl_b64 s[10:11], s[8:9], 2
	s_add_u32 s10, s39, s10
	s_mul_i32 s15, s62, s15
	s_mul_hi_u32 s64, s62, s14
	s_addc_u32 s11, s53, s11
	s_add_i32 s15, s64, s15
	s_mul_i32 s64, s63, s14
	s_add_i32 s15, s15, s64
	s_mul_i32 s14, s62, s14
	s_add_u32 s66, s16, s14
	s_addc_u32 s67, s17, s15
	s_add_u32 s8, s77, s8
	s_addc_u32 s9, s78, s9
	s_branch .LBB184_91
.LBB184_89:                             ;   in Loop: Header=BB184_91 Depth=2
	s_or_b64 exec, exec, s[14:15]
	s_mov_b64 s[14:15], -1
	s_mov_b32 s68, s81
	s_waitcnt lgkmcnt(0)
	s_barrier
.LBB184_90:                             ;   in Loop: Header=BB184_91 Depth=2
	v_pk_mov_b32 v[36:37], s[6:7], s[6:7] op_sel:[0,1]
	v_cmp_lt_i64_e32 vcc, s[8:9], v[36:37]
	s_and_b64 s[14:15], s[14:15], vcc
	s_add_u32 s10, s10, 4
	s_addc_u32 s11, s11, 0
	s_add_u32 s66, s66, s62
	s_addc_u32 s67, s67, s63
	;; [unrolled: 2-line block ×3, first 2 shown]
	s_mov_b32 s81, s68
	s_and_b64 vcc, exec, s[14:15]
	s_cbranch_vccz .LBB184_102
.LBB184_91:                             ;   Parent Loop BB184_15 Depth=1
                                        ; =>  This Inner Loop Header: Depth=2
	s_load_dword s14, s[10:11], 0x0
                                        ; implicit-def: $sgpr68
	s_waitcnt lgkmcnt(0)
	s_sub_i32 s69, s14, s31
	s_cmp_lt_i32 s69, s19
	s_cselect_b64 s[64:65], -1, 0
	s_cmp_lt_i32 s69, s79
	s_cselect_b64 s[14:15], -1, 0
	s_cmp_ge_i32 s69, s79
	s_cselect_b64 s[70:71], -1, 0
	s_or_b64 s[70:71], s[64:65], s[70:71]
	s_mov_b64 s[64:65], -1
	s_and_b64 vcc, exec, s[70:71]
	s_cbranch_vccz .LBB184_93
; %bb.92:                               ;   in Loop: Header=BB184_91 Depth=2
	s_min_i32 s68, s69, s81
	s_and_b64 s[64:65], s[14:15], exec
	s_cselect_b32 s68, s81, s68
	s_mov_b64 s[64:65], 0
.LBB184_93:                             ;   in Loop: Header=BB184_91 Depth=2
	s_andn2_b64 vcc, exec, s[64:65]
	s_cbranch_vccnz .LBB184_90
; %bb.94:                               ;   in Loop: Header=BB184_91 Depth=2
	s_sub_i32 s14, s69, s19
	v_mov_b32_e32 v36, s14
	ds_write_b8 v36, v77 offset:8192
	v_lshl_or_b32 v36, s14, 10, v62
	s_and_saveexec_b64 s[14:15], s[54:55]
	s_cbranch_execnz .LBB184_98
; %bb.95:                               ;   in Loop: Header=BB184_91 Depth=2
	s_or_b64 exec, exec, s[14:15]
	v_add_lshl_u32 v36, v36, v2, 2
	s_and_saveexec_b64 s[14:15], s[56:57]
	s_cbranch_execnz .LBB184_99
.LBB184_96:                             ;   in Loop: Header=BB184_91 Depth=2
	s_or_b64 exec, exec, s[14:15]
	s_and_saveexec_b64 s[14:15], s[58:59]
	s_cbranch_execnz .LBB184_100
.LBB184_97:                             ;   in Loop: Header=BB184_91 Depth=2
	s_or_b64 exec, exec, s[14:15]
	s_and_saveexec_b64 s[14:15], s[60:61]
	s_cbranch_execz .LBB184_89
	s_branch .LBB184_101
.LBB184_98:                             ;   in Loop: Header=BB184_91 Depth=2
	v_mov_b32_e32 v37, s67
	v_add_co_u32_e32 v38, vcc, s66, v79
	v_addc_co_u32_e32 v39, vcc, v37, v78, vcc
	global_load_dword v37, v[38:39], off
	v_or_b32_e32 v38, v36, v2
	v_lshlrev_b32_e32 v38, 2, v38
	ds_read_b32 v39, v38
	s_waitcnt vmcnt(0) lgkmcnt(0)
	v_fmac_f32_e32 v39, v3, v37
	ds_write_b32 v38, v39
	s_or_b64 exec, exec, s[14:15]
	v_add_lshl_u32 v36, v36, v2, 2
	s_and_saveexec_b64 s[14:15], s[56:57]
	s_cbranch_execz .LBB184_96
.LBB184_99:                             ;   in Loop: Header=BB184_91 Depth=2
	v_mov_b32_e32 v37, s67
	v_add_co_u32_e32 v38, vcc, s66, v60
	v_addc_co_u32_e32 v39, vcc, v37, v61, vcc
	v_add_co_u32_e32 v38, vcc, 32, v38
	v_addc_co_u32_e32 v39, vcc, 0, v39, vcc
	;; [unrolled: 2-line block ×3, first 2 shown]
	v_cndmask_b32_e64 v39, v37, v39, s[4:5]
	v_cndmask_b32_e64 v38, v40, v38, s[4:5]
	global_load_dword v37, v[38:39], off
	ds_read_b32 v38, v36 offset:32
	s_waitcnt vmcnt(0) lgkmcnt(0)
	v_fmac_f32_e32 v38, v3, v37
	ds_write_b32 v36, v38 offset:32
	s_or_b64 exec, exec, s[14:15]
	s_and_saveexec_b64 s[14:15], s[58:59]
	s_cbranch_execz .LBB184_97
.LBB184_100:                            ;   in Loop: Header=BB184_91 Depth=2
	v_mov_b32_e32 v37, s67
	v_add_co_u32_e32 v38, vcc, s66, v60
	v_addc_co_u32_e32 v39, vcc, v37, v61, vcc
	v_add_co_u32_e32 v38, vcc, 64, v38
	v_addc_co_u32_e32 v39, vcc, 0, v39, vcc
	;; [unrolled: 2-line block ×3, first 2 shown]
	v_cndmask_b32_e64 v39, v37, v39, s[4:5]
	v_cndmask_b32_e64 v38, v40, v38, s[4:5]
	global_load_dword v37, v[38:39], off
	ds_read_b32 v38, v36 offset:64
	s_waitcnt vmcnt(0) lgkmcnt(0)
	v_fmac_f32_e32 v38, v3, v37
	ds_write_b32 v36, v38 offset:64
	s_or_b64 exec, exec, s[14:15]
	s_and_saveexec_b64 s[14:15], s[60:61]
	s_cbranch_execz .LBB184_89
.LBB184_101:                            ;   in Loop: Header=BB184_91 Depth=2
	v_mov_b32_e32 v37, s67
	v_add_co_u32_e32 v38, vcc, s66, v60
	v_addc_co_u32_e32 v39, vcc, v37, v61, vcc
	v_add_co_u32_e32 v38, vcc, 0x60, v38
	v_addc_co_u32_e32 v39, vcc, 0, v39, vcc
	;; [unrolled: 2-line block ×3, first 2 shown]
	v_cndmask_b32_e64 v39, v37, v39, s[4:5]
	v_cndmask_b32_e64 v38, v40, v38, s[4:5]
	global_load_dword v37, v[38:39], off
	ds_read_b32 v38, v36 offset:96
	s_waitcnt vmcnt(0) lgkmcnt(0)
	v_fmac_f32_e32 v38, v3, v37
	ds_write_b32 v36, v38 offset:96
	s_branch .LBB184_89
.LBB184_102:                            ;   in Loop: Header=BB184_15 Depth=1
	s_barrier
	ds_read_u8 v36, v5 offset:8192
	s_add_i32 s8, s19, s30
	s_mov_b32 s9, 0
	s_waitcnt lgkmcnt(0)
	v_cmp_eq_u32_e32 vcc, 0, v36
	s_cbranch_vccnz .LBB184_109
; %bb.103:                              ;   in Loop: Header=BB184_15 Depth=1
	v_lshlrev_b64 v[36:37], 2, v[34:35]
	v_mov_b32_e32 v38, s41
	v_add_co_u32_e32 v36, vcc, s40, v36
	v_addc_co_u32_e32 v37, vcc, v38, v37, vcc
	v_mov_b32_e32 v38, s8
	global_store_dword v[36:37], v38, off
	v_mad_u64_u32 v[36:37], s[6:7], v34, s18, 0
	v_mov_b32_e32 v38, v37
	v_mad_u64_u32 v[38:39], s[6:7], v35, s18, v[38:39]
	v_mov_b32_e32 v37, v38
	v_lshlrev_b64 v[38:39], 2, v[36:37]
	v_add_co_u32_e32 v36, vcc, v63, v38
	v_addc_co_u32_e32 v37, vcc, v64, v39, vcc
	v_add_co_u32_e32 v38, vcc, v65, v38
	v_addc_co_u32_e32 v39, vcc, v66, v39, vcc
	s_and_saveexec_b64 s[6:7], s[54:55]
	s_cbranch_execnz .LBB184_116
; %bb.104:                              ;   in Loop: Header=BB184_15 Depth=1
	s_or_b64 exec, exec, s[6:7]
	s_and_saveexec_b64 s[6:7], s[56:57]
	s_cbranch_execnz .LBB184_117
.LBB184_105:                            ;   in Loop: Header=BB184_15 Depth=1
	s_or_b64 exec, exec, s[6:7]
	s_and_saveexec_b64 s[6:7], s[58:59]
	s_cbranch_execnz .LBB184_118
.LBB184_106:                            ;   in Loop: Header=BB184_15 Depth=1
	s_or_b64 exec, exec, s[6:7]
	s_and_saveexec_b64 s[6:7], s[60:61]
	s_cbranch_execz .LBB184_108
.LBB184_107:                            ;   in Loop: Header=BB184_15 Depth=1
	v_lshlrev_b32_e32 v41, 2, v2
	v_add_co_u32_e32 v38, vcc, v38, v41
	v_addc_co_u32_e32 v39, vcc, 0, v39, vcc
	ds_read_b32 v40, v4 offset:96
	v_add_co_u32_e32 v38, vcc, 0x60, v38
	v_addc_co_u32_e32 v39, vcc, 0, v39, vcc
	v_add_co_u32_e32 v36, vcc, v36, v28
	v_addc_co_u32_e32 v37, vcc, v37, v29, vcc
	v_cndmask_b32_e64 v37, v37, v39, s[4:5]
	v_cndmask_b32_e64 v36, v36, v38, s[4:5]
	s_waitcnt lgkmcnt(0)
	global_store_dword v[36:37], v40, off
.LBB184_108:                            ;   in Loop: Header=BB184_15 Depth=1
	s_or_b64 exec, exec, s[6:7]
	s_mov_b32 s9, 1
.LBB184_109:                            ;   in Loop: Header=BB184_15 Depth=1
	ds_read_u8 v36, v5 offset:8193
	s_waitcnt lgkmcnt(0)
	v_readfirstlane_b32 s6, v36
	s_bitcmp1_b32 s6, 0
	s_cselect_b64 s[6:7], -1, 0
	s_and_b64 vcc, exec, s[6:7]
	s_cbranch_vccnz .LBB184_111
; %bb.110:                              ;   in Loop: Header=BB184_15 Depth=1
	v_add_co_u32_e32 v36, vcc, s9, v34
	v_addc_co_u32_e32 v37, vcc, 0, v35, vcc
	s_cbranch_execnz .LBB184_14
	s_branch .LBB184_112
.LBB184_111:                            ;   in Loop: Header=BB184_15 Depth=1
                                        ; implicit-def: $vgpr36_vgpr37
.LBB184_112:                            ;   in Loop: Header=BB184_15 Depth=1
	s_add_i32 s6, s9, 1
	v_add_co_u32_e32 v36, vcc, s6, v34
	v_addc_co_u32_e32 v37, vcc, 0, v35, vcc
	v_add_co_u32_e32 v38, vcc, -1, v36
	v_addc_co_u32_e32 v39, vcc, -1, v37, vcc
	v_lshlrev_b64 v[34:35], 2, v[36:37]
	s_add_i32 s6, s8, 1
	v_mov_b32_e32 v40, s76
	v_add_co_u32_e32 v34, vcc, s75, v34
	v_addc_co_u32_e32 v35, vcc, v40, v35, vcc
	v_mov_b32_e32 v40, s6
	global_store_dword v[34:35], v40, off
	v_mad_u64_u32 v[34:35], s[6:7], v38, s18, 0
	v_mov_b32_e32 v38, v35
	v_mad_u64_u32 v[38:39], s[6:7], v39, s18, v[38:39]
	v_mov_b32_e32 v35, v38
	v_lshlrev_b64 v[34:35], 2, v[34:35]
	v_add_co_u32_e32 v38, vcc, v63, v34
	v_addc_co_u32_e32 v39, vcc, v64, v35, vcc
	v_add_co_u32_e32 v34, vcc, v65, v34
	v_addc_co_u32_e32 v35, vcc, v66, v35, vcc
	s_and_saveexec_b64 s[6:7], s[54:55]
	s_cbranch_execnz .LBB184_119
; %bb.113:                              ;   in Loop: Header=BB184_15 Depth=1
	s_or_b64 exec, exec, s[6:7]
	s_and_saveexec_b64 s[6:7], s[56:57]
	s_cbranch_execnz .LBB184_120
.LBB184_114:                            ;   in Loop: Header=BB184_15 Depth=1
	s_or_b64 exec, exec, s[6:7]
	s_and_saveexec_b64 s[6:7], s[58:59]
	s_cbranch_execnz .LBB184_121
.LBB184_115:                            ;   in Loop: Header=BB184_15 Depth=1
	s_or_b64 exec, exec, s[6:7]
	s_and_saveexec_b64 s[6:7], s[60:61]
	s_cbranch_execz .LBB184_13
	s_branch .LBB184_122
.LBB184_116:                            ;   in Loop: Header=BB184_15 Depth=1
	ds_read_b32 v42, v4
	v_add_co_u32_e32 v40, vcc, v36, v6
	v_addc_co_u32_e32 v41, vcc, v37, v7, vcc
	v_lshlrev_b32_e32 v43, 2, v2
	v_add_co_u32_e32 v43, vcc, v38, v43
	v_addc_co_u32_e32 v44, vcc, 0, v39, vcc
	v_cndmask_b32_e64 v41, v41, v44, s[4:5]
	v_cndmask_b32_e64 v40, v40, v43, s[4:5]
	s_waitcnt lgkmcnt(0)
	global_store_dword v[40:41], v42, off
	s_or_b64 exec, exec, s[6:7]
	s_and_saveexec_b64 s[6:7], s[56:57]
	s_cbranch_execz .LBB184_105
.LBB184_117:                            ;   in Loop: Header=BB184_15 Depth=1
	v_lshlrev_b32_e32 v40, 2, v2
	v_add_co_u32_e32 v40, vcc, v38, v40
	v_addc_co_u32_e32 v41, vcc, 0, v39, vcc
	ds_read_b32 v42, v4 offset:32
	v_add_co_u32_e32 v40, vcc, 32, v40
	v_addc_co_u32_e32 v41, vcc, 0, v41, vcc
	v_add_co_u32_e32 v43, vcc, v36, v16
	v_addc_co_u32_e32 v44, vcc, v37, v17, vcc
	v_cndmask_b32_e64 v41, v44, v41, s[4:5]
	v_cndmask_b32_e64 v40, v43, v40, s[4:5]
	s_waitcnt lgkmcnt(0)
	global_store_dword v[40:41], v42, off
	s_or_b64 exec, exec, s[6:7]
	s_and_saveexec_b64 s[6:7], s[58:59]
	s_cbranch_execz .LBB184_106
.LBB184_118:                            ;   in Loop: Header=BB184_15 Depth=1
	v_lshlrev_b32_e32 v40, 2, v2
	v_add_co_u32_e32 v40, vcc, v38, v40
	v_addc_co_u32_e32 v41, vcc, 0, v39, vcc
	ds_read_b32 v42, v4 offset:64
	v_add_co_u32_e32 v40, vcc, 64, v40
	v_addc_co_u32_e32 v41, vcc, 0, v41, vcc
	v_add_co_u32_e32 v43, vcc, v36, v22
	v_addc_co_u32_e32 v44, vcc, v37, v23, vcc
	v_cndmask_b32_e64 v41, v44, v41, s[4:5]
	v_cndmask_b32_e64 v40, v43, v40, s[4:5]
	s_waitcnt lgkmcnt(0)
	global_store_dword v[40:41], v42, off
	s_or_b64 exec, exec, s[6:7]
	s_and_saveexec_b64 s[6:7], s[60:61]
	s_cbranch_execnz .LBB184_107
	s_branch .LBB184_108
.LBB184_119:                            ;   in Loop: Header=BB184_15 Depth=1
	v_lshlrev_b32_e32 v40, 2, v2
	ds_read_b32 v42, v4 offset:4096
	v_add_co_u32_e32 v40, vcc, v34, v40
	v_addc_co_u32_e32 v41, vcc, 0, v35, vcc
	v_add_co_u32_e32 v43, vcc, v38, v6
	v_addc_co_u32_e32 v44, vcc, v39, v7, vcc
	v_cndmask_b32_e64 v41, v44, v41, s[4:5]
	v_cndmask_b32_e64 v40, v43, v40, s[4:5]
	s_waitcnt lgkmcnt(0)
	global_store_dword v[40:41], v42, off
	s_or_b64 exec, exec, s[6:7]
	s_and_saveexec_b64 s[6:7], s[56:57]
	s_cbranch_execz .LBB184_114
.LBB184_120:                            ;   in Loop: Header=BB184_15 Depth=1
	v_lshlrev_b32_e32 v40, 2, v2
	v_add_co_u32_e32 v40, vcc, v34, v40
	v_addc_co_u32_e32 v41, vcc, 0, v35, vcc
	ds_read_b32 v42, v67 offset:4096
	v_add_co_u32_e32 v40, vcc, 32, v40
	v_addc_co_u32_e32 v41, vcc, 0, v41, vcc
	v_add_co_u32_e32 v43, vcc, v38, v16
	v_addc_co_u32_e32 v44, vcc, v39, v17, vcc
	v_cndmask_b32_e64 v41, v44, v41, s[4:5]
	v_cndmask_b32_e64 v40, v43, v40, s[4:5]
	s_waitcnt lgkmcnt(0)
	global_store_dword v[40:41], v42, off
	s_or_b64 exec, exec, s[6:7]
	s_and_saveexec_b64 s[6:7], s[58:59]
	s_cbranch_execz .LBB184_115
.LBB184_121:                            ;   in Loop: Header=BB184_15 Depth=1
	v_lshlrev_b32_e32 v40, 2, v2
	v_add_co_u32_e32 v40, vcc, v34, v40
	v_addc_co_u32_e32 v41, vcc, 0, v35, vcc
	ds_read_b32 v42, v68 offset:4096
	v_add_co_u32_e32 v40, vcc, 64, v40
	v_addc_co_u32_e32 v41, vcc, 0, v41, vcc
	v_add_co_u32_e32 v43, vcc, v38, v22
	v_addc_co_u32_e32 v44, vcc, v39, v23, vcc
	v_cndmask_b32_e64 v41, v44, v41, s[4:5]
	v_cndmask_b32_e64 v40, v43, v40, s[4:5]
	s_waitcnt lgkmcnt(0)
	global_store_dword v[40:41], v42, off
	s_or_b64 exec, exec, s[6:7]
	s_and_saveexec_b64 s[6:7], s[60:61]
	s_cbranch_execz .LBB184_13
.LBB184_122:                            ;   in Loop: Header=BB184_15 Depth=1
	ds_read_b32 v40, v69 offset:4096
	s_andn2_b64 vcc, exec, s[48:49]
	s_cbranch_vccnz .LBB184_124
; %bb.123:                              ;   in Loop: Header=BB184_15 Depth=1
	v_add_co_u32_e32 v38, vcc, v38, v28
	v_addc_co_u32_e32 v39, vcc, v39, v29, vcc
	s_waitcnt lgkmcnt(0)
	global_store_dword v[38:39], v40, off
	s_cbranch_execnz .LBB184_13
	s_branch .LBB184_125
.LBB184_124:                            ;   in Loop: Header=BB184_15 Depth=1
.LBB184_125:                            ;   in Loop: Header=BB184_15 Depth=1
	v_lshlrev_b32_e32 v38, 2, v2
	v_add_co_u32_e32 v34, vcc, v34, v38
	v_addc_co_u32_e32 v35, vcc, 0, v35, vcc
	s_waitcnt lgkmcnt(0)
	global_store_dword v[34:35], v40, off offset:96
	s_branch .LBB184_13
.LBB184_126:
	s_endpgm
	.section	.rodata,"a",@progbits
	.p2align	6, 0x0
	.amdhsa_kernel _ZN9rocsparseL31bsrgemm_block_per_row_multipassILj256ELj2ELj32ElifEEv20rocsparse_direction_T3_S2_PKS2_S4_NS_24const_host_device_scalarIT4_EEPKT2_S4_PKS6_SA_S4_SC_S7_SA_S4_SC_SA_PS2_PS6_PS8_21rocsparse_index_base_SG_SG_SG_bbb
		.amdhsa_group_segment_fixed_size 8196
		.amdhsa_private_segment_fixed_size 0
		.amdhsa_kernarg_size 172
		.amdhsa_user_sgpr_count 6
		.amdhsa_user_sgpr_private_segment_buffer 1
		.amdhsa_user_sgpr_dispatch_ptr 0
		.amdhsa_user_sgpr_queue_ptr 0
		.amdhsa_user_sgpr_kernarg_segment_ptr 1
		.amdhsa_user_sgpr_dispatch_id 0
		.amdhsa_user_sgpr_flat_scratch_init 0
		.amdhsa_user_sgpr_kernarg_preload_length 0
		.amdhsa_user_sgpr_kernarg_preload_offset 0
		.amdhsa_user_sgpr_private_segment_size 0
		.amdhsa_uses_dynamic_stack 0
		.amdhsa_system_sgpr_private_segment_wavefront_offset 0
		.amdhsa_system_sgpr_workgroup_id_x 1
		.amdhsa_system_sgpr_workgroup_id_y 0
		.amdhsa_system_sgpr_workgroup_id_z 0
		.amdhsa_system_sgpr_workgroup_info 0
		.amdhsa_system_vgpr_workitem_id 0
		.amdhsa_next_free_vgpr 85
		.amdhsa_next_free_sgpr 83
		.amdhsa_accum_offset 88
		.amdhsa_reserve_vcc 1
		.amdhsa_reserve_flat_scratch 0
		.amdhsa_float_round_mode_32 0
		.amdhsa_float_round_mode_16_64 0
		.amdhsa_float_denorm_mode_32 3
		.amdhsa_float_denorm_mode_16_64 3
		.amdhsa_dx10_clamp 1
		.amdhsa_ieee_mode 1
		.amdhsa_fp16_overflow 0
		.amdhsa_tg_split 0
		.amdhsa_exception_fp_ieee_invalid_op 0
		.amdhsa_exception_fp_denorm_src 0
		.amdhsa_exception_fp_ieee_div_zero 0
		.amdhsa_exception_fp_ieee_overflow 0
		.amdhsa_exception_fp_ieee_underflow 0
		.amdhsa_exception_fp_ieee_inexact 0
		.amdhsa_exception_int_div_zero 0
	.end_amdhsa_kernel
	.section	.text._ZN9rocsparseL31bsrgemm_block_per_row_multipassILj256ELj2ELj32ElifEEv20rocsparse_direction_T3_S2_PKS2_S4_NS_24const_host_device_scalarIT4_EEPKT2_S4_PKS6_SA_S4_SC_S7_SA_S4_SC_SA_PS2_PS6_PS8_21rocsparse_index_base_SG_SG_SG_bbb,"axG",@progbits,_ZN9rocsparseL31bsrgemm_block_per_row_multipassILj256ELj2ELj32ElifEEv20rocsparse_direction_T3_S2_PKS2_S4_NS_24const_host_device_scalarIT4_EEPKT2_S4_PKS6_SA_S4_SC_S7_SA_S4_SC_SA_PS2_PS6_PS8_21rocsparse_index_base_SG_SG_SG_bbb,comdat
.Lfunc_end184:
	.size	_ZN9rocsparseL31bsrgemm_block_per_row_multipassILj256ELj2ELj32ElifEEv20rocsparse_direction_T3_S2_PKS2_S4_NS_24const_host_device_scalarIT4_EEPKT2_S4_PKS6_SA_S4_SC_S7_SA_S4_SC_SA_PS2_PS6_PS8_21rocsparse_index_base_SG_SG_SG_bbb, .Lfunc_end184-_ZN9rocsparseL31bsrgemm_block_per_row_multipassILj256ELj2ELj32ElifEEv20rocsparse_direction_T3_S2_PKS2_S4_NS_24const_host_device_scalarIT4_EEPKT2_S4_PKS6_SA_S4_SC_S7_SA_S4_SC_SA_PS2_PS6_PS8_21rocsparse_index_base_SG_SG_SG_bbb
                                        ; -- End function
	.section	.AMDGPU.csdata,"",@progbits
; Kernel info:
; codeLenInByte = 4580
; NumSgprs: 87
; NumVgprs: 85
; NumAgprs: 0
; TotalNumVgprs: 85
; ScratchSize: 0
; MemoryBound: 1
; FloatMode: 240
; IeeeMode: 1
; LDSByteSize: 8196 bytes/workgroup (compile time only)
; SGPRBlocks: 10
; VGPRBlocks: 10
; NumSGPRsForWavesPerEU: 87
; NumVGPRsForWavesPerEU: 85
; AccumOffset: 88
; Occupancy: 5
; WaveLimiterHint : 1
; COMPUTE_PGM_RSRC2:SCRATCH_EN: 0
; COMPUTE_PGM_RSRC2:USER_SGPR: 6
; COMPUTE_PGM_RSRC2:TRAP_HANDLER: 0
; COMPUTE_PGM_RSRC2:TGID_X_EN: 1
; COMPUTE_PGM_RSRC2:TGID_Y_EN: 0
; COMPUTE_PGM_RSRC2:TGID_Z_EN: 0
; COMPUTE_PGM_RSRC2:TIDIG_COMP_CNT: 0
; COMPUTE_PGM_RSRC3_GFX90A:ACCUM_OFFSET: 21
; COMPUTE_PGM_RSRC3_GFX90A:TG_SPLIT: 0
	.section	.text._ZN9rocsparseL26bsrgemm_group_reduce_part2ILj256ELj8ELj2EdliEEvT4_PKT3_PS1_Pi,"axG",@progbits,_ZN9rocsparseL26bsrgemm_group_reduce_part2ILj256ELj8ELj2EdliEEvT4_PKT3_PS1_Pi,comdat
	.globl	_ZN9rocsparseL26bsrgemm_group_reduce_part2ILj256ELj8ELj2EdliEEvT4_PKT3_PS1_Pi ; -- Begin function _ZN9rocsparseL26bsrgemm_group_reduce_part2ILj256ELj8ELj2EdliEEvT4_PKT3_PS1_Pi
	.p2align	8
	.type	_ZN9rocsparseL26bsrgemm_group_reduce_part2ILj256ELj8ELj2EdliEEvT4_PKT3_PS1_Pi,@function
_ZN9rocsparseL26bsrgemm_group_reduce_part2ILj256ELj8ELj2EdliEEvT4_PKT3_PS1_Pi: ; @_ZN9rocsparseL26bsrgemm_group_reduce_part2ILj256ELj8ELj2EdliEEvT4_PKT3_PS1_Pi
; %bb.0:
	s_mov_b32 s8, 0
	s_load_dword s7, s[4:5], 0x0
	s_load_dwordx2 s[2:3], s[4:5], 0x10
	s_mov_b32 s9, s8
	s_mov_b32 s10, s8
	;; [unrolled: 1-line block ×3, first 2 shown]
	v_pk_mov_b32 v[2:3], s[8:9], s[8:9] op_sel:[0,1]
	v_lshlrev_b32_e32 v1, 5, v0
	v_pk_mov_b32 v[4:5], s[10:11], s[10:11] op_sel:[0,1]
	ds_write_b128 v1, v[2:5]
	ds_write_b128 v1, v[2:5] offset:16
	v_lshl_or_b32 v2, s6, 8, v0
	s_waitcnt lgkmcnt(0)
	v_cmp_gt_i32_e32 vcc, s7, v2
	s_and_saveexec_b64 s[8:9], vcc
	s_cbranch_execz .LBB185_31
; %bb.1:
	s_load_dword s0, s[4:5], 0x20
	s_load_dwordx2 s[10:11], s[4:5], 0x8
	s_load_dwordx2 s[12:13], s[4:5], 0x18
	s_mov_b64 s[4:5], 0
	s_mov_b64 s[14:15], 0x80
	s_waitcnt lgkmcnt(0)
	s_lshl_b32 s33, s0, 8
	v_mov_b32_e32 v6, s11
	s_mov_b64 s[16:17], 0x100
	s_mov_b64 s[18:19], 0x200
	v_mov_b32_e32 v7, 7
	v_mov_b32_e32 v8, 6
	;; [unrolled: 1-line block ×8, first 2 shown]
	s_branch .LBB185_3
.LBB185_2:                              ;   in Loop: Header=BB185_3 Depth=1
	s_or_b64 exec, exec, s[0:1]
	v_add_u32_e32 v2, s33, v2
	v_cmp_le_i32_e32 vcc, s7, v2
	s_or_b64 s[4:5], vcc, s[4:5]
	s_andn2_b64 exec, exec, s[4:5]
	s_cbranch_execz .LBB185_31
.LBB185_3:                              ; =>This Inner Loop Header: Depth=1
	v_ashrrev_i32_e32 v3, 31, v2
	v_lshlrev_b64 v[4:5], 3, v[2:3]
	v_add_co_u32_e32 v4, vcc, s10, v4
	v_addc_co_u32_e32 v5, vcc, v6, v5, vcc
	global_load_dwordx4 v[16:19], v[4:5], off
	s_waitcnt vmcnt(0)
	v_sub_co_u32_e32 v4, vcc, v18, v16
	v_subb_co_u32_e32 v5, vcc, v19, v17, vcc
	v_cmp_lt_i64_e32 vcc, 8, v[4:5]
	s_and_saveexec_b64 s[0:1], vcc
	s_xor_b64 s[20:21], exec, s[0:1]
	s_cbranch_execz .LBB185_29
; %bb.4:                                ;   in Loop: Header=BB185_3 Depth=1
	v_cmp_lt_u64_e32 vcc, 16, v[4:5]
	s_and_saveexec_b64 s[0:1], vcc
	s_xor_b64 s[22:23], exec, s[0:1]
	s_cbranch_execz .LBB185_26
; %bb.5:                                ;   in Loop: Header=BB185_3 Depth=1
	v_cmp_lt_u64_e32 vcc, 32, v[4:5]
	;; [unrolled: 5-line block ×6, first 2 shown]
	v_lshlrev_b64 v[4:5], 2, v[2:3]
	v_mov_b32_e32 v15, s13
	v_add_co_u32_e64 v4, s[0:1], s12, v4
	v_addc_co_u32_e64 v5, s[0:1], v15, v5, s[0:1]
	s_and_saveexec_b64 s[0:1], vcc
	s_xor_b64 s[0:1], exec, s[0:1]
	s_cbranch_execz .LBB185_11
; %bb.10:                               ;   in Loop: Header=BB185_3 Depth=1
	ds_read_b32 v15, v1 offset:28
	global_store_dword v[4:5], v7, off
                                        ; implicit-def: $vgpr4_vgpr5
	s_waitcnt lgkmcnt(0)
	v_add_u32_e32 v15, 1, v15
	ds_write_b32 v1, v15 offset:28
.LBB185_11:                             ;   in Loop: Header=BB185_3 Depth=1
	s_andn2_saveexec_b64 s[0:1], s[0:1]
	s_cbranch_execz .LBB185_13
; %bb.12:                               ;   in Loop: Header=BB185_3 Depth=1
	ds_read_b32 v15, v1 offset:24
	global_store_dword v[4:5], v8, off
	s_waitcnt lgkmcnt(0)
	v_add_u32_e32 v15, 1, v15
	ds_write_b32 v1, v15 offset:24
.LBB185_13:                             ;   in Loop: Header=BB185_3 Depth=1
	s_or_b64 exec, exec, s[0:1]
.LBB185_14:                             ;   in Loop: Header=BB185_3 Depth=1
	s_andn2_saveexec_b64 s[0:1], s[30:31]
	s_cbranch_execz .LBB185_16
; %bb.15:                               ;   in Loop: Header=BB185_3 Depth=1
	ds_read_b32 v15, v1 offset:20
	v_lshlrev_b64 v[4:5], 2, v[2:3]
	v_mov_b32_e32 v16, s13
	v_add_co_u32_e32 v4, vcc, s12, v4
	s_waitcnt lgkmcnt(0)
	v_add_u32_e32 v15, 1, v15
	v_addc_co_u32_e32 v5, vcc, v16, v5, vcc
	ds_write_b32 v1, v15 offset:20
	global_store_dword v[4:5], v9, off
.LBB185_16:                             ;   in Loop: Header=BB185_3 Depth=1
	s_or_b64 exec, exec, s[0:1]
.LBB185_17:                             ;   in Loop: Header=BB185_3 Depth=1
	s_andn2_saveexec_b64 s[0:1], s[28:29]
	s_cbranch_execz .LBB185_19
; %bb.18:                               ;   in Loop: Header=BB185_3 Depth=1
	ds_read_b32 v15, v1 offset:16
	v_lshlrev_b64 v[4:5], 2, v[2:3]
	v_mov_b32_e32 v16, s13
	v_add_co_u32_e32 v4, vcc, s12, v4
	s_waitcnt lgkmcnt(0)
	v_add_u32_e32 v15, 1, v15
	v_addc_co_u32_e32 v5, vcc, v16, v5, vcc
	ds_write_b32 v1, v15 offset:16
	global_store_dword v[4:5], v10, off
.LBB185_19:                             ;   in Loop: Header=BB185_3 Depth=1
	s_or_b64 exec, exec, s[0:1]
.LBB185_20:                             ;   in Loop: Header=BB185_3 Depth=1
	s_andn2_saveexec_b64 s[0:1], s[26:27]
	s_cbranch_execz .LBB185_22
; %bb.21:                               ;   in Loop: Header=BB185_3 Depth=1
	ds_read_b32 v15, v1 offset:12
	v_lshlrev_b64 v[4:5], 2, v[2:3]
	v_mov_b32_e32 v16, s13
	v_add_co_u32_e32 v4, vcc, s12, v4
	s_waitcnt lgkmcnt(0)
	v_add_u32_e32 v15, 1, v15
	v_addc_co_u32_e32 v5, vcc, v16, v5, vcc
	ds_write_b32 v1, v15 offset:12
	global_store_dword v[4:5], v11, off
.LBB185_22:                             ;   in Loop: Header=BB185_3 Depth=1
	s_or_b64 exec, exec, s[0:1]
.LBB185_23:                             ;   in Loop: Header=BB185_3 Depth=1
	s_andn2_saveexec_b64 s[0:1], s[24:25]
	s_cbranch_execz .LBB185_25
; %bb.24:                               ;   in Loop: Header=BB185_3 Depth=1
	ds_read_b32 v15, v1 offset:8
	v_lshlrev_b64 v[4:5], 2, v[2:3]
	v_mov_b32_e32 v16, s13
	v_add_co_u32_e32 v4, vcc, s12, v4
	s_waitcnt lgkmcnt(0)
	v_add_u32_e32 v15, 1, v15
	v_addc_co_u32_e32 v5, vcc, v16, v5, vcc
	ds_write_b32 v1, v15 offset:8
	global_store_dword v[4:5], v12, off
.LBB185_25:                             ;   in Loop: Header=BB185_3 Depth=1
	s_or_b64 exec, exec, s[0:1]
.LBB185_26:                             ;   in Loop: Header=BB185_3 Depth=1
	s_andn2_saveexec_b64 s[0:1], s[22:23]
	s_cbranch_execz .LBB185_28
; %bb.27:                               ;   in Loop: Header=BB185_3 Depth=1
	ds_read_b32 v15, v1 offset:4
	v_lshlrev_b64 v[4:5], 2, v[2:3]
	v_mov_b32_e32 v16, s13
	v_add_co_u32_e32 v4, vcc, s12, v4
	s_waitcnt lgkmcnt(0)
	v_add_u32_e32 v15, 1, v15
	v_addc_co_u32_e32 v5, vcc, v16, v5, vcc
	ds_write_b32 v1, v15 offset:4
	global_store_dword v[4:5], v13, off
.LBB185_28:                             ;   in Loop: Header=BB185_3 Depth=1
	s_or_b64 exec, exec, s[0:1]
.LBB185_29:                             ;   in Loop: Header=BB185_3 Depth=1
	s_andn2_saveexec_b64 s[0:1], s[20:21]
	s_cbranch_execz .LBB185_2
; %bb.30:                               ;   in Loop: Header=BB185_3 Depth=1
	ds_read_b32 v15, v1
	v_lshlrev_b64 v[4:5], 2, v[2:3]
	v_mov_b32_e32 v3, s13
	v_add_co_u32_e32 v4, vcc, s12, v4
	s_waitcnt lgkmcnt(0)
	v_add_u32_e32 v15, 1, v15
	v_addc_co_u32_e32 v5, vcc, v3, v5, vcc
	ds_write_b32 v1, v15
	global_store_dword v[4:5], v14, off
	s_branch .LBB185_2
.LBB185_31:
	s_or_b64 exec, exec, s[8:9]
	s_movk_i32 s0, 0x80
	v_cmp_gt_u32_e32 vcc, s0, v0
	s_waitcnt lgkmcnt(0)
	s_barrier
	s_barrier
	;; [unrolled: 1-line block ×3, first 2 shown]
	s_and_saveexec_b64 s[0:1], vcc
	s_cbranch_execz .LBB185_33
; %bb.32:
	ds_read_b128 v[2:5], v1 offset:4096
	ds_read_b128 v[6:9], v1
	ds_read_b128 v[10:13], v1 offset:16
	ds_read_b128 v[14:17], v1 offset:4112
	s_waitcnt lgkmcnt(2)
	v_add_u32_e32 v3, v7, v3
	v_add_u32_e32 v2, v6, v2
	v_add_u32_e32 v5, v9, v5
	v_add_u32_e32 v4, v8, v4
	ds_write_b128 v1, v[2:5]
	s_waitcnt lgkmcnt(1)
	v_add_u32_e32 v3, v11, v15
	v_add_u32_e32 v2, v10, v14
	v_add_u32_e32 v5, v13, v17
	v_add_u32_e32 v4, v12, v16
	ds_write_b128 v1, v[2:5] offset:16
.LBB185_33:
	s_or_b64 exec, exec, s[0:1]
	v_cmp_gt_u32_e32 vcc, 64, v0
	s_waitcnt lgkmcnt(0)
	s_barrier
	s_and_saveexec_b64 s[0:1], vcc
	s_cbranch_execz .LBB185_35
; %bb.34:
	ds_read_b128 v[2:5], v1 offset:2048
	ds_read_b128 v[6:9], v1
	ds_read_b128 v[10:13], v1 offset:16
	ds_read_b128 v[14:17], v1 offset:2064
	s_waitcnt lgkmcnt(2)
	v_add_u32_e32 v3, v7, v3
	v_add_u32_e32 v2, v6, v2
	v_add_u32_e32 v5, v9, v5
	v_add_u32_e32 v4, v8, v4
	ds_write_b128 v1, v[2:5]
	s_waitcnt lgkmcnt(1)
	v_add_u32_e32 v3, v11, v15
	v_add_u32_e32 v2, v10, v14
	v_add_u32_e32 v5, v13, v17
	v_add_u32_e32 v4, v12, v16
	ds_write_b128 v1, v[2:5] offset:16
.LBB185_35:
	s_or_b64 exec, exec, s[0:1]
	v_cmp_gt_u32_e32 vcc, 32, v0
	s_waitcnt lgkmcnt(0)
	s_barrier
	;; [unrolled: 24-line block ×4, first 2 shown]
	s_and_saveexec_b64 s[0:1], vcc
	s_cbranch_execz .LBB185_41
; %bb.40:
	ds_read_b128 v[2:5], v1 offset:256
	ds_read_b128 v[6:9], v1
	ds_read_b128 v[10:13], v1 offset:16
	ds_read_b128 v[14:17], v1 offset:272
	s_waitcnt lgkmcnt(2)
	v_add_u32_e32 v3, v7, v3
	v_add_u32_e32 v2, v6, v2
	v_add_u32_e32 v5, v9, v5
	v_add_u32_e32 v4, v8, v4
	ds_write_b128 v1, v[2:5]
	s_waitcnt lgkmcnt(1)
	v_add_u32_e32 v3, v11, v15
	v_add_u32_e32 v2, v10, v14
	;; [unrolled: 1-line block ×4, first 2 shown]
	ds_write_b128 v1, v[2:5] offset:16
.LBB185_41:
	s_or_b64 exec, exec, s[0:1]
	v_cmp_gt_u32_e64 s[0:1], 4, v0
	s_waitcnt lgkmcnt(0)
	s_barrier
	s_and_saveexec_b64 s[4:5], s[0:1]
	s_cbranch_execz .LBB185_43
; %bb.42:
	ds_read_b128 v[2:5], v1 offset:128
	ds_read_b128 v[6:9], v1
	ds_read_b128 v[10:13], v1 offset:16
	ds_read_b128 v[14:17], v1 offset:144
	s_waitcnt lgkmcnt(2)
	v_add_u32_e32 v3, v7, v3
	v_add_u32_e32 v2, v6, v2
	;; [unrolled: 1-line block ×4, first 2 shown]
	ds_write_b128 v1, v[2:5]
	s_waitcnt lgkmcnt(1)
	v_add_u32_e32 v3, v11, v15
	v_add_u32_e32 v2, v10, v14
	;; [unrolled: 1-line block ×4, first 2 shown]
	ds_write_b128 v1, v[2:5] offset:16
.LBB185_43:
	s_or_b64 exec, exec, s[4:5]
	v_cmp_gt_u32_e64 s[0:1], 2, v0
	s_waitcnt lgkmcnt(0)
	s_barrier
	s_and_saveexec_b64 s[4:5], s[0:1]
	s_cbranch_execz .LBB185_45
; %bb.44:
	ds_read_b128 v[2:5], v1 offset:64
	ds_read_b128 v[6:9], v1
	ds_read_b128 v[10:13], v1 offset:16
	ds_read_b128 v[14:17], v1 offset:80
	s_waitcnt lgkmcnt(2)
	v_add_u32_e32 v3, v7, v3
	v_add_u32_e32 v2, v6, v2
	;; [unrolled: 1-line block ×4, first 2 shown]
	ds_write_b128 v1, v[2:5]
	s_waitcnt lgkmcnt(1)
	v_add_u32_e32 v3, v11, v15
	v_add_u32_e32 v2, v10, v14
	;; [unrolled: 1-line block ×4, first 2 shown]
	ds_write_b128 v1, v[2:5] offset:16
.LBB185_45:
	s_or_b64 exec, exec, s[4:5]
	v_cmp_eq_u32_e64 s[0:1], 0, v0
	s_waitcnt lgkmcnt(0)
	s_barrier
	s_and_saveexec_b64 s[4:5], s[0:1]
	s_cbranch_execz .LBB185_47
; %bb.46:
	v_mov_b32_e32 v1, 0
	ds_read_b128 v[2:5], v1 offset:32
	ds_read_b128 v[6:9], v1
	ds_read_b128 v[10:13], v1 offset:16
	ds_read_b128 v[14:17], v1 offset:48
	s_waitcnt lgkmcnt(2)
	v_add_u32_e32 v3, v7, v3
	v_add_u32_e32 v2, v6, v2
	;; [unrolled: 1-line block ×4, first 2 shown]
	ds_write_b128 v1, v[2:5]
	s_waitcnt lgkmcnt(1)
	v_add_u32_e32 v3, v11, v15
	v_add_u32_e32 v2, v10, v14
	v_add_u32_e32 v5, v13, v17
	v_add_u32_e32 v4, v12, v16
	ds_write_b128 v1, v[2:5] offset:16
.LBB185_47:
	s_or_b64 exec, exec, s[4:5]
	s_waitcnt lgkmcnt(0)
	s_barrier
	s_and_saveexec_b64 s[0:1], vcc
	s_cbranch_execz .LBB185_49
; %bb.48:
	v_lshl_or_b32 v2, s6, 3, v0
	v_lshlrev_b32_e32 v0, 2, v0
	ds_read_b32 v4, v0
	v_mov_b32_e32 v3, 0
	v_lshlrev_b64 v[2:3], 2, v[2:3]
	v_mov_b32_e32 v1, s3
	v_add_co_u32_e32 v0, vcc, s2, v2
	v_addc_co_u32_e32 v1, vcc, v1, v3, vcc
	s_waitcnt lgkmcnt(0)
	global_store_dword v[0:1], v4, off
.LBB185_49:
	s_endpgm
	.section	.rodata,"a",@progbits
	.p2align	6, 0x0
	.amdhsa_kernel _ZN9rocsparseL26bsrgemm_group_reduce_part2ILj256ELj8ELj2EdliEEvT4_PKT3_PS1_Pi
		.amdhsa_group_segment_fixed_size 8192
		.amdhsa_private_segment_fixed_size 0
		.amdhsa_kernarg_size 288
		.amdhsa_user_sgpr_count 6
		.amdhsa_user_sgpr_private_segment_buffer 1
		.amdhsa_user_sgpr_dispatch_ptr 0
		.amdhsa_user_sgpr_queue_ptr 0
		.amdhsa_user_sgpr_kernarg_segment_ptr 1
		.amdhsa_user_sgpr_dispatch_id 0
		.amdhsa_user_sgpr_flat_scratch_init 0
		.amdhsa_user_sgpr_kernarg_preload_length 0
		.amdhsa_user_sgpr_kernarg_preload_offset 0
		.amdhsa_user_sgpr_private_segment_size 0
		.amdhsa_uses_dynamic_stack 0
		.amdhsa_system_sgpr_private_segment_wavefront_offset 0
		.amdhsa_system_sgpr_workgroup_id_x 1
		.amdhsa_system_sgpr_workgroup_id_y 0
		.amdhsa_system_sgpr_workgroup_id_z 0
		.amdhsa_system_sgpr_workgroup_info 0
		.amdhsa_system_vgpr_workitem_id 0
		.amdhsa_next_free_vgpr 20
		.amdhsa_next_free_sgpr 34
		.amdhsa_accum_offset 20
		.amdhsa_reserve_vcc 1
		.amdhsa_reserve_flat_scratch 0
		.amdhsa_float_round_mode_32 0
		.amdhsa_float_round_mode_16_64 0
		.amdhsa_float_denorm_mode_32 3
		.amdhsa_float_denorm_mode_16_64 3
		.amdhsa_dx10_clamp 1
		.amdhsa_ieee_mode 1
		.amdhsa_fp16_overflow 0
		.amdhsa_tg_split 0
		.amdhsa_exception_fp_ieee_invalid_op 0
		.amdhsa_exception_fp_denorm_src 0
		.amdhsa_exception_fp_ieee_div_zero 0
		.amdhsa_exception_fp_ieee_overflow 0
		.amdhsa_exception_fp_ieee_underflow 0
		.amdhsa_exception_fp_ieee_inexact 0
		.amdhsa_exception_int_div_zero 0
	.end_amdhsa_kernel
	.section	.text._ZN9rocsparseL26bsrgemm_group_reduce_part2ILj256ELj8ELj2EdliEEvT4_PKT3_PS1_Pi,"axG",@progbits,_ZN9rocsparseL26bsrgemm_group_reduce_part2ILj256ELj8ELj2EdliEEvT4_PKT3_PS1_Pi,comdat
.Lfunc_end185:
	.size	_ZN9rocsparseL26bsrgemm_group_reduce_part2ILj256ELj8ELj2EdliEEvT4_PKT3_PS1_Pi, .Lfunc_end185-_ZN9rocsparseL26bsrgemm_group_reduce_part2ILj256ELj8ELj2EdliEEvT4_PKT3_PS1_Pi
                                        ; -- End function
	.section	.AMDGPU.csdata,"",@progbits
; Kernel info:
; codeLenInByte = 1860
; NumSgprs: 38
; NumVgprs: 20
; NumAgprs: 0
; TotalNumVgprs: 20
; ScratchSize: 0
; MemoryBound: 0
; FloatMode: 240
; IeeeMode: 1
; LDSByteSize: 8192 bytes/workgroup (compile time only)
; SGPRBlocks: 4
; VGPRBlocks: 2
; NumSGPRsForWavesPerEU: 38
; NumVGPRsForWavesPerEU: 20
; AccumOffset: 20
; Occupancy: 8
; WaveLimiterHint : 0
; COMPUTE_PGM_RSRC2:SCRATCH_EN: 0
; COMPUTE_PGM_RSRC2:USER_SGPR: 6
; COMPUTE_PGM_RSRC2:TRAP_HANDLER: 0
; COMPUTE_PGM_RSRC2:TGID_X_EN: 1
; COMPUTE_PGM_RSRC2:TGID_Y_EN: 0
; COMPUTE_PGM_RSRC2:TGID_Z_EN: 0
; COMPUTE_PGM_RSRC2:TIDIG_COMP_CNT: 0
; COMPUTE_PGM_RSRC3_GFX90A:ACCUM_OFFSET: 4
; COMPUTE_PGM_RSRC3_GFX90A:TG_SPLIT: 0
	.section	.text._ZN9rocsparseL26bsrgemm_group_reduce_part2ILj256ELj8ELj8EdliEEvT4_PKT3_PS1_Pi,"axG",@progbits,_ZN9rocsparseL26bsrgemm_group_reduce_part2ILj256ELj8ELj8EdliEEvT4_PKT3_PS1_Pi,comdat
	.globl	_ZN9rocsparseL26bsrgemm_group_reduce_part2ILj256ELj8ELj8EdliEEvT4_PKT3_PS1_Pi ; -- Begin function _ZN9rocsparseL26bsrgemm_group_reduce_part2ILj256ELj8ELj8EdliEEvT4_PKT3_PS1_Pi
	.p2align	8
	.type	_ZN9rocsparseL26bsrgemm_group_reduce_part2ILj256ELj8ELj8EdliEEvT4_PKT3_PS1_Pi,@function
_ZN9rocsparseL26bsrgemm_group_reduce_part2ILj256ELj8ELj8EdliEEvT4_PKT3_PS1_Pi: ; @_ZN9rocsparseL26bsrgemm_group_reduce_part2ILj256ELj8ELj8EdliEEvT4_PKT3_PS1_Pi
; %bb.0:
	s_mov_b32 s8, 0
	s_load_dword s7, s[4:5], 0x0
	s_load_dwordx2 s[2:3], s[4:5], 0x10
	s_mov_b32 s9, s8
	s_mov_b32 s10, s8
	;; [unrolled: 1-line block ×3, first 2 shown]
	v_pk_mov_b32 v[2:3], s[8:9], s[8:9] op_sel:[0,1]
	v_lshlrev_b32_e32 v1, 5, v0
	v_pk_mov_b32 v[4:5], s[10:11], s[10:11] op_sel:[0,1]
	ds_write_b128 v1, v[2:5]
	ds_write_b128 v1, v[2:5] offset:16
	v_lshl_or_b32 v2, s6, 8, v0
	s_waitcnt lgkmcnt(0)
	v_cmp_gt_i32_e32 vcc, s7, v2
	s_and_saveexec_b64 s[8:9], vcc
	s_cbranch_execz .LBB186_31
; %bb.1:
	s_load_dword s0, s[4:5], 0x20
	s_load_dwordx2 s[10:11], s[4:5], 0x8
	s_load_dwordx2 s[12:13], s[4:5], 0x18
	s_mov_b64 s[4:5], 0
	s_mov_b64 s[14:15], 0x80
	s_waitcnt lgkmcnt(0)
	s_lshl_b32 s33, s0, 8
	v_mov_b32_e32 v6, s11
	s_mov_b64 s[16:17], 0x100
	s_mov_b64 s[18:19], 0x200
	v_mov_b32_e32 v7, 7
	v_mov_b32_e32 v8, 6
	;; [unrolled: 1-line block ×8, first 2 shown]
	s_branch .LBB186_3
.LBB186_2:                              ;   in Loop: Header=BB186_3 Depth=1
	s_or_b64 exec, exec, s[0:1]
	v_add_u32_e32 v2, s33, v2
	v_cmp_le_i32_e32 vcc, s7, v2
	s_or_b64 s[4:5], vcc, s[4:5]
	s_andn2_b64 exec, exec, s[4:5]
	s_cbranch_execz .LBB186_31
.LBB186_3:                              ; =>This Inner Loop Header: Depth=1
	v_ashrrev_i32_e32 v3, 31, v2
	v_lshlrev_b64 v[4:5], 3, v[2:3]
	v_add_co_u32_e32 v4, vcc, s10, v4
	v_addc_co_u32_e32 v5, vcc, v6, v5, vcc
	global_load_dwordx4 v[16:19], v[4:5], off
	s_waitcnt vmcnt(0)
	v_sub_co_u32_e32 v4, vcc, v18, v16
	v_subb_co_u32_e32 v5, vcc, v19, v17, vcc
	v_cmp_lt_i64_e32 vcc, 8, v[4:5]
	s_and_saveexec_b64 s[0:1], vcc
	s_xor_b64 s[20:21], exec, s[0:1]
	s_cbranch_execz .LBB186_29
; %bb.4:                                ;   in Loop: Header=BB186_3 Depth=1
	v_cmp_lt_u64_e32 vcc, 16, v[4:5]
	s_and_saveexec_b64 s[0:1], vcc
	s_xor_b64 s[22:23], exec, s[0:1]
	s_cbranch_execz .LBB186_26
; %bb.5:                                ;   in Loop: Header=BB186_3 Depth=1
	v_cmp_lt_u64_e32 vcc, 32, v[4:5]
	s_and_saveexec_b64 s[0:1], vcc
	s_xor_b64 s[24:25], exec, s[0:1]
	s_cbranch_execz .LBB186_23
; %bb.6:                                ;   in Loop: Header=BB186_3 Depth=1
	v_cmp_lt_u64_e32 vcc, 64, v[4:5]
	s_and_saveexec_b64 s[0:1], vcc
	s_xor_b64 s[26:27], exec, s[0:1]
	s_cbranch_execz .LBB186_20
; %bb.7:                                ;   in Loop: Header=BB186_3 Depth=1
	v_cmp_lt_u64_e32 vcc, s[14:15], v[4:5]
	s_and_saveexec_b64 s[0:1], vcc
	s_xor_b64 s[28:29], exec, s[0:1]
	s_cbranch_execz .LBB186_17
; %bb.8:                                ;   in Loop: Header=BB186_3 Depth=1
	v_cmp_lt_u64_e32 vcc, s[16:17], v[4:5]
	s_and_saveexec_b64 s[0:1], vcc
	s_xor_b64 s[30:31], exec, s[0:1]
	s_cbranch_execz .LBB186_14
; %bb.9:                                ;   in Loop: Header=BB186_3 Depth=1
	v_cmp_lt_u64_e32 vcc, s[18:19], v[4:5]
	v_lshlrev_b64 v[4:5], 2, v[2:3]
	v_mov_b32_e32 v15, s13
	v_add_co_u32_e64 v4, s[0:1], s12, v4
	v_addc_co_u32_e64 v5, s[0:1], v15, v5, s[0:1]
	s_and_saveexec_b64 s[0:1], vcc
	s_xor_b64 s[0:1], exec, s[0:1]
	s_cbranch_execz .LBB186_11
; %bb.10:                               ;   in Loop: Header=BB186_3 Depth=1
	ds_read_b32 v15, v1 offset:28
	global_store_dword v[4:5], v7, off
                                        ; implicit-def: $vgpr4_vgpr5
	s_waitcnt lgkmcnt(0)
	v_add_u32_e32 v15, 1, v15
	ds_write_b32 v1, v15 offset:28
.LBB186_11:                             ;   in Loop: Header=BB186_3 Depth=1
	s_andn2_saveexec_b64 s[0:1], s[0:1]
	s_cbranch_execz .LBB186_13
; %bb.12:                               ;   in Loop: Header=BB186_3 Depth=1
	ds_read_b32 v15, v1 offset:24
	global_store_dword v[4:5], v8, off
	s_waitcnt lgkmcnt(0)
	v_add_u32_e32 v15, 1, v15
	ds_write_b32 v1, v15 offset:24
.LBB186_13:                             ;   in Loop: Header=BB186_3 Depth=1
	s_or_b64 exec, exec, s[0:1]
.LBB186_14:                             ;   in Loop: Header=BB186_3 Depth=1
	s_andn2_saveexec_b64 s[0:1], s[30:31]
	s_cbranch_execz .LBB186_16
; %bb.15:                               ;   in Loop: Header=BB186_3 Depth=1
	ds_read_b32 v15, v1 offset:20
	v_lshlrev_b64 v[4:5], 2, v[2:3]
	v_mov_b32_e32 v16, s13
	v_add_co_u32_e32 v4, vcc, s12, v4
	s_waitcnt lgkmcnt(0)
	v_add_u32_e32 v15, 1, v15
	v_addc_co_u32_e32 v5, vcc, v16, v5, vcc
	ds_write_b32 v1, v15 offset:20
	global_store_dword v[4:5], v9, off
.LBB186_16:                             ;   in Loop: Header=BB186_3 Depth=1
	s_or_b64 exec, exec, s[0:1]
.LBB186_17:                             ;   in Loop: Header=BB186_3 Depth=1
	s_andn2_saveexec_b64 s[0:1], s[28:29]
	s_cbranch_execz .LBB186_19
; %bb.18:                               ;   in Loop: Header=BB186_3 Depth=1
	ds_read_b32 v15, v1 offset:16
	v_lshlrev_b64 v[4:5], 2, v[2:3]
	v_mov_b32_e32 v16, s13
	v_add_co_u32_e32 v4, vcc, s12, v4
	s_waitcnt lgkmcnt(0)
	v_add_u32_e32 v15, 1, v15
	v_addc_co_u32_e32 v5, vcc, v16, v5, vcc
	ds_write_b32 v1, v15 offset:16
	global_store_dword v[4:5], v10, off
.LBB186_19:                             ;   in Loop: Header=BB186_3 Depth=1
	s_or_b64 exec, exec, s[0:1]
.LBB186_20:                             ;   in Loop: Header=BB186_3 Depth=1
	s_andn2_saveexec_b64 s[0:1], s[26:27]
	s_cbranch_execz .LBB186_22
; %bb.21:                               ;   in Loop: Header=BB186_3 Depth=1
	ds_read_b32 v15, v1 offset:12
	v_lshlrev_b64 v[4:5], 2, v[2:3]
	v_mov_b32_e32 v16, s13
	v_add_co_u32_e32 v4, vcc, s12, v4
	s_waitcnt lgkmcnt(0)
	v_add_u32_e32 v15, 1, v15
	v_addc_co_u32_e32 v5, vcc, v16, v5, vcc
	ds_write_b32 v1, v15 offset:12
	global_store_dword v[4:5], v11, off
.LBB186_22:                             ;   in Loop: Header=BB186_3 Depth=1
	s_or_b64 exec, exec, s[0:1]
.LBB186_23:                             ;   in Loop: Header=BB186_3 Depth=1
	s_andn2_saveexec_b64 s[0:1], s[24:25]
	s_cbranch_execz .LBB186_25
; %bb.24:                               ;   in Loop: Header=BB186_3 Depth=1
	ds_read_b32 v15, v1 offset:8
	v_lshlrev_b64 v[4:5], 2, v[2:3]
	v_mov_b32_e32 v16, s13
	v_add_co_u32_e32 v4, vcc, s12, v4
	s_waitcnt lgkmcnt(0)
	v_add_u32_e32 v15, 1, v15
	v_addc_co_u32_e32 v5, vcc, v16, v5, vcc
	ds_write_b32 v1, v15 offset:8
	global_store_dword v[4:5], v12, off
.LBB186_25:                             ;   in Loop: Header=BB186_3 Depth=1
	s_or_b64 exec, exec, s[0:1]
.LBB186_26:                             ;   in Loop: Header=BB186_3 Depth=1
	s_andn2_saveexec_b64 s[0:1], s[22:23]
	s_cbranch_execz .LBB186_28
; %bb.27:                               ;   in Loop: Header=BB186_3 Depth=1
	ds_read_b32 v15, v1 offset:4
	v_lshlrev_b64 v[4:5], 2, v[2:3]
	v_mov_b32_e32 v16, s13
	v_add_co_u32_e32 v4, vcc, s12, v4
	s_waitcnt lgkmcnt(0)
	v_add_u32_e32 v15, 1, v15
	v_addc_co_u32_e32 v5, vcc, v16, v5, vcc
	ds_write_b32 v1, v15 offset:4
	global_store_dword v[4:5], v13, off
.LBB186_28:                             ;   in Loop: Header=BB186_3 Depth=1
	s_or_b64 exec, exec, s[0:1]
.LBB186_29:                             ;   in Loop: Header=BB186_3 Depth=1
	s_andn2_saveexec_b64 s[0:1], s[20:21]
	s_cbranch_execz .LBB186_2
; %bb.30:                               ;   in Loop: Header=BB186_3 Depth=1
	ds_read_b32 v15, v1
	v_lshlrev_b64 v[4:5], 2, v[2:3]
	v_mov_b32_e32 v3, s13
	v_add_co_u32_e32 v4, vcc, s12, v4
	s_waitcnt lgkmcnt(0)
	v_add_u32_e32 v15, 1, v15
	v_addc_co_u32_e32 v5, vcc, v3, v5, vcc
	ds_write_b32 v1, v15
	global_store_dword v[4:5], v14, off
	s_branch .LBB186_2
.LBB186_31:
	s_or_b64 exec, exec, s[8:9]
	s_movk_i32 s0, 0x80
	v_cmp_gt_u32_e32 vcc, s0, v0
	s_waitcnt lgkmcnt(0)
	s_barrier
	s_barrier
	;; [unrolled: 1-line block ×3, first 2 shown]
	s_and_saveexec_b64 s[0:1], vcc
	s_cbranch_execz .LBB186_33
; %bb.32:
	ds_read_b128 v[2:5], v1 offset:4096
	ds_read_b128 v[6:9], v1
	ds_read_b128 v[10:13], v1 offset:16
	ds_read_b128 v[14:17], v1 offset:4112
	s_waitcnt lgkmcnt(2)
	v_add_u32_e32 v3, v7, v3
	v_add_u32_e32 v2, v6, v2
	v_add_u32_e32 v5, v9, v5
	v_add_u32_e32 v4, v8, v4
	ds_write_b128 v1, v[2:5]
	s_waitcnt lgkmcnt(1)
	v_add_u32_e32 v3, v11, v15
	v_add_u32_e32 v2, v10, v14
	v_add_u32_e32 v5, v13, v17
	v_add_u32_e32 v4, v12, v16
	ds_write_b128 v1, v[2:5] offset:16
.LBB186_33:
	s_or_b64 exec, exec, s[0:1]
	v_cmp_gt_u32_e32 vcc, 64, v0
	s_waitcnt lgkmcnt(0)
	s_barrier
	s_and_saveexec_b64 s[0:1], vcc
	s_cbranch_execz .LBB186_35
; %bb.34:
	ds_read_b128 v[2:5], v1 offset:2048
	ds_read_b128 v[6:9], v1
	ds_read_b128 v[10:13], v1 offset:16
	ds_read_b128 v[14:17], v1 offset:2064
	s_waitcnt lgkmcnt(2)
	v_add_u32_e32 v3, v7, v3
	v_add_u32_e32 v2, v6, v2
	v_add_u32_e32 v5, v9, v5
	v_add_u32_e32 v4, v8, v4
	ds_write_b128 v1, v[2:5]
	s_waitcnt lgkmcnt(1)
	v_add_u32_e32 v3, v11, v15
	v_add_u32_e32 v2, v10, v14
	v_add_u32_e32 v5, v13, v17
	v_add_u32_e32 v4, v12, v16
	ds_write_b128 v1, v[2:5] offset:16
.LBB186_35:
	s_or_b64 exec, exec, s[0:1]
	v_cmp_gt_u32_e32 vcc, 32, v0
	s_waitcnt lgkmcnt(0)
	s_barrier
	;; [unrolled: 24-line block ×4, first 2 shown]
	s_and_saveexec_b64 s[0:1], vcc
	s_cbranch_execz .LBB186_41
; %bb.40:
	ds_read_b128 v[2:5], v1 offset:256
	ds_read_b128 v[6:9], v1
	ds_read_b128 v[10:13], v1 offset:16
	ds_read_b128 v[14:17], v1 offset:272
	s_waitcnt lgkmcnt(2)
	v_add_u32_e32 v3, v7, v3
	v_add_u32_e32 v2, v6, v2
	;; [unrolled: 1-line block ×4, first 2 shown]
	ds_write_b128 v1, v[2:5]
	s_waitcnt lgkmcnt(1)
	v_add_u32_e32 v3, v11, v15
	v_add_u32_e32 v2, v10, v14
	;; [unrolled: 1-line block ×4, first 2 shown]
	ds_write_b128 v1, v[2:5] offset:16
.LBB186_41:
	s_or_b64 exec, exec, s[0:1]
	v_cmp_gt_u32_e64 s[0:1], 4, v0
	s_waitcnt lgkmcnt(0)
	s_barrier
	s_and_saveexec_b64 s[4:5], s[0:1]
	s_cbranch_execz .LBB186_43
; %bb.42:
	ds_read_b128 v[2:5], v1 offset:128
	ds_read_b128 v[6:9], v1
	ds_read_b128 v[10:13], v1 offset:16
	ds_read_b128 v[14:17], v1 offset:144
	s_waitcnt lgkmcnt(2)
	v_add_u32_e32 v3, v7, v3
	v_add_u32_e32 v2, v6, v2
	;; [unrolled: 1-line block ×4, first 2 shown]
	ds_write_b128 v1, v[2:5]
	s_waitcnt lgkmcnt(1)
	v_add_u32_e32 v3, v11, v15
	v_add_u32_e32 v2, v10, v14
	;; [unrolled: 1-line block ×4, first 2 shown]
	ds_write_b128 v1, v[2:5] offset:16
.LBB186_43:
	s_or_b64 exec, exec, s[4:5]
	v_cmp_gt_u32_e64 s[0:1], 2, v0
	s_waitcnt lgkmcnt(0)
	s_barrier
	s_and_saveexec_b64 s[4:5], s[0:1]
	s_cbranch_execz .LBB186_45
; %bb.44:
	ds_read_b128 v[2:5], v1 offset:64
	ds_read_b128 v[6:9], v1
	ds_read_b128 v[10:13], v1 offset:16
	ds_read_b128 v[14:17], v1 offset:80
	s_waitcnt lgkmcnt(2)
	v_add_u32_e32 v3, v7, v3
	v_add_u32_e32 v2, v6, v2
	;; [unrolled: 1-line block ×4, first 2 shown]
	ds_write_b128 v1, v[2:5]
	s_waitcnt lgkmcnt(1)
	v_add_u32_e32 v3, v11, v15
	v_add_u32_e32 v2, v10, v14
	;; [unrolled: 1-line block ×4, first 2 shown]
	ds_write_b128 v1, v[2:5] offset:16
.LBB186_45:
	s_or_b64 exec, exec, s[4:5]
	v_cmp_eq_u32_e64 s[0:1], 0, v0
	s_waitcnt lgkmcnt(0)
	s_barrier
	s_and_saveexec_b64 s[4:5], s[0:1]
	s_cbranch_execz .LBB186_47
; %bb.46:
	v_mov_b32_e32 v1, 0
	ds_read_b128 v[2:5], v1 offset:32
	ds_read_b128 v[6:9], v1
	ds_read_b128 v[10:13], v1 offset:16
	ds_read_b128 v[14:17], v1 offset:48
	s_waitcnt lgkmcnt(2)
	v_add_u32_e32 v3, v7, v3
	v_add_u32_e32 v2, v6, v2
	;; [unrolled: 1-line block ×4, first 2 shown]
	ds_write_b128 v1, v[2:5]
	s_waitcnt lgkmcnt(1)
	v_add_u32_e32 v3, v11, v15
	v_add_u32_e32 v2, v10, v14
	;; [unrolled: 1-line block ×4, first 2 shown]
	ds_write_b128 v1, v[2:5] offset:16
.LBB186_47:
	s_or_b64 exec, exec, s[4:5]
	s_waitcnt lgkmcnt(0)
	s_barrier
	s_and_saveexec_b64 s[0:1], vcc
	s_cbranch_execz .LBB186_49
; %bb.48:
	v_lshl_or_b32 v2, s6, 3, v0
	v_lshlrev_b32_e32 v0, 2, v0
	ds_read_b32 v4, v0
	v_mov_b32_e32 v3, 0
	v_lshlrev_b64 v[2:3], 2, v[2:3]
	v_mov_b32_e32 v1, s3
	v_add_co_u32_e32 v0, vcc, s2, v2
	v_addc_co_u32_e32 v1, vcc, v1, v3, vcc
	s_waitcnt lgkmcnt(0)
	global_store_dword v[0:1], v4, off
.LBB186_49:
	s_endpgm
	.section	.rodata,"a",@progbits
	.p2align	6, 0x0
	.amdhsa_kernel _ZN9rocsparseL26bsrgemm_group_reduce_part2ILj256ELj8ELj8EdliEEvT4_PKT3_PS1_Pi
		.amdhsa_group_segment_fixed_size 8192
		.amdhsa_private_segment_fixed_size 0
		.amdhsa_kernarg_size 288
		.amdhsa_user_sgpr_count 6
		.amdhsa_user_sgpr_private_segment_buffer 1
		.amdhsa_user_sgpr_dispatch_ptr 0
		.amdhsa_user_sgpr_queue_ptr 0
		.amdhsa_user_sgpr_kernarg_segment_ptr 1
		.amdhsa_user_sgpr_dispatch_id 0
		.amdhsa_user_sgpr_flat_scratch_init 0
		.amdhsa_user_sgpr_kernarg_preload_length 0
		.amdhsa_user_sgpr_kernarg_preload_offset 0
		.amdhsa_user_sgpr_private_segment_size 0
		.amdhsa_uses_dynamic_stack 0
		.amdhsa_system_sgpr_private_segment_wavefront_offset 0
		.amdhsa_system_sgpr_workgroup_id_x 1
		.amdhsa_system_sgpr_workgroup_id_y 0
		.amdhsa_system_sgpr_workgroup_id_z 0
		.amdhsa_system_sgpr_workgroup_info 0
		.amdhsa_system_vgpr_workitem_id 0
		.amdhsa_next_free_vgpr 20
		.amdhsa_next_free_sgpr 34
		.amdhsa_accum_offset 20
		.amdhsa_reserve_vcc 1
		.amdhsa_reserve_flat_scratch 0
		.amdhsa_float_round_mode_32 0
		.amdhsa_float_round_mode_16_64 0
		.amdhsa_float_denorm_mode_32 3
		.amdhsa_float_denorm_mode_16_64 3
		.amdhsa_dx10_clamp 1
		.amdhsa_ieee_mode 1
		.amdhsa_fp16_overflow 0
		.amdhsa_tg_split 0
		.amdhsa_exception_fp_ieee_invalid_op 0
		.amdhsa_exception_fp_denorm_src 0
		.amdhsa_exception_fp_ieee_div_zero 0
		.amdhsa_exception_fp_ieee_overflow 0
		.amdhsa_exception_fp_ieee_underflow 0
		.amdhsa_exception_fp_ieee_inexact 0
		.amdhsa_exception_int_div_zero 0
	.end_amdhsa_kernel
	.section	.text._ZN9rocsparseL26bsrgemm_group_reduce_part2ILj256ELj8ELj8EdliEEvT4_PKT3_PS1_Pi,"axG",@progbits,_ZN9rocsparseL26bsrgemm_group_reduce_part2ILj256ELj8ELj8EdliEEvT4_PKT3_PS1_Pi,comdat
.Lfunc_end186:
	.size	_ZN9rocsparseL26bsrgemm_group_reduce_part2ILj256ELj8ELj8EdliEEvT4_PKT3_PS1_Pi, .Lfunc_end186-_ZN9rocsparseL26bsrgemm_group_reduce_part2ILj256ELj8ELj8EdliEEvT4_PKT3_PS1_Pi
                                        ; -- End function
	.section	.AMDGPU.csdata,"",@progbits
; Kernel info:
; codeLenInByte = 1860
; NumSgprs: 38
; NumVgprs: 20
; NumAgprs: 0
; TotalNumVgprs: 20
; ScratchSize: 0
; MemoryBound: 0
; FloatMode: 240
; IeeeMode: 1
; LDSByteSize: 8192 bytes/workgroup (compile time only)
; SGPRBlocks: 4
; VGPRBlocks: 2
; NumSGPRsForWavesPerEU: 38
; NumVGPRsForWavesPerEU: 20
; AccumOffset: 20
; Occupancy: 8
; WaveLimiterHint : 0
; COMPUTE_PGM_RSRC2:SCRATCH_EN: 0
; COMPUTE_PGM_RSRC2:USER_SGPR: 6
; COMPUTE_PGM_RSRC2:TRAP_HANDLER: 0
; COMPUTE_PGM_RSRC2:TGID_X_EN: 1
; COMPUTE_PGM_RSRC2:TGID_Y_EN: 0
; COMPUTE_PGM_RSRC2:TGID_Z_EN: 0
; COMPUTE_PGM_RSRC2:TIDIG_COMP_CNT: 0
; COMPUTE_PGM_RSRC3_GFX90A:ACCUM_OFFSET: 4
; COMPUTE_PGM_RSRC3_GFX90A:TG_SPLIT: 0
	.section	.text._ZN9rocsparseL27bsrgemm_fill_wf_per_row_2x2ILj256ELj16ELj8ELj137ElidEEv20rocsparse_direction_T4_S2_PKS2_S4_NS_24const_host_device_scalarIT5_EEPKT3_S4_PKS6_SA_S4_SC_S7_SA_S4_SC_SA_PS2_PS6_21rocsparse_index_base_SF_SF_SF_bbb,"axG",@progbits,_ZN9rocsparseL27bsrgemm_fill_wf_per_row_2x2ILj256ELj16ELj8ELj137ElidEEv20rocsparse_direction_T4_S2_PKS2_S4_NS_24const_host_device_scalarIT5_EEPKT3_S4_PKS6_SA_S4_SC_S7_SA_S4_SC_SA_PS2_PS6_21rocsparse_index_base_SF_SF_SF_bbb,comdat
	.globl	_ZN9rocsparseL27bsrgemm_fill_wf_per_row_2x2ILj256ELj16ELj8ELj137ElidEEv20rocsparse_direction_T4_S2_PKS2_S4_NS_24const_host_device_scalarIT5_EEPKT3_S4_PKS6_SA_S4_SC_S7_SA_S4_SC_SA_PS2_PS6_21rocsparse_index_base_SF_SF_SF_bbb ; -- Begin function _ZN9rocsparseL27bsrgemm_fill_wf_per_row_2x2ILj256ELj16ELj8ELj137ElidEEv20rocsparse_direction_T4_S2_PKS2_S4_NS_24const_host_device_scalarIT5_EEPKT3_S4_PKS6_SA_S4_SC_S7_SA_S4_SC_SA_PS2_PS6_21rocsparse_index_base_SF_SF_SF_bbb
	.p2align	8
	.type	_ZN9rocsparseL27bsrgemm_fill_wf_per_row_2x2ILj256ELj16ELj8ELj137ElidEEv20rocsparse_direction_T4_S2_PKS2_S4_NS_24const_host_device_scalarIT5_EEPKT3_S4_PKS6_SA_S4_SC_S7_SA_S4_SC_SA_PS2_PS6_21rocsparse_index_base_SF_SF_SF_bbb,@function
_ZN9rocsparseL27bsrgemm_fill_wf_per_row_2x2ILj256ELj16ELj8ELj137ElidEEv20rocsparse_direction_T4_S2_PKS2_S4_NS_24const_host_device_scalarIT5_EEPKT3_S4_PKS6_SA_S4_SC_S7_SA_S4_SC_SA_PS2_PS6_21rocsparse_index_base_SF_SF_SF_bbb: ; @_ZN9rocsparseL27bsrgemm_fill_wf_per_row_2x2ILj256ELj16ELj8ELj137ElidEEv20rocsparse_direction_T4_S2_PKS2_S4_NS_24const_host_device_scalarIT5_EEPKT3_S4_PKS6_SA_S4_SC_S7_SA_S4_SC_SA_PS2_PS6_21rocsparse_index_base_SF_SF_SF_bbb
; %bb.0:
	s_load_dword s7, s[4:5], 0xa0
	s_load_dwordx2 s[2:3], s[4:5], 0x20
	s_load_dwordx2 s[0:1], s[4:5], 0x58
	s_waitcnt lgkmcnt(0)
	s_and_b32 s10, 1, s7
	s_bitcmp1_b32 s7, 16
	s_cselect_b64 s[8:9], -1, 0
	s_cmp_eq_u32 s10, 1
	s_cselect_b64 s[34:35], -1, 0
	s_and_b64 s[10:11], s[34:35], exec
	s_cselect_b32 s11, s3, 0
	s_cselect_b32 s10, s2, 0
	s_xor_b64 s[12:13], s[34:35], -1
	s_or_b64 s[12:13], s[12:13], s[8:9]
	s_and_b64 vcc, exec, s[12:13]
	v_pk_mov_b32 v[8:9], s[10:11], s[10:11] op_sel:[0,1]
	s_cbranch_vccnz .LBB187_2
; %bb.1:
	v_pk_mov_b32 v[2:3], s[2:3], s[2:3] op_sel:[0,1]
	flat_load_dwordx2 v[8:9], v[2:3]
.LBB187_2:
	s_bitcmp1_b32 s7, 8
	s_load_dwordx4 s[36:39], s[4:5], 0x90
	s_cselect_b64 s[2:3], -1, 0
	s_and_b64 s[10:11], s[2:3], exec
	s_cselect_b32 s11, s1, 0
	s_cselect_b32 s10, s0, 0
	s_xor_b64 s[12:13], s[2:3], -1
	s_or_b64 s[8:9], s[12:13], s[8:9]
	s_and_b64 vcc, exec, s[8:9]
	v_pk_mov_b32 v[4:5], s[10:11], s[10:11] op_sel:[0,1]
	s_cbranch_vccnz .LBB187_4
; %bb.3:
	v_pk_mov_b32 v[2:3], s[0:1], s[0:1] op_sel:[0,1]
	flat_load_dwordx2 v[4:5], v[2:3]
.LBB187_4:
	s_load_dwordx4 s[40:43], s[4:5], 0x80
	s_load_dwordx8 s[8:15], s[4:5], 0x60
	s_load_dwordx4 s[44:47], s[4:5], 0x48
	s_load_dwordx8 s[16:23], s[4:5], 0x0
	s_load_dwordx8 s[24:31], s[4:5], 0x28
	v_and_b32_e32 v32, 15, v0
	v_lshrrev_b32_e32 v2, 4, v0
	v_mov_b32_e32 v0, 0x1000
	v_lshl_or_b32 v33, v2, 5, v0
	v_cmp_gt_u32_e64 s[0:1], 8, v32
	s_and_saveexec_b64 s[4:5], s[0:1]
	s_cbranch_execz .LBB187_6
; %bb.5:
	v_lshl_add_u32 v0, v32, 2, v33
	s_waitcnt lgkmcnt(0)
	v_mov_b32_e32 v1, s18
	ds_write_b32 v0, v1
.LBB187_6:
	s_or_b64 exec, exec, s[4:5]
	v_lshlrev_b32_e32 v0, 3, v32
	v_lshl_or_b32 v6, v2, 8, v0
	v_mov_b32_e32 v0, 0
	v_or_b32_e32 v3, -16, v32
	s_mov_b64 s[4:5], 0
	v_mov_b32_e32 v1, v0
.LBB187_7:                              ; =>This Inner Loop Header: Depth=1
	v_add_co_u32_e32 v3, vcc, 16, v3
	s_xor_b64 s[48:49], vcc, -1
	s_and_b64 s[48:49], exec, s[48:49]
	ds_write_b64 v6, v[0:1]
	s_or_b64 s[4:5], s[48:49], s[4:5]
	v_add_u32_e32 v6, 0x80, v6
	s_andn2_b64 exec, exec, s[4:5]
	s_cbranch_execnz .LBB187_7
; %bb.8:
	s_or_b64 exec, exec, s[4:5]
	v_lshl_or_b32 v6, s6, 4, v2
	s_waitcnt lgkmcnt(0)
	v_cmp_gt_i32_e32 vcc, s17, v6
	s_barrier
	s_and_saveexec_b64 s[4:5], vcc
	s_cbranch_execz .LBB187_14
; %bb.9:
	s_cmp_eq_u64 s[22:23], 0
	s_cbranch_scc1 .LBB187_11
; %bb.10:
	s_load_dword s4, s[20:21], 0x0
	v_mov_b32_e32 v3, s23
	s_waitcnt lgkmcnt(0)
	v_add_u32_e32 v0, s4, v6
	v_ashrrev_i32_e32 v1, 31, v0
	v_lshlrev_b64 v[0:1], 2, v[0:1]
	v_add_co_u32_e32 v0, vcc, s22, v0
	v_addc_co_u32_e32 v1, vcc, v3, v1, vcc
	global_load_dword v6, v[0:1], off
.LBB187_11:
	v_lshlrev_b32_e32 v34, 8, v2
	s_andn2_b64 vcc, exec, s[34:35]
	s_waitcnt vmcnt(0)
	v_ashrrev_i32_e32 v7, 31, v6
	s_cbranch_vccz .LBB187_15
; %bb.12:
	s_andn2_b64 vcc, exec, s[2:3]
	s_cbranch_vccz .LBB187_70
.LBB187_13:
	s_and_b64 exec, exec, s[0:1]
	s_cbranch_execnz .LBB187_122
.LBB187_14:
	s_endpgm
.LBB187_15:
	v_lshlrev_b64 v[0:1], 3, v[6:7]
	v_mov_b32_e32 v2, s25
	v_add_co_u32_e32 v0, vcc, s24, v0
	v_addc_co_u32_e32 v1, vcc, v2, v1, vcc
	global_load_dwordx4 v[0:3], v[0:1], off
	v_subrev_co_u32_e32 v12, vcc, s36, v32
	v_subb_co_u32_e64 v13, s[4:5], 0, 0, vcc
	s_mov_b32 s17, 0
	s_waitcnt vmcnt(0)
	v_subrev_co_u32_e32 v10, vcc, s36, v2
	v_subbrev_co_u32_e32 v11, vcc, 0, v3, vcc
	v_add_co_u32_e32 v12, vcc, v0, v12
	v_addc_co_u32_e32 v13, vcc, v1, v13, vcc
	v_cmp_lt_i64_e32 vcc, v[12:13], v[10:11]
	s_and_saveexec_b64 s[4:5], vcc
	s_cbranch_execz .LBB187_69
; %bb.16:
	s_cmp_eq_u32 s16, 0
	s_mov_b32 s19, s37
	s_cselect_b32 s33, 1, 2
	s_cselect_b32 s56, 2, 1
	v_add_u32_e32 v35, 8, v34
	v_add_u32_e32 v36, 16, v34
	;; [unrolled: 1-line block ×3, first 2 shown]
	s_mov_b64 s[6:7], 0
	v_mov_b32_e32 v38, s27
	v_mov_b32_e32 v39, s31
	s_branch .LBB187_18
.LBB187_17:                             ;   in Loop: Header=BB187_18 Depth=1
	s_or_b64 exec, exec, s[20:21]
	v_add_co_u32_e32 v12, vcc, 16, v12
	v_addc_co_u32_e32 v13, vcc, 0, v13, vcc
	v_cmp_ge_i64_e32 vcc, v[12:13], v[10:11]
	s_or_b64 s[6:7], vcc, s[6:7]
	s_andn2_b64 exec, exec, s[6:7]
	s_cbranch_execz .LBB187_69
.LBB187_18:                             ; =>This Loop Header: Depth=1
                                        ;     Child Loop BB187_21 Depth 2
                                        ;       Child Loop BB187_23 Depth 3
                                        ;       Child Loop BB187_35 Depth 3
	;; [unrolled: 1-line block ×4, first 2 shown]
	v_lshlrev_b64 v[14:15], 2, v[12:13]
	v_add_co_u32_e32 v0, vcc, s26, v14
	v_addc_co_u32_e32 v1, vcc, v38, v15, vcc
	global_load_dword v0, v[0:1], off
	s_waitcnt vmcnt(0)
	v_subrev_u32_e32 v0, s36, v0
	v_ashrrev_i32_e32 v1, 31, v0
	v_lshlrev_b64 v[0:1], 3, v[0:1]
	v_add_co_u32_e32 v0, vcc, s30, v0
	v_addc_co_u32_e32 v1, vcc, v39, v1, vcc
	global_load_dwordx4 v[0:3], v[0:1], off
	s_waitcnt vmcnt(0)
	v_cmp_lt_i64_e32 vcc, v[0:1], v[2:3]
	s_and_saveexec_b64 s[20:21], vcc
	s_cbranch_execz .LBB187_17
; %bb.19:                               ;   in Loop: Header=BB187_18 Depth=1
	v_lshlrev_b64 v[18:19], 5, v[12:13]
	v_or_b32_e32 v17, 0, v15
	v_or_b32_e32 v16, s33, v14
	;; [unrolled: 1-line block ×4, first 2 shown]
	v_mov_b32_e32 v20, s29
	v_add_co_u32_e32 v18, vcc, s28, v18
	v_addc_co_u32_e32 v19, vcc, v20, v19, vcc
	v_lshlrev_b64 v[14:15], 3, v[14:15]
	v_add_co_u32_e32 v14, vcc, s28, v14
	v_addc_co_u32_e32 v15, vcc, v20, v15, vcc
	v_lshlrev_b64 v[16:17], 3, v[16:17]
	v_add_co_u32_e32 v16, vcc, s28, v16
	v_addc_co_u32_e32 v17, vcc, v20, v17, vcc
	global_load_dwordx2 v[20:21], v[18:19], off offset:24
	global_load_dwordx2 v[22:23], v[14:15], off
	global_load_dwordx2 v[24:25], v[16:17], off
	;; [unrolled: 1-line block ×3, first 2 shown]
	v_mov_b32_e32 v14, s17
	v_subrev_co_u32_e32 v2, vcc, s19, v2
	v_subb_co_u32_e32 v3, vcc, v3, v14, vcc
	v_subrev_co_u32_e32 v0, vcc, s19, v0
	v_subb_co_u32_e32 v1, vcc, v1, v14, vcc
	s_mov_b64 s[22:23], 0
	s_waitcnt vmcnt(3)
	v_mul_f64 v[14:15], v[8:9], v[20:21]
	s_waitcnt vmcnt(2)
	v_mul_f64 v[16:17], v[8:9], v[22:23]
	;; [unrolled: 2-line block ×4, first 2 shown]
	s_branch .LBB187_21
.LBB187_20:                             ;   in Loop: Header=BB187_21 Depth=2
	s_or_b64 exec, exec, s[24:25]
	v_add_co_u32_e32 v0, vcc, 1, v0
	v_addc_co_u32_e32 v1, vcc, 0, v1, vcc
	v_cmp_ge_i64_e32 vcc, v[0:1], v[2:3]
	s_or_b64 s[22:23], vcc, s[22:23]
	s_andn2_b64 exec, exec, s[22:23]
	s_cbranch_execz .LBB187_17
.LBB187_21:                             ;   Parent Loop BB187_18 Depth=1
                                        ; =>  This Loop Header: Depth=2
                                        ;       Child Loop BB187_23 Depth 3
                                        ;       Child Loop BB187_35 Depth 3
                                        ;       Child Loop BB187_47 Depth 3
                                        ;       Child Loop BB187_59 Depth 3
	v_lshlrev_b64 v[22:23], 2, v[0:1]
	v_mov_b32_e32 v25, s45
	v_add_co_u32_e32 v24, vcc, s44, v22
	v_addc_co_u32_e32 v25, vcc, v25, v23, vcc
	v_lshlrev_b64 v[26:27], 5, v[0:1]
	global_load_dword v42, v[24:25], off
	v_or_b32_e32 v25, 0, v23
	v_or_b32_e32 v24, s33, v22
	;; [unrolled: 1-line block ×4, first 2 shown]
	v_mov_b32_e32 v41, s47
	v_add_co_u32_e32 v30, vcc, s46, v26
	v_addc_co_u32_e32 v31, vcc, v41, v27, vcc
	v_lshlrev_b64 v[22:23], 3, v[22:23]
	v_add_co_u32_e32 v22, vcc, s46, v22
	v_lshlrev_b64 v[24:25], 3, v[24:25]
	v_addc_co_u32_e32 v23, vcc, v41, v23, vcc
	global_load_dwordx2 v[26:27], v[30:31], off
	global_load_dwordx2 v[28:29], v[22:23], off
	v_add_co_u32_e32 v40, vcc, s46, v24
	v_addc_co_u32_e32 v41, vcc, v41, v25, vcc
	global_load_dwordx2 v[22:23], v[40:41], off
	global_load_dwordx2 v[24:25], v[30:31], off offset:24
	s_mov_b64 s[24:25], 0
	s_waitcnt vmcnt(4)
	v_subrev_u32_e32 v40, s37, v42
	v_and_b32_e32 v41, 7, v40
	v_mov_b32_e32 v42, v41
	s_waitcnt vmcnt(2)
	v_mul_f64 v[30:31], v[20:21], v[28:29]
	v_fmac_f64_e32 v[30:31], v[18:19], v[26:27]
	s_branch .LBB187_23
.LBB187_22:                             ;   in Loop: Header=BB187_23 Depth=3
	s_or_b64 exec, exec, s[34:35]
	s_xor_b64 s[34:35], s[48:49], -1
	s_and_b64 s[34:35], exec, s[34:35]
	s_or_b64 s[24:25], s[34:35], s[24:25]
	s_andn2_b64 exec, exec, s[24:25]
	s_cbranch_execz .LBB187_33
.LBB187_23:                             ;   Parent Loop BB187_18 Depth=1
                                        ;     Parent Loop BB187_21 Depth=2
                                        ; =>    This Inner Loop Header: Depth=3
	v_lshl_add_u32 v43, v42, 2, v33
	ds_read_b32 v44, v43
                                        ; implicit-def: $sgpr48_sgpr49
	s_waitcnt lgkmcnt(0)
	v_cmp_ne_u32_e32 vcc, v44, v40
	s_and_saveexec_b64 s[34:35], vcc
	s_xor_b64 s[34:35], exec, s[34:35]
	s_cbranch_execz .LBB187_31
; %bb.24:                               ;   in Loop: Header=BB187_23 Depth=3
	v_cmp_ne_u32_e32 vcc, s18, v44
                                        ; implicit-def: $sgpr48_sgpr49
	s_and_saveexec_b64 s[50:51], vcc
	s_xor_b64 s[50:51], exec, s[50:51]
; %bb.25:                               ;   in Loop: Header=BB187_23 Depth=3
	v_add_u32_e32 v42, 1, v42
	v_and_b32_e32 v42, 7, v42
	s_mov_b64 s[48:49], -1
                                        ; implicit-def: $vgpr43
; %bb.26:                               ;   in Loop: Header=BB187_23 Depth=3
	s_andn2_saveexec_b64 s[50:51], s[50:51]
	s_cbranch_execz .LBB187_30
; %bb.27:                               ;   in Loop: Header=BB187_23 Depth=3
	v_mov_b32_e32 v44, s18
	ds_cmpst_rtn_b32 v43, v43, v44, v40
	s_mov_b64 s[52:53], -1
	s_waitcnt lgkmcnt(0)
	v_cmp_eq_u32_e32 vcc, s18, v43
	s_and_saveexec_b64 s[54:55], vcc
	s_cbranch_execz .LBB187_29
; %bb.28:                               ;   in Loop: Header=BB187_23 Depth=3
	v_lshl_add_u32 v43, v42, 5, v34
	ds_add_f64 v43, v[30:31]
	s_xor_b64 s[52:53], exec, -1
.LBB187_29:                             ;   in Loop: Header=BB187_23 Depth=3
	s_or_b64 exec, exec, s[54:55]
	s_andn2_b64 s[48:49], s[48:49], exec
	s_and_b64 s[52:53], s[52:53], exec
	s_or_b64 s[48:49], s[48:49], s[52:53]
.LBB187_30:                             ;   in Loop: Header=BB187_23 Depth=3
	s_or_b64 exec, exec, s[50:51]
	s_and_b64 s[48:49], s[48:49], exec
.LBB187_31:                             ;   in Loop: Header=BB187_23 Depth=3
	s_andn2_saveexec_b64 s[34:35], s[34:35]
	s_cbranch_execz .LBB187_22
; %bb.32:                               ;   in Loop: Header=BB187_23 Depth=3
	v_lshl_add_u32 v43, v42, 5, v34
	ds_add_f64 v43, v[30:31]
	s_andn2_b64 s[48:49], s[48:49], exec
	s_branch .LBB187_22
.LBB187_33:                             ;   in Loop: Header=BB187_21 Depth=2
	s_or_b64 exec, exec, s[24:25]
	s_waitcnt vmcnt(0)
	v_mul_f64 v[30:31], v[20:21], v[24:25]
	v_fmac_f64_e32 v[30:31], v[18:19], v[22:23]
	s_mov_b64 s[24:25], 0
	v_mov_b32_e32 v42, v41
	s_branch .LBB187_35
.LBB187_34:                             ;   in Loop: Header=BB187_35 Depth=3
	s_or_b64 exec, exec, s[34:35]
	s_xor_b64 s[34:35], s[48:49], -1
	s_and_b64 s[34:35], exec, s[34:35]
	s_or_b64 s[24:25], s[34:35], s[24:25]
	s_andn2_b64 exec, exec, s[24:25]
	s_cbranch_execz .LBB187_45
.LBB187_35:                             ;   Parent Loop BB187_18 Depth=1
                                        ;     Parent Loop BB187_21 Depth=2
                                        ; =>    This Inner Loop Header: Depth=3
	v_lshl_add_u32 v43, v42, 2, v33
	ds_read_b32 v44, v43
                                        ; implicit-def: $sgpr48_sgpr49
	s_waitcnt lgkmcnt(0)
	v_cmp_ne_u32_e32 vcc, v44, v40
	s_and_saveexec_b64 s[34:35], vcc
	s_xor_b64 s[34:35], exec, s[34:35]
	s_cbranch_execz .LBB187_43
; %bb.36:                               ;   in Loop: Header=BB187_35 Depth=3
	v_cmp_ne_u32_e32 vcc, s18, v44
                                        ; implicit-def: $sgpr48_sgpr49
	s_and_saveexec_b64 s[50:51], vcc
	s_xor_b64 s[50:51], exec, s[50:51]
; %bb.37:                               ;   in Loop: Header=BB187_35 Depth=3
	v_add_u32_e32 v42, 1, v42
	v_and_b32_e32 v42, 7, v42
	s_mov_b64 s[48:49], -1
                                        ; implicit-def: $vgpr43
; %bb.38:                               ;   in Loop: Header=BB187_35 Depth=3
	s_andn2_saveexec_b64 s[50:51], s[50:51]
	s_cbranch_execz .LBB187_42
; %bb.39:                               ;   in Loop: Header=BB187_35 Depth=3
	v_mov_b32_e32 v44, s18
	ds_cmpst_rtn_b32 v43, v43, v44, v40
	s_mov_b64 s[52:53], -1
	s_waitcnt lgkmcnt(0)
	v_cmp_eq_u32_e32 vcc, s18, v43
	s_and_saveexec_b64 s[54:55], vcc
	s_cbranch_execz .LBB187_41
; %bb.40:                               ;   in Loop: Header=BB187_35 Depth=3
	v_lshl_add_u32 v43, v42, 5, v35
	ds_add_f64 v43, v[30:31]
	s_xor_b64 s[52:53], exec, -1
.LBB187_41:                             ;   in Loop: Header=BB187_35 Depth=3
	s_or_b64 exec, exec, s[54:55]
	s_andn2_b64 s[48:49], s[48:49], exec
	s_and_b64 s[52:53], s[52:53], exec
	s_or_b64 s[48:49], s[48:49], s[52:53]
.LBB187_42:                             ;   in Loop: Header=BB187_35 Depth=3
	s_or_b64 exec, exec, s[50:51]
	s_and_b64 s[48:49], s[48:49], exec
.LBB187_43:                             ;   in Loop: Header=BB187_35 Depth=3
	s_andn2_saveexec_b64 s[34:35], s[34:35]
	s_cbranch_execz .LBB187_34
; %bb.44:                               ;   in Loop: Header=BB187_35 Depth=3
	v_lshl_add_u32 v43, v42, 5, v35
	ds_add_f64 v43, v[30:31]
	s_andn2_b64 s[48:49], s[48:49], exec
	s_branch .LBB187_34
.LBB187_45:                             ;   in Loop: Header=BB187_21 Depth=2
	s_or_b64 exec, exec, s[24:25]
	v_mul_f64 v[28:29], v[14:15], v[28:29]
	v_fmac_f64_e32 v[28:29], v[16:17], v[26:27]
	s_mov_b64 s[24:25], 0
	v_mov_b32_e32 v26, v41
	s_branch .LBB187_47
.LBB187_46:                             ;   in Loop: Header=BB187_47 Depth=3
	s_or_b64 exec, exec, s[34:35]
	s_xor_b64 s[34:35], s[48:49], -1
	s_and_b64 s[34:35], exec, s[34:35]
	s_or_b64 s[24:25], s[34:35], s[24:25]
	s_andn2_b64 exec, exec, s[24:25]
	s_cbranch_execz .LBB187_57
.LBB187_47:                             ;   Parent Loop BB187_18 Depth=1
                                        ;     Parent Loop BB187_21 Depth=2
                                        ; =>    This Inner Loop Header: Depth=3
	v_lshl_add_u32 v27, v26, 2, v33
	ds_read_b32 v30, v27
                                        ; implicit-def: $sgpr48_sgpr49
	s_waitcnt lgkmcnt(0)
	v_cmp_ne_u32_e32 vcc, v30, v40
	s_and_saveexec_b64 s[34:35], vcc
	s_xor_b64 s[34:35], exec, s[34:35]
	s_cbranch_execz .LBB187_55
; %bb.48:                               ;   in Loop: Header=BB187_47 Depth=3
	v_cmp_ne_u32_e32 vcc, s18, v30
                                        ; implicit-def: $sgpr48_sgpr49
	s_and_saveexec_b64 s[50:51], vcc
	s_xor_b64 s[50:51], exec, s[50:51]
; %bb.49:                               ;   in Loop: Header=BB187_47 Depth=3
	v_add_u32_e32 v26, 1, v26
	v_and_b32_e32 v26, 7, v26
	s_mov_b64 s[48:49], -1
                                        ; implicit-def: $vgpr27
; %bb.50:                               ;   in Loop: Header=BB187_47 Depth=3
	s_andn2_saveexec_b64 s[50:51], s[50:51]
	s_cbranch_execz .LBB187_54
; %bb.51:                               ;   in Loop: Header=BB187_47 Depth=3
	v_mov_b32_e32 v30, s18
	ds_cmpst_rtn_b32 v27, v27, v30, v40
	s_mov_b64 s[52:53], -1
	s_waitcnt lgkmcnt(0)
	v_cmp_eq_u32_e32 vcc, s18, v27
	s_and_saveexec_b64 s[54:55], vcc
	s_cbranch_execz .LBB187_53
; %bb.52:                               ;   in Loop: Header=BB187_47 Depth=3
	v_lshl_add_u32 v27, v26, 5, v36
	ds_add_f64 v27, v[28:29]
	s_xor_b64 s[52:53], exec, -1
.LBB187_53:                             ;   in Loop: Header=BB187_47 Depth=3
	s_or_b64 exec, exec, s[54:55]
	s_andn2_b64 s[48:49], s[48:49], exec
	s_and_b64 s[52:53], s[52:53], exec
	s_or_b64 s[48:49], s[48:49], s[52:53]
.LBB187_54:                             ;   in Loop: Header=BB187_47 Depth=3
	s_or_b64 exec, exec, s[50:51]
	s_and_b64 s[48:49], s[48:49], exec
.LBB187_55:                             ;   in Loop: Header=BB187_47 Depth=3
	s_andn2_saveexec_b64 s[34:35], s[34:35]
	s_cbranch_execz .LBB187_46
; %bb.56:                               ;   in Loop: Header=BB187_47 Depth=3
	v_lshl_add_u32 v27, v26, 5, v36
	ds_add_f64 v27, v[28:29]
	s_andn2_b64 s[48:49], s[48:49], exec
	s_branch .LBB187_46
.LBB187_57:                             ;   in Loop: Header=BB187_21 Depth=2
	s_or_b64 exec, exec, s[24:25]
	v_mul_f64 v[24:25], v[14:15], v[24:25]
	v_fmac_f64_e32 v[24:25], v[16:17], v[22:23]
	s_mov_b64 s[24:25], 0
	s_branch .LBB187_59
.LBB187_58:                             ;   in Loop: Header=BB187_59 Depth=3
	s_or_b64 exec, exec, s[34:35]
	s_xor_b64 s[34:35], s[48:49], -1
	s_and_b64 s[34:35], exec, s[34:35]
	s_or_b64 s[24:25], s[34:35], s[24:25]
	s_andn2_b64 exec, exec, s[24:25]
	s_cbranch_execz .LBB187_20
.LBB187_59:                             ;   Parent Loop BB187_18 Depth=1
                                        ;     Parent Loop BB187_21 Depth=2
                                        ; =>    This Inner Loop Header: Depth=3
	v_lshl_add_u32 v22, v41, 2, v33
	ds_read_b32 v23, v22
                                        ; implicit-def: $sgpr48_sgpr49
	s_waitcnt lgkmcnt(0)
	v_cmp_ne_u32_e32 vcc, v23, v40
	s_and_saveexec_b64 s[34:35], vcc
	s_xor_b64 s[34:35], exec, s[34:35]
	s_cbranch_execz .LBB187_67
; %bb.60:                               ;   in Loop: Header=BB187_59 Depth=3
	v_cmp_ne_u32_e32 vcc, s18, v23
                                        ; implicit-def: $sgpr48_sgpr49
	s_and_saveexec_b64 s[50:51], vcc
	s_xor_b64 s[50:51], exec, s[50:51]
; %bb.61:                               ;   in Loop: Header=BB187_59 Depth=3
	v_add_u32_e32 v22, 1, v41
	v_and_b32_e32 v41, 7, v22
	s_mov_b64 s[48:49], -1
                                        ; implicit-def: $vgpr22
; %bb.62:                               ;   in Loop: Header=BB187_59 Depth=3
	s_andn2_saveexec_b64 s[50:51], s[50:51]
	s_cbranch_execz .LBB187_66
; %bb.63:                               ;   in Loop: Header=BB187_59 Depth=3
	v_mov_b32_e32 v23, s18
	ds_cmpst_rtn_b32 v22, v22, v23, v40
	s_mov_b64 s[52:53], -1
	s_waitcnt lgkmcnt(0)
	v_cmp_eq_u32_e32 vcc, s18, v22
	s_and_saveexec_b64 s[54:55], vcc
	s_cbranch_execz .LBB187_65
; %bb.64:                               ;   in Loop: Header=BB187_59 Depth=3
	v_lshl_add_u32 v22, v41, 5, v37
	ds_add_f64 v22, v[24:25]
	s_xor_b64 s[52:53], exec, -1
.LBB187_65:                             ;   in Loop: Header=BB187_59 Depth=3
	s_or_b64 exec, exec, s[54:55]
	s_andn2_b64 s[48:49], s[48:49], exec
	s_and_b64 s[52:53], s[52:53], exec
	s_or_b64 s[48:49], s[48:49], s[52:53]
.LBB187_66:                             ;   in Loop: Header=BB187_59 Depth=3
	s_or_b64 exec, exec, s[50:51]
	s_and_b64 s[48:49], s[48:49], exec
.LBB187_67:                             ;   in Loop: Header=BB187_59 Depth=3
	s_andn2_saveexec_b64 s[34:35], s[34:35]
	s_cbranch_execz .LBB187_58
; %bb.68:                               ;   in Loop: Header=BB187_59 Depth=3
	v_lshl_add_u32 v22, v41, 5, v37
	ds_add_f64 v22, v[24:25]
	s_andn2_b64 s[48:49], s[48:49], exec
	s_branch .LBB187_58
.LBB187_69:
	s_or_b64 exec, exec, s[4:5]
	s_andn2_b64 vcc, exec, s[2:3]
	s_waitcnt lgkmcnt(0)
	s_cbranch_vccnz .LBB187_13
.LBB187_70:
	v_lshlrev_b64 v[0:1], 3, v[6:7]
	v_mov_b32_e32 v2, s9
	v_add_co_u32_e32 v0, vcc, s8, v0
	v_addc_co_u32_e32 v1, vcc, v2, v1, vcc
	global_load_dwordx4 v[8:11], v[0:1], off
	v_subrev_co_u32_e32 v2, vcc, s39, v32
	v_subb_co_u32_e64 v3, s[2:3], 0, 0, vcc
	s_waitcnt vmcnt(0)
	v_subrev_co_u32_e32 v0, vcc, s39, v10
	v_subbrev_co_u32_e32 v1, vcc, 0, v11, vcc
	v_add_co_u32_e32 v2, vcc, v8, v2
	v_addc_co_u32_e32 v3, vcc, v9, v3, vcc
	v_cmp_lt_i64_e32 vcc, v[2:3], v[0:1]
	s_and_saveexec_b64 s[2:3], vcc
	s_cbranch_execz .LBB187_121
; %bb.71:
	s_cmp_eq_u32 s16, 0
	s_cselect_b32 s17, 1, 2
	s_cselect_b32 s19, 2, 1
	v_add_u32_e32 v16, 8, v34
	v_add_u32_e32 v17, 16, v34
	;; [unrolled: 1-line block ×3, first 2 shown]
	s_mov_b64 s[4:5], 0
	v_mov_b32_e32 v19, s13
	v_mov_b32_e32 v20, s11
	s_branch .LBB187_73
.LBB187_72:                             ;   in Loop: Header=BB187_73 Depth=1
	s_or_b64 exec, exec, s[6:7]
	v_add_co_u32_e32 v2, vcc, 16, v2
	v_addc_co_u32_e32 v3, vcc, 0, v3, vcc
	v_cmp_ge_i64_e32 vcc, v[2:3], v[0:1]
	s_or_b64 s[4:5], vcc, s[4:5]
	s_andn2_b64 exec, exec, s[4:5]
	s_cbranch_execz .LBB187_121
.LBB187_73:                             ; =>This Loop Header: Depth=1
                                        ;     Child Loop BB187_75 Depth 2
                                        ;     Child Loop BB187_87 Depth 2
	;; [unrolled: 1-line block ×4, first 2 shown]
	v_lshlrev_b64 v[8:9], 2, v[2:3]
	v_lshlrev_b64 v[14:15], 5, v[2:3]
	v_or_b32_e32 v11, 0, v9
	v_or_b32_e32 v10, s17, v8
	v_add_co_u32_e32 v14, vcc, s12, v14
	v_addc_co_u32_e32 v15, vcc, v19, v15, vcc
	v_lshlrev_b64 v[10:11], 3, v[10:11]
	v_add_co_u32_e32 v24, vcc, s12, v10
	v_addc_co_u32_e32 v25, vcc, v19, v11, vcc
	v_or_b32_e32 v13, 0, v9
	v_or_b32_e32 v12, s19, v8
	v_add_co_u32_e32 v8, vcc, s10, v8
	v_lshlrev_b64 v[10:11], 3, v[12:13]
	v_addc_co_u32_e32 v9, vcc, v20, v9, vcc
	global_load_dword v21, v[8:9], off
	v_add_co_u32_e32 v26, vcc, s12, v10
	global_load_dwordx2 v[22:23], v[14:15], off
	v_addc_co_u32_e32 v27, vcc, v19, v11, vcc
	global_load_dwordx2 v[10:11], v[26:27], off
	global_load_dwordx2 v[12:13], v[24:25], off
	global_load_dwordx2 v[8:9], v[14:15], off offset:24
	s_mov_b64 s[6:7], 0
	s_waitcnt vmcnt(4)
	v_subrev_u32_e32 v21, s39, v21
	s_waitcnt vmcnt(3)
	v_mul_f64 v[14:15], v[4:5], v[22:23]
	v_and_b32_e32 v22, 7, v21
	v_mov_b32_e32 v23, v22
	s_branch .LBB187_75
.LBB187_74:                             ;   in Loop: Header=BB187_75 Depth=2
	s_or_b64 exec, exec, s[8:9]
	s_xor_b64 s[8:9], s[20:21], -1
	s_and_b64 s[8:9], exec, s[8:9]
	s_or_b64 s[6:7], s[8:9], s[6:7]
	s_andn2_b64 exec, exec, s[6:7]
	s_cbranch_execz .LBB187_85
.LBB187_75:                             ;   Parent Loop BB187_73 Depth=1
                                        ; =>  This Inner Loop Header: Depth=2
	v_lshl_add_u32 v24, v23, 2, v33
	ds_read_b32 v25, v24
                                        ; implicit-def: $sgpr20_sgpr21
	s_waitcnt lgkmcnt(0)
	v_cmp_ne_u32_e32 vcc, v25, v21
	s_and_saveexec_b64 s[8:9], vcc
	s_xor_b64 s[8:9], exec, s[8:9]
	s_cbranch_execz .LBB187_83
; %bb.76:                               ;   in Loop: Header=BB187_75 Depth=2
	v_cmp_ne_u32_e32 vcc, s18, v25
                                        ; implicit-def: $sgpr20_sgpr21
	s_and_saveexec_b64 s[22:23], vcc
	s_xor_b64 s[22:23], exec, s[22:23]
; %bb.77:                               ;   in Loop: Header=BB187_75 Depth=2
	v_add_u32_e32 v23, 1, v23
	v_and_b32_e32 v23, 7, v23
	s_mov_b64 s[20:21], -1
                                        ; implicit-def: $vgpr24
; %bb.78:                               ;   in Loop: Header=BB187_75 Depth=2
	s_andn2_saveexec_b64 s[22:23], s[22:23]
	s_cbranch_execz .LBB187_82
; %bb.79:                               ;   in Loop: Header=BB187_75 Depth=2
	v_mov_b32_e32 v25, s18
	ds_cmpst_rtn_b32 v24, v24, v25, v21
	s_mov_b64 s[24:25], -1
	s_waitcnt lgkmcnt(0)
	v_cmp_eq_u32_e32 vcc, s18, v24
	s_and_saveexec_b64 s[26:27], vcc
	s_cbranch_execz .LBB187_81
; %bb.80:                               ;   in Loop: Header=BB187_75 Depth=2
	v_lshl_add_u32 v24, v23, 5, v34
	ds_add_f64 v24, v[14:15]
	s_xor_b64 s[24:25], exec, -1
.LBB187_81:                             ;   in Loop: Header=BB187_75 Depth=2
	s_or_b64 exec, exec, s[26:27]
	s_andn2_b64 s[20:21], s[20:21], exec
	s_and_b64 s[24:25], s[24:25], exec
	s_or_b64 s[20:21], s[20:21], s[24:25]
.LBB187_82:                             ;   in Loop: Header=BB187_75 Depth=2
	s_or_b64 exec, exec, s[22:23]
	s_and_b64 s[20:21], s[20:21], exec
.LBB187_83:                             ;   in Loop: Header=BB187_75 Depth=2
	s_andn2_saveexec_b64 s[8:9], s[8:9]
	s_cbranch_execz .LBB187_74
; %bb.84:                               ;   in Loop: Header=BB187_75 Depth=2
	v_lshl_add_u32 v24, v23, 5, v34
	ds_add_f64 v24, v[14:15]
	s_andn2_b64 s[20:21], s[20:21], exec
	s_branch .LBB187_74
.LBB187_85:                             ;   in Loop: Header=BB187_73 Depth=1
	s_or_b64 exec, exec, s[6:7]
	s_waitcnt vmcnt(1)
	v_mul_f64 v[12:13], v[4:5], v[12:13]
	s_mov_b64 s[6:7], 0
	v_mov_b32_e32 v14, v22
	s_branch .LBB187_87
.LBB187_86:                             ;   in Loop: Header=BB187_87 Depth=2
	s_or_b64 exec, exec, s[8:9]
	s_xor_b64 s[8:9], s[20:21], -1
	s_and_b64 s[8:9], exec, s[8:9]
	s_or_b64 s[6:7], s[8:9], s[6:7]
	s_andn2_b64 exec, exec, s[6:7]
	s_cbranch_execz .LBB187_97
.LBB187_87:                             ;   Parent Loop BB187_73 Depth=1
                                        ; =>  This Inner Loop Header: Depth=2
	v_lshl_add_u32 v15, v14, 2, v33
	ds_read_b32 v23, v15
                                        ; implicit-def: $sgpr20_sgpr21
	s_waitcnt lgkmcnt(0)
	v_cmp_ne_u32_e32 vcc, v23, v21
	s_and_saveexec_b64 s[8:9], vcc
	s_xor_b64 s[8:9], exec, s[8:9]
	s_cbranch_execz .LBB187_95
; %bb.88:                               ;   in Loop: Header=BB187_87 Depth=2
	v_cmp_ne_u32_e32 vcc, s18, v23
                                        ; implicit-def: $sgpr20_sgpr21
	s_and_saveexec_b64 s[22:23], vcc
	s_xor_b64 s[22:23], exec, s[22:23]
; %bb.89:                               ;   in Loop: Header=BB187_87 Depth=2
	v_add_u32_e32 v14, 1, v14
	v_and_b32_e32 v14, 7, v14
	s_mov_b64 s[20:21], -1
                                        ; implicit-def: $vgpr15
; %bb.90:                               ;   in Loop: Header=BB187_87 Depth=2
	s_andn2_saveexec_b64 s[22:23], s[22:23]
	s_cbranch_execz .LBB187_94
; %bb.91:                               ;   in Loop: Header=BB187_87 Depth=2
	v_mov_b32_e32 v23, s18
	ds_cmpst_rtn_b32 v15, v15, v23, v21
	s_mov_b64 s[24:25], -1
	s_waitcnt lgkmcnt(0)
	v_cmp_eq_u32_e32 vcc, s18, v15
	s_and_saveexec_b64 s[26:27], vcc
	s_cbranch_execz .LBB187_93
; %bb.92:                               ;   in Loop: Header=BB187_87 Depth=2
	v_lshl_add_u32 v15, v14, 5, v16
	ds_add_f64 v15, v[12:13]
	s_xor_b64 s[24:25], exec, -1
.LBB187_93:                             ;   in Loop: Header=BB187_87 Depth=2
	s_or_b64 exec, exec, s[26:27]
	s_andn2_b64 s[20:21], s[20:21], exec
	s_and_b64 s[24:25], s[24:25], exec
	s_or_b64 s[20:21], s[20:21], s[24:25]
.LBB187_94:                             ;   in Loop: Header=BB187_87 Depth=2
	s_or_b64 exec, exec, s[22:23]
	s_and_b64 s[20:21], s[20:21], exec
.LBB187_95:                             ;   in Loop: Header=BB187_87 Depth=2
	s_andn2_saveexec_b64 s[8:9], s[8:9]
	s_cbranch_execz .LBB187_86
; %bb.96:                               ;   in Loop: Header=BB187_87 Depth=2
	v_lshl_add_u32 v15, v14, 5, v16
	ds_add_f64 v15, v[12:13]
	s_andn2_b64 s[20:21], s[20:21], exec
	s_branch .LBB187_86
.LBB187_97:                             ;   in Loop: Header=BB187_73 Depth=1
	s_or_b64 exec, exec, s[6:7]
	v_mul_f64 v[10:11], v[4:5], v[10:11]
	s_mov_b64 s[6:7], 0
	v_mov_b32_e32 v12, v22
	s_branch .LBB187_99
.LBB187_98:                             ;   in Loop: Header=BB187_99 Depth=2
	s_or_b64 exec, exec, s[8:9]
	s_xor_b64 s[8:9], s[20:21], -1
	s_and_b64 s[8:9], exec, s[8:9]
	s_or_b64 s[6:7], s[8:9], s[6:7]
	s_andn2_b64 exec, exec, s[6:7]
	s_cbranch_execz .LBB187_109
.LBB187_99:                             ;   Parent Loop BB187_73 Depth=1
                                        ; =>  This Inner Loop Header: Depth=2
	v_lshl_add_u32 v13, v12, 2, v33
	ds_read_b32 v14, v13
                                        ; implicit-def: $sgpr20_sgpr21
	s_waitcnt lgkmcnt(0)
	v_cmp_ne_u32_e32 vcc, v14, v21
	s_and_saveexec_b64 s[8:9], vcc
	s_xor_b64 s[8:9], exec, s[8:9]
	s_cbranch_execz .LBB187_107
; %bb.100:                              ;   in Loop: Header=BB187_99 Depth=2
	v_cmp_ne_u32_e32 vcc, s18, v14
                                        ; implicit-def: $sgpr20_sgpr21
	s_and_saveexec_b64 s[22:23], vcc
	s_xor_b64 s[22:23], exec, s[22:23]
; %bb.101:                              ;   in Loop: Header=BB187_99 Depth=2
	v_add_u32_e32 v12, 1, v12
	v_and_b32_e32 v12, 7, v12
	s_mov_b64 s[20:21], -1
                                        ; implicit-def: $vgpr13
; %bb.102:                              ;   in Loop: Header=BB187_99 Depth=2
	s_andn2_saveexec_b64 s[22:23], s[22:23]
	s_cbranch_execz .LBB187_106
; %bb.103:                              ;   in Loop: Header=BB187_99 Depth=2
	v_mov_b32_e32 v14, s18
	ds_cmpst_rtn_b32 v13, v13, v14, v21
	s_mov_b64 s[24:25], -1
	s_waitcnt lgkmcnt(0)
	v_cmp_eq_u32_e32 vcc, s18, v13
	s_and_saveexec_b64 s[26:27], vcc
	s_cbranch_execz .LBB187_105
; %bb.104:                              ;   in Loop: Header=BB187_99 Depth=2
	v_lshl_add_u32 v13, v12, 5, v17
	ds_add_f64 v13, v[10:11]
	s_xor_b64 s[24:25], exec, -1
.LBB187_105:                            ;   in Loop: Header=BB187_99 Depth=2
	s_or_b64 exec, exec, s[26:27]
	s_andn2_b64 s[20:21], s[20:21], exec
	s_and_b64 s[24:25], s[24:25], exec
	s_or_b64 s[20:21], s[20:21], s[24:25]
.LBB187_106:                            ;   in Loop: Header=BB187_99 Depth=2
	s_or_b64 exec, exec, s[22:23]
	s_and_b64 s[20:21], s[20:21], exec
.LBB187_107:                            ;   in Loop: Header=BB187_99 Depth=2
	s_andn2_saveexec_b64 s[8:9], s[8:9]
	s_cbranch_execz .LBB187_98
; %bb.108:                              ;   in Loop: Header=BB187_99 Depth=2
	v_lshl_add_u32 v13, v12, 5, v17
	ds_add_f64 v13, v[10:11]
	s_andn2_b64 s[20:21], s[20:21], exec
	s_branch .LBB187_98
.LBB187_109:                            ;   in Loop: Header=BB187_73 Depth=1
	s_or_b64 exec, exec, s[6:7]
	s_waitcnt vmcnt(0)
	v_mul_f64 v[8:9], v[4:5], v[8:9]
	s_mov_b64 s[6:7], 0
	s_branch .LBB187_111
.LBB187_110:                            ;   in Loop: Header=BB187_111 Depth=2
	s_or_b64 exec, exec, s[8:9]
	s_xor_b64 s[8:9], s[20:21], -1
	s_and_b64 s[8:9], exec, s[8:9]
	s_or_b64 s[6:7], s[8:9], s[6:7]
	s_andn2_b64 exec, exec, s[6:7]
	s_cbranch_execz .LBB187_72
.LBB187_111:                            ;   Parent Loop BB187_73 Depth=1
                                        ; =>  This Inner Loop Header: Depth=2
	v_lshl_add_u32 v10, v22, 2, v33
	ds_read_b32 v11, v10
                                        ; implicit-def: $sgpr20_sgpr21
	s_waitcnt lgkmcnt(0)
	v_cmp_ne_u32_e32 vcc, v11, v21
	s_and_saveexec_b64 s[8:9], vcc
	s_xor_b64 s[8:9], exec, s[8:9]
	s_cbranch_execz .LBB187_119
; %bb.112:                              ;   in Loop: Header=BB187_111 Depth=2
	v_cmp_ne_u32_e32 vcc, s18, v11
                                        ; implicit-def: $sgpr20_sgpr21
	s_and_saveexec_b64 s[22:23], vcc
	s_xor_b64 s[22:23], exec, s[22:23]
; %bb.113:                              ;   in Loop: Header=BB187_111 Depth=2
	v_add_u32_e32 v10, 1, v22
	v_and_b32_e32 v22, 7, v10
	s_mov_b64 s[20:21], -1
                                        ; implicit-def: $vgpr10
; %bb.114:                              ;   in Loop: Header=BB187_111 Depth=2
	s_andn2_saveexec_b64 s[22:23], s[22:23]
	s_cbranch_execz .LBB187_118
; %bb.115:                              ;   in Loop: Header=BB187_111 Depth=2
	v_mov_b32_e32 v11, s18
	ds_cmpst_rtn_b32 v10, v10, v11, v21
	s_mov_b64 s[24:25], -1
	s_waitcnt lgkmcnt(0)
	v_cmp_eq_u32_e32 vcc, s18, v10
	s_and_saveexec_b64 s[26:27], vcc
	s_cbranch_execz .LBB187_117
; %bb.116:                              ;   in Loop: Header=BB187_111 Depth=2
	v_lshl_add_u32 v10, v22, 5, v18
	ds_add_f64 v10, v[8:9]
	s_xor_b64 s[24:25], exec, -1
.LBB187_117:                            ;   in Loop: Header=BB187_111 Depth=2
	s_or_b64 exec, exec, s[26:27]
	s_andn2_b64 s[20:21], s[20:21], exec
	s_and_b64 s[24:25], s[24:25], exec
	s_or_b64 s[20:21], s[20:21], s[24:25]
.LBB187_118:                            ;   in Loop: Header=BB187_111 Depth=2
	s_or_b64 exec, exec, s[22:23]
	s_and_b64 s[20:21], s[20:21], exec
.LBB187_119:                            ;   in Loop: Header=BB187_111 Depth=2
	s_andn2_saveexec_b64 s[8:9], s[8:9]
	s_cbranch_execz .LBB187_110
; %bb.120:                              ;   in Loop: Header=BB187_111 Depth=2
	v_lshl_add_u32 v10, v22, 5, v18
	ds_add_f64 v10, v[8:9]
	s_andn2_b64 s[20:21], s[20:21], exec
	s_branch .LBB187_110
.LBB187_121:
	s_or_b64 exec, exec, s[2:3]
	s_waitcnt lgkmcnt(0)
	s_and_b64 exec, exec, s[0:1]
	s_cbranch_execz .LBB187_14
.LBB187_122:
	v_lshl_add_u32 v0, v32, 2, v33
	ds_read_b32 v0, v0
	s_waitcnt lgkmcnt(0)
	v_cmp_gt_i32_e32 vcc, s18, v0
	s_and_b64 exec, exec, vcc
	s_cbranch_execz .LBB187_14
; %bb.123:
	v_lshlrev_b64 v[2:3], 3, v[6:7]
	v_mov_b32_e32 v1, s15
	v_add_co_u32_e32 v2, vcc, s14, v2
	v_addc_co_u32_e32 v3, vcc, v1, v3, vcc
	global_load_dwordx2 v[14:15], v[2:3], off
	ds_read_b128 v[2:5], v33
	ds_read_b128 v[6:9], v33 offset:16
	v_lshl_add_u32 v10, v32, 5, v34
	ds_read2_b64 v[10:13], v10 offset1:3
	s_cmp_eq_u32 s16, 0
	s_waitcnt lgkmcnt(2)
	v_cmp_gt_i32_e32 vcc, v0, v2
	v_cndmask_b32_e64 v21, 0, 1, vcc
	v_cmp_gt_i32_e32 vcc, v0, v3
	v_cndmask_b32_e64 v22, 0, 1, vcc
	;; [unrolled: 2-line block ×4, first 2 shown]
	s_waitcnt lgkmcnt(1)
	v_cmp_gt_i32_e32 vcc, v0, v6
	v_cndmask_b32_e64 v6, 0, 1, vcc
	v_cmp_gt_i32_e32 vcc, v0, v7
	v_cndmask_b32_e64 v7, 0, 1, vcc
	;; [unrolled: 2-line block ×4, first 2 shown]
	v_lshlrev_b32_e32 v1, 2, v32
	s_cselect_b32 s0, 1, 2
	s_cselect_b32 s1, 2, 1
	v_or_b32_e32 v19, s0, v1
	v_or_b32_e32 v1, s1, v1
	v_lshl_add_u32 v19, v19, 3, v34
	v_add_u32_e32 v16, s38, v0
	v_lshl_add_u32 v20, v1, 3, v34
	s_waitcnt lgkmcnt(0)
	v_mov_b32_e32 v0, v10
	v_mov_b32_e32 v1, v11
	ds_read_b64 v[2:3], v19
	ds_read_b64 v[10:11], v20
	v_mov_b32_e32 v17, s41
	v_mov_b32_e32 v18, s43
	s_waitcnt vmcnt(0)
	v_subrev_co_u32_e32 v14, vcc, s38, v14
	v_subbrev_co_u32_e32 v15, vcc, 0, v15, vcc
	v_add_co_u32_e32 v14, vcc, v14, v21
	v_addc_co_u32_e32 v15, vcc, 0, v15, vcc
	v_add_co_u32_e32 v14, vcc, v14, v22
	v_addc_co_u32_e32 v15, vcc, 0, v15, vcc
	;; [unrolled: 2-line block ×8, first 2 shown]
	v_lshlrev_b64 v[6:7], 2, v[4:5]
	v_add_co_u32_e32 v6, vcc, s40, v6
	v_lshlrev_b64 v[4:5], 5, v[4:5]
	v_addc_co_u32_e32 v7, vcc, v17, v7, vcc
	v_add_co_u32_e32 v4, vcc, s42, v4
	v_addc_co_u32_e32 v5, vcc, v18, v5, vcc
	global_store_dword v[6:7], v16, off
	s_waitcnt lgkmcnt(1)
	global_store_dwordx4 v[4:5], v[0:3], off
	s_waitcnt lgkmcnt(0)
	global_store_dwordx4 v[4:5], v[10:13], off offset:16
	s_endpgm
	.section	.rodata,"a",@progbits
	.p2align	6, 0x0
	.amdhsa_kernel _ZN9rocsparseL27bsrgemm_fill_wf_per_row_2x2ILj256ELj16ELj8ELj137ElidEEv20rocsparse_direction_T4_S2_PKS2_S4_NS_24const_host_device_scalarIT5_EEPKT3_S4_PKS6_SA_S4_SC_S7_SA_S4_SC_SA_PS2_PS6_21rocsparse_index_base_SF_SF_SF_bbb
		.amdhsa_group_segment_fixed_size 4608
		.amdhsa_private_segment_fixed_size 0
		.amdhsa_kernarg_size 164
		.amdhsa_user_sgpr_count 6
		.amdhsa_user_sgpr_private_segment_buffer 1
		.amdhsa_user_sgpr_dispatch_ptr 0
		.amdhsa_user_sgpr_queue_ptr 0
		.amdhsa_user_sgpr_kernarg_segment_ptr 1
		.amdhsa_user_sgpr_dispatch_id 0
		.amdhsa_user_sgpr_flat_scratch_init 0
		.amdhsa_user_sgpr_kernarg_preload_length 0
		.amdhsa_user_sgpr_kernarg_preload_offset 0
		.amdhsa_user_sgpr_private_segment_size 0
		.amdhsa_uses_dynamic_stack 0
		.amdhsa_system_sgpr_private_segment_wavefront_offset 0
		.amdhsa_system_sgpr_workgroup_id_x 1
		.amdhsa_system_sgpr_workgroup_id_y 0
		.amdhsa_system_sgpr_workgroup_id_z 0
		.amdhsa_system_sgpr_workgroup_info 0
		.amdhsa_system_vgpr_workitem_id 0
		.amdhsa_next_free_vgpr 45
		.amdhsa_next_free_sgpr 57
		.amdhsa_accum_offset 48
		.amdhsa_reserve_vcc 1
		.amdhsa_reserve_flat_scratch 0
		.amdhsa_float_round_mode_32 0
		.amdhsa_float_round_mode_16_64 0
		.amdhsa_float_denorm_mode_32 3
		.amdhsa_float_denorm_mode_16_64 3
		.amdhsa_dx10_clamp 1
		.amdhsa_ieee_mode 1
		.amdhsa_fp16_overflow 0
		.amdhsa_tg_split 0
		.amdhsa_exception_fp_ieee_invalid_op 0
		.amdhsa_exception_fp_denorm_src 0
		.amdhsa_exception_fp_ieee_div_zero 0
		.amdhsa_exception_fp_ieee_overflow 0
		.amdhsa_exception_fp_ieee_underflow 0
		.amdhsa_exception_fp_ieee_inexact 0
		.amdhsa_exception_int_div_zero 0
	.end_amdhsa_kernel
	.section	.text._ZN9rocsparseL27bsrgemm_fill_wf_per_row_2x2ILj256ELj16ELj8ELj137ElidEEv20rocsparse_direction_T4_S2_PKS2_S4_NS_24const_host_device_scalarIT5_EEPKT3_S4_PKS6_SA_S4_SC_S7_SA_S4_SC_SA_PS2_PS6_21rocsparse_index_base_SF_SF_SF_bbb,"axG",@progbits,_ZN9rocsparseL27bsrgemm_fill_wf_per_row_2x2ILj256ELj16ELj8ELj137ElidEEv20rocsparse_direction_T4_S2_PKS2_S4_NS_24const_host_device_scalarIT5_EEPKT3_S4_PKS6_SA_S4_SC_S7_SA_S4_SC_SA_PS2_PS6_21rocsparse_index_base_SF_SF_SF_bbb,comdat
.Lfunc_end187:
	.size	_ZN9rocsparseL27bsrgemm_fill_wf_per_row_2x2ILj256ELj16ELj8ELj137ElidEEv20rocsparse_direction_T4_S2_PKS2_S4_NS_24const_host_device_scalarIT5_EEPKT3_S4_PKS6_SA_S4_SC_S7_SA_S4_SC_SA_PS2_PS6_21rocsparse_index_base_SF_SF_SF_bbb, .Lfunc_end187-_ZN9rocsparseL27bsrgemm_fill_wf_per_row_2x2ILj256ELj16ELj8ELj137ElidEEv20rocsparse_direction_T4_S2_PKS2_S4_NS_24const_host_device_scalarIT5_EEPKT3_S4_PKS6_SA_S4_SC_S7_SA_S4_SC_SA_PS2_PS6_21rocsparse_index_base_SF_SF_SF_bbb
                                        ; -- End function
	.section	.AMDGPU.csdata,"",@progbits
; Kernel info:
; codeLenInByte = 3576
; NumSgprs: 61
; NumVgprs: 45
; NumAgprs: 0
; TotalNumVgprs: 45
; ScratchSize: 0
; MemoryBound: 0
; FloatMode: 240
; IeeeMode: 1
; LDSByteSize: 4608 bytes/workgroup (compile time only)
; SGPRBlocks: 7
; VGPRBlocks: 5
; NumSGPRsForWavesPerEU: 61
; NumVGPRsForWavesPerEU: 45
; AccumOffset: 48
; Occupancy: 8
; WaveLimiterHint : 1
; COMPUTE_PGM_RSRC2:SCRATCH_EN: 0
; COMPUTE_PGM_RSRC2:USER_SGPR: 6
; COMPUTE_PGM_RSRC2:TRAP_HANDLER: 0
; COMPUTE_PGM_RSRC2:TGID_X_EN: 1
; COMPUTE_PGM_RSRC2:TGID_Y_EN: 0
; COMPUTE_PGM_RSRC2:TGID_Z_EN: 0
; COMPUTE_PGM_RSRC2:TIDIG_COMP_CNT: 0
; COMPUTE_PGM_RSRC3_GFX90A:ACCUM_OFFSET: 11
; COMPUTE_PGM_RSRC3_GFX90A:TG_SPLIT: 0
	.section	.text._ZN9rocsparseL27bsrgemm_fill_wf_per_row_2x2ILj256ELj16ELj16ELj137ElidEEv20rocsparse_direction_T4_S2_PKS2_S4_NS_24const_host_device_scalarIT5_EEPKT3_S4_PKS6_SA_S4_SC_S7_SA_S4_SC_SA_PS2_PS6_21rocsparse_index_base_SF_SF_SF_bbb,"axG",@progbits,_ZN9rocsparseL27bsrgemm_fill_wf_per_row_2x2ILj256ELj16ELj16ELj137ElidEEv20rocsparse_direction_T4_S2_PKS2_S4_NS_24const_host_device_scalarIT5_EEPKT3_S4_PKS6_SA_S4_SC_S7_SA_S4_SC_SA_PS2_PS6_21rocsparse_index_base_SF_SF_SF_bbb,comdat
	.globl	_ZN9rocsparseL27bsrgemm_fill_wf_per_row_2x2ILj256ELj16ELj16ELj137ElidEEv20rocsparse_direction_T4_S2_PKS2_S4_NS_24const_host_device_scalarIT5_EEPKT3_S4_PKS6_SA_S4_SC_S7_SA_S4_SC_SA_PS2_PS6_21rocsparse_index_base_SF_SF_SF_bbb ; -- Begin function _ZN9rocsparseL27bsrgemm_fill_wf_per_row_2x2ILj256ELj16ELj16ELj137ElidEEv20rocsparse_direction_T4_S2_PKS2_S4_NS_24const_host_device_scalarIT5_EEPKT3_S4_PKS6_SA_S4_SC_S7_SA_S4_SC_SA_PS2_PS6_21rocsparse_index_base_SF_SF_SF_bbb
	.p2align	8
	.type	_ZN9rocsparseL27bsrgemm_fill_wf_per_row_2x2ILj256ELj16ELj16ELj137ElidEEv20rocsparse_direction_T4_S2_PKS2_S4_NS_24const_host_device_scalarIT5_EEPKT3_S4_PKS6_SA_S4_SC_S7_SA_S4_SC_SA_PS2_PS6_21rocsparse_index_base_SF_SF_SF_bbb,@function
_ZN9rocsparseL27bsrgemm_fill_wf_per_row_2x2ILj256ELj16ELj16ELj137ElidEEv20rocsparse_direction_T4_S2_PKS2_S4_NS_24const_host_device_scalarIT5_EEPKT3_S4_PKS6_SA_S4_SC_S7_SA_S4_SC_SA_PS2_PS6_21rocsparse_index_base_SF_SF_SF_bbb: ; @_ZN9rocsparseL27bsrgemm_fill_wf_per_row_2x2ILj256ELj16ELj16ELj137ElidEEv20rocsparse_direction_T4_S2_PKS2_S4_NS_24const_host_device_scalarIT5_EEPKT3_S4_PKS6_SA_S4_SC_S7_SA_S4_SC_SA_PS2_PS6_21rocsparse_index_base_SF_SF_SF_bbb
; %bb.0:
	s_load_dword s7, s[4:5], 0xa0
	s_load_dwordx4 s[24:27], s[4:5], 0x90
	s_load_dwordx2 s[0:1], s[4:5], 0x20
	s_load_dwordx2 s[28:29], s[4:5], 0x58
	s_waitcnt lgkmcnt(0)
	s_and_b32 s2, 1, s7
	s_bitcmp1_b32 s7, 16
	s_cselect_b64 s[30:31], -1, 0
	s_cmp_eq_u32 s2, 1
	s_cselect_b64 s[44:45], -1, 0
	s_and_b64 s[2:3], s[44:45], exec
	s_cselect_b32 s3, s1, 0
	s_cselect_b32 s2, s0, 0
	s_xor_b64 s[8:9], s[44:45], -1
	s_or_b64 s[8:9], s[8:9], s[30:31]
	s_and_b64 vcc, exec, s[8:9]
	v_pk_mov_b32 v[8:9], s[2:3], s[2:3] op_sel:[0,1]
	s_cbranch_vccnz .LBB188_2
; %bb.1:
	v_pk_mov_b32 v[2:3], s[0:1], s[0:1] op_sel:[0,1]
	flat_load_dwordx2 v[8:9], v[2:3]
.LBB188_2:
	s_load_dwordx4 s[0:3], s[4:5], 0x80
	s_load_dwordx8 s[8:15], s[4:5], 0x60
	s_load_dwordx4 s[36:39], s[4:5], 0x48
	s_load_dwordx4 s[40:43], s[4:5], 0x10
	s_load_dwordx8 s[16:23], s[4:5], 0x28
	s_bitcmp1_b32 s7, 8
	s_cselect_b64 s[34:35], -1, 0
	s_and_b64 s[46:47], s[34:35], exec
	s_cselect_b32 s47, s29, 0
	s_cselect_b32 s46, s28, 0
	s_xor_b64 s[48:49], s[34:35], -1
	s_or_b64 s[30:31], s[48:49], s[30:31]
	s_and_b64 vcc, exec, s[30:31]
	v_pk_mov_b32 v[4:5], s[46:47], s[46:47] op_sel:[0,1]
	s_cbranch_vccnz .LBB188_4
; %bb.3:
	v_pk_mov_b32 v[2:3], s[28:29], s[28:29] op_sel:[0,1]
	flat_load_dwordx2 v[4:5], v[2:3]
.LBB188_4:
	s_load_dwordx4 s[28:31], s[4:5], 0x0
	v_and_b32_e32 v32, 15, v0
	v_lshrrev_b32_e32 v2, 4, v0
	v_and_b32_e32 v0, 0xf0, v0
	v_mov_b32_e32 v1, 0x2000
	v_lshl_or_b32 v34, v0, 2, v1
	v_lshl_or_b32 v35, v32, 2, v34
	s_waitcnt lgkmcnt(0)
	v_mov_b32_e32 v0, s30
	ds_write_b32 v35, v0
	v_lshlrev_b32_e32 v0, 3, v32
	v_lshl_or_b32 v6, v2, 9, v0
	v_mov_b32_e32 v0, 0
	v_or_b32_e32 v3, -16, v32
	s_mov_b64 s[4:5], 0
	v_mov_b32_e32 v1, v0
.LBB188_5:                              ; =>This Inner Loop Header: Depth=1
	v_add_u32_e32 v3, 16, v3
	v_cmp_lt_u32_e32 vcc, 47, v3
	ds_write_b64 v6, v[0:1]
	s_or_b64 s[4:5], vcc, s[4:5]
	v_add_u32_e32 v6, 0x80, v6
	s_andn2_b64 exec, exec, s[4:5]
	s_cbranch_execnz .LBB188_5
; %bb.6:
	s_or_b64 exec, exec, s[4:5]
	v_lshl_or_b32 v0, s6, 4, v2
	v_cmp_gt_i32_e32 vcc, s29, v0
	s_waitcnt lgkmcnt(0)
	s_barrier
	s_and_saveexec_b64 s[4:5], vcc
	s_cbranch_execz .LBB188_120
; %bb.7:
	s_cmp_eq_u64 s[42:43], 0
	s_cbranch_scc1 .LBB188_9
; %bb.8:
	s_load_dword s4, s[40:41], 0x0
	v_mov_b32_e32 v3, s43
	s_waitcnt lgkmcnt(0)
	v_add_u32_e32 v0, s4, v0
	v_ashrrev_i32_e32 v1, 31, v0
	v_lshlrev_b64 v[0:1], 2, v[0:1]
	v_add_co_u32_e32 v0, vcc, s42, v0
	v_addc_co_u32_e32 v1, vcc, v3, v1, vcc
	global_load_dword v0, v[0:1], off
.LBB188_9:
	s_waitcnt vmcnt(0)
	v_ashrrev_i32_e32 v1, 31, v0
	v_lshlrev_b32_e32 v33, 9, v2
	s_andn2_b64 vcc, exec, s[44:45]
	v_lshlrev_b64 v[6:7], 3, v[0:1]
	s_cbranch_vccnz .LBB188_65
; %bb.10:
	v_mov_b32_e32 v1, s17
	v_add_co_u32_e32 v0, vcc, s16, v6
	v_addc_co_u32_e32 v1, vcc, v1, v7, vcc
	global_load_dwordx4 v[0:3], v[0:1], off
	v_subrev_co_u32_e32 v12, vcc, s24, v32
	v_subb_co_u32_e64 v13, s[4:5], 0, 0, vcc
	s_mov_b32 s29, 0
	s_waitcnt vmcnt(0)
	v_subrev_co_u32_e32 v10, vcc, s24, v2
	v_subbrev_co_u32_e32 v11, vcc, 0, v3, vcc
	v_add_co_u32_e32 v12, vcc, v0, v12
	v_addc_co_u32_e32 v13, vcc, v1, v13, vcc
	v_cmp_lt_i64_e32 vcc, v[12:13], v[10:11]
	s_and_saveexec_b64 s[4:5], vcc
	s_cbranch_execz .LBB188_64
; %bb.11:
	s_cmp_eq_u32 s28, 0
	s_mov_b32 s31, s25
	s_cselect_b32 s33, 1, 2
	s_cselect_b32 s54, 2, 1
	v_add_u32_e32 v36, 8, v33
	v_add_u32_e32 v37, 16, v33
	;; [unrolled: 1-line block ×3, first 2 shown]
	s_mov_b64 s[6:7], 0
	v_mov_b32_e32 v39, s19
	v_mov_b32_e32 v40, s23
	s_branch .LBB188_13
.LBB188_12:                             ;   in Loop: Header=BB188_13 Depth=1
	s_or_b64 exec, exec, s[16:17]
	v_add_co_u32_e32 v12, vcc, 16, v12
	v_addc_co_u32_e32 v13, vcc, 0, v13, vcc
	v_cmp_ge_i64_e32 vcc, v[12:13], v[10:11]
	s_or_b64 s[6:7], vcc, s[6:7]
	s_andn2_b64 exec, exec, s[6:7]
	s_cbranch_execz .LBB188_64
.LBB188_13:                             ; =>This Loop Header: Depth=1
                                        ;     Child Loop BB188_16 Depth 2
                                        ;       Child Loop BB188_18 Depth 3
                                        ;       Child Loop BB188_30 Depth 3
	;; [unrolled: 1-line block ×4, first 2 shown]
	v_lshlrev_b64 v[14:15], 2, v[12:13]
	v_add_co_u32_e32 v0, vcc, s18, v14
	v_addc_co_u32_e32 v1, vcc, v39, v15, vcc
	global_load_dword v0, v[0:1], off
	s_waitcnt vmcnt(0)
	v_subrev_u32_e32 v0, s24, v0
	v_ashrrev_i32_e32 v1, 31, v0
	v_lshlrev_b64 v[0:1], 3, v[0:1]
	v_add_co_u32_e32 v0, vcc, s22, v0
	v_addc_co_u32_e32 v1, vcc, v40, v1, vcc
	global_load_dwordx4 v[0:3], v[0:1], off
	s_waitcnt vmcnt(0)
	v_cmp_lt_i64_e32 vcc, v[0:1], v[2:3]
	s_and_saveexec_b64 s[16:17], vcc
	s_cbranch_execz .LBB188_12
; %bb.14:                               ;   in Loop: Header=BB188_13 Depth=1
	v_lshlrev_b64 v[18:19], 5, v[12:13]
	v_or_b32_e32 v17, 0, v15
	v_or_b32_e32 v16, s33, v14
	;; [unrolled: 1-line block ×4, first 2 shown]
	v_mov_b32_e32 v20, s21
	v_add_co_u32_e32 v18, vcc, s20, v18
	v_addc_co_u32_e32 v19, vcc, v20, v19, vcc
	v_lshlrev_b64 v[14:15], 3, v[14:15]
	v_add_co_u32_e32 v14, vcc, s20, v14
	v_addc_co_u32_e32 v15, vcc, v20, v15, vcc
	v_lshlrev_b64 v[16:17], 3, v[16:17]
	v_add_co_u32_e32 v16, vcc, s20, v16
	v_addc_co_u32_e32 v17, vcc, v20, v17, vcc
	global_load_dwordx2 v[20:21], v[18:19], off offset:24
	global_load_dwordx2 v[22:23], v[14:15], off
	global_load_dwordx2 v[24:25], v[16:17], off
	;; [unrolled: 1-line block ×3, first 2 shown]
	v_mov_b32_e32 v14, s29
	v_subrev_co_u32_e32 v2, vcc, s31, v2
	v_subb_co_u32_e32 v3, vcc, v3, v14, vcc
	v_subrev_co_u32_e32 v0, vcc, s31, v0
	v_subb_co_u32_e32 v1, vcc, v1, v14, vcc
	s_mov_b64 s[40:41], 0
	s_waitcnt vmcnt(3)
	v_mul_f64 v[14:15], v[8:9], v[20:21]
	s_waitcnt vmcnt(2)
	v_mul_f64 v[16:17], v[8:9], v[22:23]
	;; [unrolled: 2-line block ×4, first 2 shown]
	s_branch .LBB188_16
.LBB188_15:                             ;   in Loop: Header=BB188_16 Depth=2
	s_or_b64 exec, exec, s[42:43]
	v_add_co_u32_e32 v0, vcc, 1, v0
	v_addc_co_u32_e32 v1, vcc, 0, v1, vcc
	v_cmp_ge_i64_e32 vcc, v[0:1], v[2:3]
	s_or_b64 s[40:41], vcc, s[40:41]
	s_andn2_b64 exec, exec, s[40:41]
	s_cbranch_execz .LBB188_12
.LBB188_16:                             ;   Parent Loop BB188_13 Depth=1
                                        ; =>  This Loop Header: Depth=2
                                        ;       Child Loop BB188_18 Depth 3
                                        ;       Child Loop BB188_30 Depth 3
                                        ;       Child Loop BB188_42 Depth 3
                                        ;       Child Loop BB188_54 Depth 3
	v_lshlrev_b64 v[22:23], 2, v[0:1]
	v_mov_b32_e32 v25, s37
	v_add_co_u32_e32 v24, vcc, s36, v22
	v_addc_co_u32_e32 v25, vcc, v25, v23, vcc
	v_lshlrev_b64 v[26:27], 5, v[0:1]
	global_load_dword v41, v[24:25], off
	v_or_b32_e32 v25, 0, v23
	v_or_b32_e32 v24, s33, v22
	;; [unrolled: 1-line block ×4, first 2 shown]
	v_mov_b32_e32 v43, s39
	v_add_co_u32_e32 v30, vcc, s38, v26
	v_addc_co_u32_e32 v31, vcc, v43, v27, vcc
	v_lshlrev_b64 v[22:23], 3, v[22:23]
	v_add_co_u32_e32 v22, vcc, s38, v22
	v_lshlrev_b64 v[24:25], 3, v[24:25]
	v_addc_co_u32_e32 v23, vcc, v43, v23, vcc
	global_load_dwordx2 v[26:27], v[30:31], off
	global_load_dwordx2 v[28:29], v[22:23], off
	v_add_co_u32_e32 v42, vcc, s38, v24
	v_addc_co_u32_e32 v43, vcc, v43, v25, vcc
	global_load_dwordx2 v[22:23], v[42:43], off
	global_load_dwordx2 v[24:25], v[30:31], off offset:24
	s_mov_b64 s[42:43], 0
	s_waitcnt vmcnt(4)
	v_subrev_u32_e32 v41, s25, v41
	v_lshl_add_u32 v42, v41, 3, v41
	v_and_b32_e32 v42, 15, v42
	v_mov_b32_e32 v43, v42
	s_waitcnt vmcnt(2)
	v_mul_f64 v[30:31], v[20:21], v[28:29]
	v_fmac_f64_e32 v[30:31], v[18:19], v[26:27]
	s_branch .LBB188_18
.LBB188_17:                             ;   in Loop: Header=BB188_18 Depth=3
	s_or_b64 exec, exec, s[44:45]
	s_xor_b64 s[44:45], s[46:47], -1
	s_and_b64 s[44:45], exec, s[44:45]
	s_or_b64 s[42:43], s[44:45], s[42:43]
	s_andn2_b64 exec, exec, s[42:43]
	s_cbranch_execz .LBB188_28
.LBB188_18:                             ;   Parent Loop BB188_13 Depth=1
                                        ;     Parent Loop BB188_16 Depth=2
                                        ; =>    This Inner Loop Header: Depth=3
	v_lshl_add_u32 v44, v43, 2, v34
	ds_read_b32 v45, v44
                                        ; implicit-def: $sgpr46_sgpr47
	s_waitcnt lgkmcnt(0)
	v_cmp_ne_u32_e32 vcc, v45, v41
	s_and_saveexec_b64 s[44:45], vcc
	s_xor_b64 s[44:45], exec, s[44:45]
	s_cbranch_execz .LBB188_26
; %bb.19:                               ;   in Loop: Header=BB188_18 Depth=3
	v_cmp_ne_u32_e32 vcc, s30, v45
                                        ; implicit-def: $sgpr46_sgpr47
	s_and_saveexec_b64 s[48:49], vcc
	s_xor_b64 s[48:49], exec, s[48:49]
; %bb.20:                               ;   in Loop: Header=BB188_18 Depth=3
	v_add_u32_e32 v43, 1, v43
	v_and_b32_e32 v43, 15, v43
	s_mov_b64 s[46:47], -1
                                        ; implicit-def: $vgpr44
; %bb.21:                               ;   in Loop: Header=BB188_18 Depth=3
	s_andn2_saveexec_b64 s[48:49], s[48:49]
	s_cbranch_execz .LBB188_25
; %bb.22:                               ;   in Loop: Header=BB188_18 Depth=3
	v_mov_b32_e32 v45, s30
	ds_cmpst_rtn_b32 v44, v44, v45, v41
	s_mov_b64 s[50:51], -1
	s_waitcnt lgkmcnt(0)
	v_cmp_eq_u32_e32 vcc, s30, v44
	s_and_saveexec_b64 s[52:53], vcc
	s_cbranch_execz .LBB188_24
; %bb.23:                               ;   in Loop: Header=BB188_18 Depth=3
	v_lshl_add_u32 v44, v43, 5, v33
	ds_add_f64 v44, v[30:31]
	s_xor_b64 s[50:51], exec, -1
.LBB188_24:                             ;   in Loop: Header=BB188_18 Depth=3
	s_or_b64 exec, exec, s[52:53]
	s_andn2_b64 s[46:47], s[46:47], exec
	s_and_b64 s[50:51], s[50:51], exec
	s_or_b64 s[46:47], s[46:47], s[50:51]
.LBB188_25:                             ;   in Loop: Header=BB188_18 Depth=3
	s_or_b64 exec, exec, s[48:49]
	s_and_b64 s[46:47], s[46:47], exec
.LBB188_26:                             ;   in Loop: Header=BB188_18 Depth=3
	s_andn2_saveexec_b64 s[44:45], s[44:45]
	s_cbranch_execz .LBB188_17
; %bb.27:                               ;   in Loop: Header=BB188_18 Depth=3
	v_lshl_add_u32 v44, v43, 5, v33
	ds_add_f64 v44, v[30:31]
	s_andn2_b64 s[46:47], s[46:47], exec
	s_branch .LBB188_17
.LBB188_28:                             ;   in Loop: Header=BB188_16 Depth=2
	s_or_b64 exec, exec, s[42:43]
	s_waitcnt vmcnt(0)
	v_mul_f64 v[30:31], v[20:21], v[24:25]
	v_fmac_f64_e32 v[30:31], v[18:19], v[22:23]
	s_mov_b64 s[42:43], 0
	v_mov_b32_e32 v43, v42
	s_branch .LBB188_30
.LBB188_29:                             ;   in Loop: Header=BB188_30 Depth=3
	s_or_b64 exec, exec, s[44:45]
	s_xor_b64 s[44:45], s[46:47], -1
	s_and_b64 s[44:45], exec, s[44:45]
	s_or_b64 s[42:43], s[44:45], s[42:43]
	s_andn2_b64 exec, exec, s[42:43]
	s_cbranch_execz .LBB188_40
.LBB188_30:                             ;   Parent Loop BB188_13 Depth=1
                                        ;     Parent Loop BB188_16 Depth=2
                                        ; =>    This Inner Loop Header: Depth=3
	v_lshl_add_u32 v44, v43, 2, v34
	ds_read_b32 v45, v44
                                        ; implicit-def: $sgpr46_sgpr47
	s_waitcnt lgkmcnt(0)
	v_cmp_ne_u32_e32 vcc, v45, v41
	s_and_saveexec_b64 s[44:45], vcc
	s_xor_b64 s[44:45], exec, s[44:45]
	s_cbranch_execz .LBB188_38
; %bb.31:                               ;   in Loop: Header=BB188_30 Depth=3
	v_cmp_ne_u32_e32 vcc, s30, v45
                                        ; implicit-def: $sgpr46_sgpr47
	s_and_saveexec_b64 s[48:49], vcc
	s_xor_b64 s[48:49], exec, s[48:49]
; %bb.32:                               ;   in Loop: Header=BB188_30 Depth=3
	v_add_u32_e32 v43, 1, v43
	v_and_b32_e32 v43, 15, v43
	s_mov_b64 s[46:47], -1
                                        ; implicit-def: $vgpr44
; %bb.33:                               ;   in Loop: Header=BB188_30 Depth=3
	s_andn2_saveexec_b64 s[48:49], s[48:49]
	s_cbranch_execz .LBB188_37
; %bb.34:                               ;   in Loop: Header=BB188_30 Depth=3
	v_mov_b32_e32 v45, s30
	ds_cmpst_rtn_b32 v44, v44, v45, v41
	s_mov_b64 s[50:51], -1
	s_waitcnt lgkmcnt(0)
	v_cmp_eq_u32_e32 vcc, s30, v44
	s_and_saveexec_b64 s[52:53], vcc
	s_cbranch_execz .LBB188_36
; %bb.35:                               ;   in Loop: Header=BB188_30 Depth=3
	v_lshl_add_u32 v44, v43, 5, v36
	ds_add_f64 v44, v[30:31]
	s_xor_b64 s[50:51], exec, -1
.LBB188_36:                             ;   in Loop: Header=BB188_30 Depth=3
	s_or_b64 exec, exec, s[52:53]
	s_andn2_b64 s[46:47], s[46:47], exec
	s_and_b64 s[50:51], s[50:51], exec
	s_or_b64 s[46:47], s[46:47], s[50:51]
.LBB188_37:                             ;   in Loop: Header=BB188_30 Depth=3
	s_or_b64 exec, exec, s[48:49]
	s_and_b64 s[46:47], s[46:47], exec
.LBB188_38:                             ;   in Loop: Header=BB188_30 Depth=3
	s_andn2_saveexec_b64 s[44:45], s[44:45]
	s_cbranch_execz .LBB188_29
; %bb.39:                               ;   in Loop: Header=BB188_30 Depth=3
	v_lshl_add_u32 v44, v43, 5, v36
	ds_add_f64 v44, v[30:31]
	s_andn2_b64 s[46:47], s[46:47], exec
	s_branch .LBB188_29
.LBB188_40:                             ;   in Loop: Header=BB188_16 Depth=2
	s_or_b64 exec, exec, s[42:43]
	v_mul_f64 v[28:29], v[14:15], v[28:29]
	v_fmac_f64_e32 v[28:29], v[16:17], v[26:27]
	s_mov_b64 s[42:43], 0
	v_mov_b32_e32 v26, v42
	s_branch .LBB188_42
.LBB188_41:                             ;   in Loop: Header=BB188_42 Depth=3
	s_or_b64 exec, exec, s[44:45]
	s_xor_b64 s[44:45], s[46:47], -1
	s_and_b64 s[44:45], exec, s[44:45]
	s_or_b64 s[42:43], s[44:45], s[42:43]
	s_andn2_b64 exec, exec, s[42:43]
	s_cbranch_execz .LBB188_52
.LBB188_42:                             ;   Parent Loop BB188_13 Depth=1
                                        ;     Parent Loop BB188_16 Depth=2
                                        ; =>    This Inner Loop Header: Depth=3
	v_lshl_add_u32 v27, v26, 2, v34
	ds_read_b32 v30, v27
                                        ; implicit-def: $sgpr46_sgpr47
	s_waitcnt lgkmcnt(0)
	v_cmp_ne_u32_e32 vcc, v30, v41
	s_and_saveexec_b64 s[44:45], vcc
	s_xor_b64 s[44:45], exec, s[44:45]
	s_cbranch_execz .LBB188_50
; %bb.43:                               ;   in Loop: Header=BB188_42 Depth=3
	v_cmp_ne_u32_e32 vcc, s30, v30
                                        ; implicit-def: $sgpr46_sgpr47
	s_and_saveexec_b64 s[48:49], vcc
	s_xor_b64 s[48:49], exec, s[48:49]
; %bb.44:                               ;   in Loop: Header=BB188_42 Depth=3
	v_add_u32_e32 v26, 1, v26
	v_and_b32_e32 v26, 15, v26
	s_mov_b64 s[46:47], -1
                                        ; implicit-def: $vgpr27
; %bb.45:                               ;   in Loop: Header=BB188_42 Depth=3
	s_andn2_saveexec_b64 s[48:49], s[48:49]
	s_cbranch_execz .LBB188_49
; %bb.46:                               ;   in Loop: Header=BB188_42 Depth=3
	v_mov_b32_e32 v30, s30
	ds_cmpst_rtn_b32 v27, v27, v30, v41
	s_mov_b64 s[50:51], -1
	s_waitcnt lgkmcnt(0)
	v_cmp_eq_u32_e32 vcc, s30, v27
	s_and_saveexec_b64 s[52:53], vcc
	s_cbranch_execz .LBB188_48
; %bb.47:                               ;   in Loop: Header=BB188_42 Depth=3
	v_lshl_add_u32 v27, v26, 5, v37
	ds_add_f64 v27, v[28:29]
	s_xor_b64 s[50:51], exec, -1
.LBB188_48:                             ;   in Loop: Header=BB188_42 Depth=3
	s_or_b64 exec, exec, s[52:53]
	s_andn2_b64 s[46:47], s[46:47], exec
	s_and_b64 s[50:51], s[50:51], exec
	s_or_b64 s[46:47], s[46:47], s[50:51]
.LBB188_49:                             ;   in Loop: Header=BB188_42 Depth=3
	s_or_b64 exec, exec, s[48:49]
	s_and_b64 s[46:47], s[46:47], exec
.LBB188_50:                             ;   in Loop: Header=BB188_42 Depth=3
	s_andn2_saveexec_b64 s[44:45], s[44:45]
	s_cbranch_execz .LBB188_41
; %bb.51:                               ;   in Loop: Header=BB188_42 Depth=3
	v_lshl_add_u32 v27, v26, 5, v37
	ds_add_f64 v27, v[28:29]
	s_andn2_b64 s[46:47], s[46:47], exec
	s_branch .LBB188_41
.LBB188_52:                             ;   in Loop: Header=BB188_16 Depth=2
	s_or_b64 exec, exec, s[42:43]
	v_mul_f64 v[24:25], v[14:15], v[24:25]
	v_fmac_f64_e32 v[24:25], v[16:17], v[22:23]
	s_mov_b64 s[42:43], 0
	s_branch .LBB188_54
.LBB188_53:                             ;   in Loop: Header=BB188_54 Depth=3
	s_or_b64 exec, exec, s[44:45]
	s_xor_b64 s[44:45], s[46:47], -1
	s_and_b64 s[44:45], exec, s[44:45]
	s_or_b64 s[42:43], s[44:45], s[42:43]
	s_andn2_b64 exec, exec, s[42:43]
	s_cbranch_execz .LBB188_15
.LBB188_54:                             ;   Parent Loop BB188_13 Depth=1
                                        ;     Parent Loop BB188_16 Depth=2
                                        ; =>    This Inner Loop Header: Depth=3
	v_lshl_add_u32 v22, v42, 2, v34
	ds_read_b32 v23, v22
                                        ; implicit-def: $sgpr46_sgpr47
	s_waitcnt lgkmcnt(0)
	v_cmp_ne_u32_e32 vcc, v23, v41
	s_and_saveexec_b64 s[44:45], vcc
	s_xor_b64 s[44:45], exec, s[44:45]
	s_cbranch_execz .LBB188_62
; %bb.55:                               ;   in Loop: Header=BB188_54 Depth=3
	v_cmp_ne_u32_e32 vcc, s30, v23
                                        ; implicit-def: $sgpr46_sgpr47
	s_and_saveexec_b64 s[48:49], vcc
	s_xor_b64 s[48:49], exec, s[48:49]
; %bb.56:                               ;   in Loop: Header=BB188_54 Depth=3
	v_add_u32_e32 v22, 1, v42
	v_and_b32_e32 v42, 15, v22
	s_mov_b64 s[46:47], -1
                                        ; implicit-def: $vgpr22
; %bb.57:                               ;   in Loop: Header=BB188_54 Depth=3
	s_andn2_saveexec_b64 s[48:49], s[48:49]
	s_cbranch_execz .LBB188_61
; %bb.58:                               ;   in Loop: Header=BB188_54 Depth=3
	v_mov_b32_e32 v23, s30
	ds_cmpst_rtn_b32 v22, v22, v23, v41
	s_mov_b64 s[50:51], -1
	s_waitcnt lgkmcnt(0)
	v_cmp_eq_u32_e32 vcc, s30, v22
	s_and_saveexec_b64 s[52:53], vcc
	s_cbranch_execz .LBB188_60
; %bb.59:                               ;   in Loop: Header=BB188_54 Depth=3
	v_lshl_add_u32 v22, v42, 5, v38
	ds_add_f64 v22, v[24:25]
	s_xor_b64 s[50:51], exec, -1
.LBB188_60:                             ;   in Loop: Header=BB188_54 Depth=3
	s_or_b64 exec, exec, s[52:53]
	s_andn2_b64 s[46:47], s[46:47], exec
	s_and_b64 s[50:51], s[50:51], exec
	s_or_b64 s[46:47], s[46:47], s[50:51]
.LBB188_61:                             ;   in Loop: Header=BB188_54 Depth=3
	s_or_b64 exec, exec, s[48:49]
	s_and_b64 s[46:47], s[46:47], exec
.LBB188_62:                             ;   in Loop: Header=BB188_54 Depth=3
	s_andn2_saveexec_b64 s[44:45], s[44:45]
	s_cbranch_execz .LBB188_53
; %bb.63:                               ;   in Loop: Header=BB188_54 Depth=3
	v_lshl_add_u32 v22, v42, 5, v38
	ds_add_f64 v22, v[24:25]
	s_andn2_b64 s[46:47], s[46:47], exec
	s_branch .LBB188_53
.LBB188_64:
	s_or_b64 exec, exec, s[4:5]
.LBB188_65:
	s_andn2_b64 vcc, exec, s[34:35]
	s_waitcnt lgkmcnt(0)
	s_cbranch_vccnz .LBB188_118
; %bb.66:
	v_mov_b32_e32 v1, s9
	v_add_co_u32_e32 v0, vcc, s8, v6
	v_addc_co_u32_e32 v1, vcc, v1, v7, vcc
	global_load_dwordx4 v[8:11], v[0:1], off
	v_subrev_co_u32_e32 v2, vcc, s27, v32
	v_subb_co_u32_e64 v3, s[4:5], 0, 0, vcc
	s_waitcnt vmcnt(0)
	v_subrev_co_u32_e32 v0, vcc, s27, v10
	v_subbrev_co_u32_e32 v1, vcc, 0, v11, vcc
	v_add_co_u32_e32 v2, vcc, v8, v2
	v_addc_co_u32_e32 v3, vcc, v9, v3, vcc
	v_cmp_lt_i64_e32 vcc, v[2:3], v[0:1]
	s_and_saveexec_b64 s[4:5], vcc
	s_cbranch_execz .LBB188_117
; %bb.67:
	s_cmp_eq_u32 s28, 0
	s_cselect_b32 s29, 1, 2
	s_cselect_b32 s31, 2, 1
	v_add_u32_e32 v16, 8, v33
	v_add_u32_e32 v17, 16, v33
	;; [unrolled: 1-line block ×3, first 2 shown]
	s_mov_b64 s[6:7], 0
	v_mov_b32_e32 v19, s13
	v_mov_b32_e32 v20, s11
	s_branch .LBB188_69
.LBB188_68:                             ;   in Loop: Header=BB188_69 Depth=1
	s_or_b64 exec, exec, s[8:9]
	v_add_co_u32_e32 v2, vcc, 16, v2
	v_addc_co_u32_e32 v3, vcc, 0, v3, vcc
	v_cmp_ge_i64_e32 vcc, v[2:3], v[0:1]
	s_or_b64 s[6:7], vcc, s[6:7]
	s_andn2_b64 exec, exec, s[6:7]
	s_cbranch_execz .LBB188_117
.LBB188_69:                             ; =>This Loop Header: Depth=1
                                        ;     Child Loop BB188_71 Depth 2
                                        ;     Child Loop BB188_83 Depth 2
	;; [unrolled: 1-line block ×4, first 2 shown]
	v_lshlrev_b64 v[8:9], 2, v[2:3]
	v_lshlrev_b64 v[14:15], 5, v[2:3]
	v_or_b32_e32 v11, 0, v9
	v_or_b32_e32 v10, s29, v8
	v_add_co_u32_e32 v14, vcc, s12, v14
	v_addc_co_u32_e32 v15, vcc, v19, v15, vcc
	v_lshlrev_b64 v[10:11], 3, v[10:11]
	v_add_co_u32_e32 v24, vcc, s12, v10
	v_addc_co_u32_e32 v25, vcc, v19, v11, vcc
	v_or_b32_e32 v12, s31, v8
	v_add_co_u32_e32 v8, vcc, s10, v8
	v_or_b32_e32 v13, 0, v9
	v_addc_co_u32_e32 v9, vcc, v20, v9, vcc
	v_lshlrev_b64 v[10:11], 3, v[12:13]
	global_load_dword v21, v[8:9], off
	global_load_dwordx2 v[22:23], v[14:15], off
	v_add_co_u32_e32 v26, vcc, s12, v10
	v_addc_co_u32_e32 v27, vcc, v19, v11, vcc
	global_load_dwordx2 v[10:11], v[26:27], off
	global_load_dwordx2 v[12:13], v[24:25], off
	global_load_dwordx2 v[8:9], v[14:15], off offset:24
	s_mov_b64 s[8:9], 0
	s_waitcnt vmcnt(4)
	v_subrev_u32_e32 v21, s27, v21
	s_waitcnt vmcnt(3)
	v_mul_f64 v[14:15], v[4:5], v[22:23]
	v_lshl_add_u32 v22, v21, 3, v21
	v_and_b32_e32 v22, 15, v22
	v_mov_b32_e32 v23, v22
	s_branch .LBB188_71
.LBB188_70:                             ;   in Loop: Header=BB188_71 Depth=2
	s_or_b64 exec, exec, s[16:17]
	s_xor_b64 s[16:17], s[18:19], -1
	s_and_b64 s[16:17], exec, s[16:17]
	s_or_b64 s[8:9], s[16:17], s[8:9]
	s_andn2_b64 exec, exec, s[8:9]
	s_cbranch_execz .LBB188_81
.LBB188_71:                             ;   Parent Loop BB188_69 Depth=1
                                        ; =>  This Inner Loop Header: Depth=2
	v_lshl_add_u32 v24, v23, 2, v34
	ds_read_b32 v25, v24
                                        ; implicit-def: $sgpr18_sgpr19
	s_waitcnt lgkmcnt(0)
	v_cmp_ne_u32_e32 vcc, v25, v21
	s_and_saveexec_b64 s[16:17], vcc
	s_xor_b64 s[16:17], exec, s[16:17]
	s_cbranch_execz .LBB188_79
; %bb.72:                               ;   in Loop: Header=BB188_71 Depth=2
	v_cmp_ne_u32_e32 vcc, s30, v25
                                        ; implicit-def: $sgpr18_sgpr19
	s_and_saveexec_b64 s[20:21], vcc
	s_xor_b64 s[20:21], exec, s[20:21]
; %bb.73:                               ;   in Loop: Header=BB188_71 Depth=2
	v_add_u32_e32 v23, 1, v23
	v_and_b32_e32 v23, 15, v23
	s_mov_b64 s[18:19], -1
                                        ; implicit-def: $vgpr24
; %bb.74:                               ;   in Loop: Header=BB188_71 Depth=2
	s_andn2_saveexec_b64 s[20:21], s[20:21]
	s_cbranch_execz .LBB188_78
; %bb.75:                               ;   in Loop: Header=BB188_71 Depth=2
	v_mov_b32_e32 v25, s30
	ds_cmpst_rtn_b32 v24, v24, v25, v21
	s_mov_b64 s[22:23], -1
	s_waitcnt lgkmcnt(0)
	v_cmp_eq_u32_e32 vcc, s30, v24
	s_and_saveexec_b64 s[24:25], vcc
	s_cbranch_execz .LBB188_77
; %bb.76:                               ;   in Loop: Header=BB188_71 Depth=2
	v_lshl_add_u32 v24, v23, 5, v33
	ds_add_f64 v24, v[14:15]
	s_xor_b64 s[22:23], exec, -1
.LBB188_77:                             ;   in Loop: Header=BB188_71 Depth=2
	s_or_b64 exec, exec, s[24:25]
	s_andn2_b64 s[18:19], s[18:19], exec
	s_and_b64 s[22:23], s[22:23], exec
	s_or_b64 s[18:19], s[18:19], s[22:23]
.LBB188_78:                             ;   in Loop: Header=BB188_71 Depth=2
	s_or_b64 exec, exec, s[20:21]
	s_and_b64 s[18:19], s[18:19], exec
.LBB188_79:                             ;   in Loop: Header=BB188_71 Depth=2
	s_andn2_saveexec_b64 s[16:17], s[16:17]
	s_cbranch_execz .LBB188_70
; %bb.80:                               ;   in Loop: Header=BB188_71 Depth=2
	v_lshl_add_u32 v24, v23, 5, v33
	ds_add_f64 v24, v[14:15]
	s_andn2_b64 s[18:19], s[18:19], exec
	s_branch .LBB188_70
.LBB188_81:                             ;   in Loop: Header=BB188_69 Depth=1
	s_or_b64 exec, exec, s[8:9]
	s_waitcnt vmcnt(1)
	v_mul_f64 v[12:13], v[4:5], v[12:13]
	s_mov_b64 s[8:9], 0
	v_mov_b32_e32 v14, v22
	s_branch .LBB188_83
.LBB188_82:                             ;   in Loop: Header=BB188_83 Depth=2
	s_or_b64 exec, exec, s[16:17]
	s_xor_b64 s[16:17], s[18:19], -1
	s_and_b64 s[16:17], exec, s[16:17]
	s_or_b64 s[8:9], s[16:17], s[8:9]
	s_andn2_b64 exec, exec, s[8:9]
	s_cbranch_execz .LBB188_93
.LBB188_83:                             ;   Parent Loop BB188_69 Depth=1
                                        ; =>  This Inner Loop Header: Depth=2
	v_lshl_add_u32 v15, v14, 2, v34
	ds_read_b32 v23, v15
                                        ; implicit-def: $sgpr18_sgpr19
	s_waitcnt lgkmcnt(0)
	v_cmp_ne_u32_e32 vcc, v23, v21
	s_and_saveexec_b64 s[16:17], vcc
	s_xor_b64 s[16:17], exec, s[16:17]
	s_cbranch_execz .LBB188_91
; %bb.84:                               ;   in Loop: Header=BB188_83 Depth=2
	v_cmp_ne_u32_e32 vcc, s30, v23
                                        ; implicit-def: $sgpr18_sgpr19
	s_and_saveexec_b64 s[20:21], vcc
	s_xor_b64 s[20:21], exec, s[20:21]
; %bb.85:                               ;   in Loop: Header=BB188_83 Depth=2
	v_add_u32_e32 v14, 1, v14
	v_and_b32_e32 v14, 15, v14
	s_mov_b64 s[18:19], -1
                                        ; implicit-def: $vgpr15
; %bb.86:                               ;   in Loop: Header=BB188_83 Depth=2
	s_andn2_saveexec_b64 s[20:21], s[20:21]
	s_cbranch_execz .LBB188_90
; %bb.87:                               ;   in Loop: Header=BB188_83 Depth=2
	v_mov_b32_e32 v23, s30
	ds_cmpst_rtn_b32 v15, v15, v23, v21
	s_mov_b64 s[22:23], -1
	s_waitcnt lgkmcnt(0)
	v_cmp_eq_u32_e32 vcc, s30, v15
	s_and_saveexec_b64 s[24:25], vcc
	s_cbranch_execz .LBB188_89
; %bb.88:                               ;   in Loop: Header=BB188_83 Depth=2
	v_lshl_add_u32 v15, v14, 5, v16
	ds_add_f64 v15, v[12:13]
	s_xor_b64 s[22:23], exec, -1
.LBB188_89:                             ;   in Loop: Header=BB188_83 Depth=2
	s_or_b64 exec, exec, s[24:25]
	s_andn2_b64 s[18:19], s[18:19], exec
	s_and_b64 s[22:23], s[22:23], exec
	s_or_b64 s[18:19], s[18:19], s[22:23]
.LBB188_90:                             ;   in Loop: Header=BB188_83 Depth=2
	s_or_b64 exec, exec, s[20:21]
	s_and_b64 s[18:19], s[18:19], exec
.LBB188_91:                             ;   in Loop: Header=BB188_83 Depth=2
	s_andn2_saveexec_b64 s[16:17], s[16:17]
	s_cbranch_execz .LBB188_82
; %bb.92:                               ;   in Loop: Header=BB188_83 Depth=2
	v_lshl_add_u32 v15, v14, 5, v16
	ds_add_f64 v15, v[12:13]
	s_andn2_b64 s[18:19], s[18:19], exec
	s_branch .LBB188_82
.LBB188_93:                             ;   in Loop: Header=BB188_69 Depth=1
	s_or_b64 exec, exec, s[8:9]
	v_mul_f64 v[10:11], v[4:5], v[10:11]
	s_mov_b64 s[8:9], 0
	v_mov_b32_e32 v12, v22
	s_branch .LBB188_95
.LBB188_94:                             ;   in Loop: Header=BB188_95 Depth=2
	s_or_b64 exec, exec, s[16:17]
	s_xor_b64 s[16:17], s[18:19], -1
	s_and_b64 s[16:17], exec, s[16:17]
	s_or_b64 s[8:9], s[16:17], s[8:9]
	s_andn2_b64 exec, exec, s[8:9]
	s_cbranch_execz .LBB188_105
.LBB188_95:                             ;   Parent Loop BB188_69 Depth=1
                                        ; =>  This Inner Loop Header: Depth=2
	v_lshl_add_u32 v13, v12, 2, v34
	ds_read_b32 v14, v13
                                        ; implicit-def: $sgpr18_sgpr19
	s_waitcnt lgkmcnt(0)
	v_cmp_ne_u32_e32 vcc, v14, v21
	s_and_saveexec_b64 s[16:17], vcc
	s_xor_b64 s[16:17], exec, s[16:17]
	s_cbranch_execz .LBB188_103
; %bb.96:                               ;   in Loop: Header=BB188_95 Depth=2
	v_cmp_ne_u32_e32 vcc, s30, v14
                                        ; implicit-def: $sgpr18_sgpr19
	s_and_saveexec_b64 s[20:21], vcc
	s_xor_b64 s[20:21], exec, s[20:21]
; %bb.97:                               ;   in Loop: Header=BB188_95 Depth=2
	v_add_u32_e32 v12, 1, v12
	v_and_b32_e32 v12, 15, v12
	s_mov_b64 s[18:19], -1
                                        ; implicit-def: $vgpr13
; %bb.98:                               ;   in Loop: Header=BB188_95 Depth=2
	s_andn2_saveexec_b64 s[20:21], s[20:21]
	s_cbranch_execz .LBB188_102
; %bb.99:                               ;   in Loop: Header=BB188_95 Depth=2
	v_mov_b32_e32 v14, s30
	ds_cmpst_rtn_b32 v13, v13, v14, v21
	s_mov_b64 s[22:23], -1
	s_waitcnt lgkmcnt(0)
	v_cmp_eq_u32_e32 vcc, s30, v13
	s_and_saveexec_b64 s[24:25], vcc
	s_cbranch_execz .LBB188_101
; %bb.100:                              ;   in Loop: Header=BB188_95 Depth=2
	v_lshl_add_u32 v13, v12, 5, v17
	ds_add_f64 v13, v[10:11]
	s_xor_b64 s[22:23], exec, -1
.LBB188_101:                            ;   in Loop: Header=BB188_95 Depth=2
	s_or_b64 exec, exec, s[24:25]
	s_andn2_b64 s[18:19], s[18:19], exec
	s_and_b64 s[22:23], s[22:23], exec
	s_or_b64 s[18:19], s[18:19], s[22:23]
.LBB188_102:                            ;   in Loop: Header=BB188_95 Depth=2
	s_or_b64 exec, exec, s[20:21]
	s_and_b64 s[18:19], s[18:19], exec
.LBB188_103:                            ;   in Loop: Header=BB188_95 Depth=2
	s_andn2_saveexec_b64 s[16:17], s[16:17]
	s_cbranch_execz .LBB188_94
; %bb.104:                              ;   in Loop: Header=BB188_95 Depth=2
	v_lshl_add_u32 v13, v12, 5, v17
	ds_add_f64 v13, v[10:11]
	s_andn2_b64 s[18:19], s[18:19], exec
	s_branch .LBB188_94
.LBB188_105:                            ;   in Loop: Header=BB188_69 Depth=1
	s_or_b64 exec, exec, s[8:9]
	s_waitcnt vmcnt(0)
	v_mul_f64 v[8:9], v[4:5], v[8:9]
	s_mov_b64 s[8:9], 0
	s_branch .LBB188_107
.LBB188_106:                            ;   in Loop: Header=BB188_107 Depth=2
	s_or_b64 exec, exec, s[16:17]
	s_xor_b64 s[16:17], s[18:19], -1
	s_and_b64 s[16:17], exec, s[16:17]
	s_or_b64 s[8:9], s[16:17], s[8:9]
	s_andn2_b64 exec, exec, s[8:9]
	s_cbranch_execz .LBB188_68
.LBB188_107:                            ;   Parent Loop BB188_69 Depth=1
                                        ; =>  This Inner Loop Header: Depth=2
	v_lshl_add_u32 v10, v22, 2, v34
	ds_read_b32 v11, v10
                                        ; implicit-def: $sgpr18_sgpr19
	s_waitcnt lgkmcnt(0)
	v_cmp_ne_u32_e32 vcc, v11, v21
	s_and_saveexec_b64 s[16:17], vcc
	s_xor_b64 s[16:17], exec, s[16:17]
	s_cbranch_execz .LBB188_115
; %bb.108:                              ;   in Loop: Header=BB188_107 Depth=2
	v_cmp_ne_u32_e32 vcc, s30, v11
                                        ; implicit-def: $sgpr18_sgpr19
	s_and_saveexec_b64 s[20:21], vcc
	s_xor_b64 s[20:21], exec, s[20:21]
; %bb.109:                              ;   in Loop: Header=BB188_107 Depth=2
	v_add_u32_e32 v10, 1, v22
	v_and_b32_e32 v22, 15, v10
	s_mov_b64 s[18:19], -1
                                        ; implicit-def: $vgpr10
; %bb.110:                              ;   in Loop: Header=BB188_107 Depth=2
	s_andn2_saveexec_b64 s[20:21], s[20:21]
	s_cbranch_execz .LBB188_114
; %bb.111:                              ;   in Loop: Header=BB188_107 Depth=2
	v_mov_b32_e32 v11, s30
	ds_cmpst_rtn_b32 v10, v10, v11, v21
	s_mov_b64 s[22:23], -1
	s_waitcnt lgkmcnt(0)
	v_cmp_eq_u32_e32 vcc, s30, v10
	s_and_saveexec_b64 s[24:25], vcc
	s_cbranch_execz .LBB188_113
; %bb.112:                              ;   in Loop: Header=BB188_107 Depth=2
	v_lshl_add_u32 v10, v22, 5, v18
	ds_add_f64 v10, v[8:9]
	s_xor_b64 s[22:23], exec, -1
.LBB188_113:                            ;   in Loop: Header=BB188_107 Depth=2
	s_or_b64 exec, exec, s[24:25]
	s_andn2_b64 s[18:19], s[18:19], exec
	s_and_b64 s[22:23], s[22:23], exec
	s_or_b64 s[18:19], s[18:19], s[22:23]
.LBB188_114:                            ;   in Loop: Header=BB188_107 Depth=2
	s_or_b64 exec, exec, s[20:21]
	s_and_b64 s[18:19], s[18:19], exec
.LBB188_115:                            ;   in Loop: Header=BB188_107 Depth=2
	s_andn2_saveexec_b64 s[16:17], s[16:17]
	s_cbranch_execz .LBB188_106
; %bb.116:                              ;   in Loop: Header=BB188_107 Depth=2
	v_lshl_add_u32 v10, v22, 5, v18
	ds_add_f64 v10, v[8:9]
	s_andn2_b64 s[18:19], s[18:19], exec
	s_branch .LBB188_106
.LBB188_117:
	s_or_b64 exec, exec, s[4:5]
.LBB188_118:
	s_waitcnt lgkmcnt(0)
	ds_read_b32 v0, v35
	s_waitcnt lgkmcnt(0)
	v_cmp_gt_i32_e32 vcc, s30, v0
	s_and_b64 exec, exec, vcc
	s_cbranch_execz .LBB188_120
; %bb.119:
	v_mov_b32_e32 v1, s15
	v_add_co_u32_e32 v2, vcc, s14, v6
	v_addc_co_u32_e32 v3, vcc, v1, v7, vcc
	global_load_dwordx2 v[18:19], v[2:3], off
	ds_read_b128 v[2:5], v34
	ds_read_b128 v[6:9], v34 offset:16
	ds_read_b128 v[10:13], v34 offset:32
	ds_read_b128 v[14:17], v34 offset:48
	s_cmp_eq_u32 s28, 0
	s_waitcnt lgkmcnt(3)
	v_cmp_gt_i32_e32 vcc, v0, v2
	v_cndmask_b32_e64 v1, 0, 1, vcc
	v_cmp_gt_i32_e32 vcc, v0, v3
	v_cndmask_b32_e64 v2, 0, 1, vcc
	v_cmp_gt_i32_e32 vcc, v0, v4
	v_cndmask_b32_e64 v3, 0, 1, vcc
	v_cmp_gt_i32_e32 vcc, v0, v5
	v_cndmask_b32_e64 v4, 0, 1, vcc
	s_waitcnt lgkmcnt(2)
	v_cmp_gt_i32_e32 vcc, v0, v6
	v_cndmask_b32_e64 v5, 0, 1, vcc
	v_cmp_gt_i32_e32 vcc, v0, v7
	v_cndmask_b32_e64 v6, 0, 1, vcc
	v_cmp_gt_i32_e32 vcc, v0, v8
	v_cndmask_b32_e64 v7, 0, 1, vcc
	v_cmp_gt_i32_e32 vcc, v0, v9
	v_cndmask_b32_e64 v8, 0, 1, vcc
	;; [unrolled: 9-line block ×3, first 2 shown]
	s_waitcnt lgkmcnt(0)
	v_cmp_gt_i32_e32 vcc, v0, v14
	v_cndmask_b32_e64 v13, 0, 1, vcc
	v_cmp_gt_i32_e32 vcc, v0, v15
	v_cndmask_b32_e64 v14, 0, 1, vcc
	s_waitcnt vmcnt(0)
	v_subrev_co_u32_e32 v15, vcc, s26, v18
	v_subbrev_co_u32_e32 v18, vcc, 0, v19, vcc
	v_add_co_u32_e32 v1, vcc, v15, v1
	v_addc_co_u32_e32 v15, vcc, 0, v18, vcc
	v_add_co_u32_e32 v1, vcc, v1, v2
	v_addc_co_u32_e32 v2, vcc, 0, v15, vcc
	;; [unrolled: 2-line block ×14, first 2 shown]
	v_cmp_gt_i32_e32 vcc, v0, v16
	v_cndmask_b32_e64 v3, 0, 1, vcc
	v_add_co_u32_e32 v1, vcc, v1, v3
	v_addc_co_u32_e32 v2, vcc, 0, v2, vcc
	v_cmp_gt_i32_e32 vcc, v0, v17
	v_cndmask_b32_e64 v3, 0, 1, vcc
	v_add_co_u32_e32 v4, vcc, v1, v3
	v_addc_co_u32_e32 v5, vcc, 0, v2, vcc
	v_add_u32_e32 v2, s26, v0
	v_lshlrev_b64 v[0:1], 2, v[4:5]
	v_mov_b32_e32 v3, s1
	v_add_co_u32_e32 v0, vcc, s0, v0
	v_addc_co_u32_e32 v1, vcc, v3, v1, vcc
	global_store_dword v[0:1], v2, off
	v_lshl_add_u32 v0, v32, 5, v33
	ds_read2_b64 v[0:3], v0 offset1:3
	v_lshlrev_b32_e32 v6, 2, v32
	s_cselect_b32 s0, 1, 2
	v_lshlrev_b64 v[8:9], 5, v[4:5]
	s_cselect_b32 s1, 2, 1
	v_or_b32_e32 v4, s0, v6
	v_lshl_add_u32 v7, v4, 3, v33
	s_waitcnt lgkmcnt(0)
	v_mov_b32_e32 v4, v0
	v_or_b32_e32 v0, s1, v6
	v_lshl_add_u32 v0, v0, 3, v33
	v_mov_b32_e32 v5, v1
	ds_read_b64 v[6:7], v7
	ds_read_b64 v[0:1], v0
	v_mov_b32_e32 v10, s3
	v_add_co_u32_e32 v8, vcc, s2, v8
	v_addc_co_u32_e32 v9, vcc, v10, v9, vcc
	s_waitcnt lgkmcnt(1)
	global_store_dwordx4 v[8:9], v[4:7], off
	s_waitcnt lgkmcnt(0)
	global_store_dwordx4 v[8:9], v[0:3], off offset:16
.LBB188_120:
	s_endpgm
	.section	.rodata,"a",@progbits
	.p2align	6, 0x0
	.amdhsa_kernel _ZN9rocsparseL27bsrgemm_fill_wf_per_row_2x2ILj256ELj16ELj16ELj137ElidEEv20rocsparse_direction_T4_S2_PKS2_S4_NS_24const_host_device_scalarIT5_EEPKT3_S4_PKS6_SA_S4_SC_S7_SA_S4_SC_SA_PS2_PS6_21rocsparse_index_base_SF_SF_SF_bbb
		.amdhsa_group_segment_fixed_size 9216
		.amdhsa_private_segment_fixed_size 0
		.amdhsa_kernarg_size 164
		.amdhsa_user_sgpr_count 6
		.amdhsa_user_sgpr_private_segment_buffer 1
		.amdhsa_user_sgpr_dispatch_ptr 0
		.amdhsa_user_sgpr_queue_ptr 0
		.amdhsa_user_sgpr_kernarg_segment_ptr 1
		.amdhsa_user_sgpr_dispatch_id 0
		.amdhsa_user_sgpr_flat_scratch_init 0
		.amdhsa_user_sgpr_kernarg_preload_length 0
		.amdhsa_user_sgpr_kernarg_preload_offset 0
		.amdhsa_user_sgpr_private_segment_size 0
		.amdhsa_uses_dynamic_stack 0
		.amdhsa_system_sgpr_private_segment_wavefront_offset 0
		.amdhsa_system_sgpr_workgroup_id_x 1
		.amdhsa_system_sgpr_workgroup_id_y 0
		.amdhsa_system_sgpr_workgroup_id_z 0
		.amdhsa_system_sgpr_workgroup_info 0
		.amdhsa_system_vgpr_workitem_id 0
		.amdhsa_next_free_vgpr 46
		.amdhsa_next_free_sgpr 55
		.amdhsa_accum_offset 48
		.amdhsa_reserve_vcc 1
		.amdhsa_reserve_flat_scratch 0
		.amdhsa_float_round_mode_32 0
		.amdhsa_float_round_mode_16_64 0
		.amdhsa_float_denorm_mode_32 3
		.amdhsa_float_denorm_mode_16_64 3
		.amdhsa_dx10_clamp 1
		.amdhsa_ieee_mode 1
		.amdhsa_fp16_overflow 0
		.amdhsa_tg_split 0
		.amdhsa_exception_fp_ieee_invalid_op 0
		.amdhsa_exception_fp_denorm_src 0
		.amdhsa_exception_fp_ieee_div_zero 0
		.amdhsa_exception_fp_ieee_overflow 0
		.amdhsa_exception_fp_ieee_underflow 0
		.amdhsa_exception_fp_ieee_inexact 0
		.amdhsa_exception_int_div_zero 0
	.end_amdhsa_kernel
	.section	.text._ZN9rocsparseL27bsrgemm_fill_wf_per_row_2x2ILj256ELj16ELj16ELj137ElidEEv20rocsparse_direction_T4_S2_PKS2_S4_NS_24const_host_device_scalarIT5_EEPKT3_S4_PKS6_SA_S4_SC_S7_SA_S4_SC_SA_PS2_PS6_21rocsparse_index_base_SF_SF_SF_bbb,"axG",@progbits,_ZN9rocsparseL27bsrgemm_fill_wf_per_row_2x2ILj256ELj16ELj16ELj137ElidEEv20rocsparse_direction_T4_S2_PKS2_S4_NS_24const_host_device_scalarIT5_EEPKT3_S4_PKS6_SA_S4_SC_S7_SA_S4_SC_SA_PS2_PS6_21rocsparse_index_base_SF_SF_SF_bbb,comdat
.Lfunc_end188:
	.size	_ZN9rocsparseL27bsrgemm_fill_wf_per_row_2x2ILj256ELj16ELj16ELj137ElidEEv20rocsparse_direction_T4_S2_PKS2_S4_NS_24const_host_device_scalarIT5_EEPKT3_S4_PKS6_SA_S4_SC_S7_SA_S4_SC_SA_PS2_PS6_21rocsparse_index_base_SF_SF_SF_bbb, .Lfunc_end188-_ZN9rocsparseL27bsrgemm_fill_wf_per_row_2x2ILj256ELj16ELj16ELj137ElidEEv20rocsparse_direction_T4_S2_PKS2_S4_NS_24const_host_device_scalarIT5_EEPKT3_S4_PKS6_SA_S4_SC_S7_SA_S4_SC_SA_PS2_PS6_21rocsparse_index_base_SF_SF_SF_bbb
                                        ; -- End function
	.section	.AMDGPU.csdata,"",@progbits
; Kernel info:
; codeLenInByte = 3716
; NumSgprs: 59
; NumVgprs: 46
; NumAgprs: 0
; TotalNumVgprs: 46
; ScratchSize: 0
; MemoryBound: 0
; FloatMode: 240
; IeeeMode: 1
; LDSByteSize: 9216 bytes/workgroup (compile time only)
; SGPRBlocks: 7
; VGPRBlocks: 5
; NumSGPRsForWavesPerEU: 59
; NumVGPRsForWavesPerEU: 46
; AccumOffset: 48
; Occupancy: 7
; WaveLimiterHint : 1
; COMPUTE_PGM_RSRC2:SCRATCH_EN: 0
; COMPUTE_PGM_RSRC2:USER_SGPR: 6
; COMPUTE_PGM_RSRC2:TRAP_HANDLER: 0
; COMPUTE_PGM_RSRC2:TGID_X_EN: 1
; COMPUTE_PGM_RSRC2:TGID_Y_EN: 0
; COMPUTE_PGM_RSRC2:TGID_Z_EN: 0
; COMPUTE_PGM_RSRC2:TIDIG_COMP_CNT: 0
; COMPUTE_PGM_RSRC3_GFX90A:ACCUM_OFFSET: 11
; COMPUTE_PGM_RSRC3_GFX90A:TG_SPLIT: 0
	.section	.text._ZN9rocsparseL27bsrgemm_fill_wf_per_row_2x2ILj256ELj16ELj32ELj137ElidEEv20rocsparse_direction_T4_S2_PKS2_S4_NS_24const_host_device_scalarIT5_EEPKT3_S4_PKS6_SA_S4_SC_S7_SA_S4_SC_SA_PS2_PS6_21rocsparse_index_base_SF_SF_SF_bbb,"axG",@progbits,_ZN9rocsparseL27bsrgemm_fill_wf_per_row_2x2ILj256ELj16ELj32ELj137ElidEEv20rocsparse_direction_T4_S2_PKS2_S4_NS_24const_host_device_scalarIT5_EEPKT3_S4_PKS6_SA_S4_SC_S7_SA_S4_SC_SA_PS2_PS6_21rocsparse_index_base_SF_SF_SF_bbb,comdat
	.globl	_ZN9rocsparseL27bsrgemm_fill_wf_per_row_2x2ILj256ELj16ELj32ELj137ElidEEv20rocsparse_direction_T4_S2_PKS2_S4_NS_24const_host_device_scalarIT5_EEPKT3_S4_PKS6_SA_S4_SC_S7_SA_S4_SC_SA_PS2_PS6_21rocsparse_index_base_SF_SF_SF_bbb ; -- Begin function _ZN9rocsparseL27bsrgemm_fill_wf_per_row_2x2ILj256ELj16ELj32ELj137ElidEEv20rocsparse_direction_T4_S2_PKS2_S4_NS_24const_host_device_scalarIT5_EEPKT3_S4_PKS6_SA_S4_SC_S7_SA_S4_SC_SA_PS2_PS6_21rocsparse_index_base_SF_SF_SF_bbb
	.p2align	8
	.type	_ZN9rocsparseL27bsrgemm_fill_wf_per_row_2x2ILj256ELj16ELj32ELj137ElidEEv20rocsparse_direction_T4_S2_PKS2_S4_NS_24const_host_device_scalarIT5_EEPKT3_S4_PKS6_SA_S4_SC_S7_SA_S4_SC_SA_PS2_PS6_21rocsparse_index_base_SF_SF_SF_bbb,@function
_ZN9rocsparseL27bsrgemm_fill_wf_per_row_2x2ILj256ELj16ELj32ELj137ElidEEv20rocsparse_direction_T4_S2_PKS2_S4_NS_24const_host_device_scalarIT5_EEPKT3_S4_PKS6_SA_S4_SC_S7_SA_S4_SC_SA_PS2_PS6_21rocsparse_index_base_SF_SF_SF_bbb: ; @_ZN9rocsparseL27bsrgemm_fill_wf_per_row_2x2ILj256ELj16ELj32ELj137ElidEEv20rocsparse_direction_T4_S2_PKS2_S4_NS_24const_host_device_scalarIT5_EEPKT3_S4_PKS6_SA_S4_SC_S7_SA_S4_SC_SA_PS2_PS6_21rocsparse_index_base_SF_SF_SF_bbb
; %bb.0:
	s_load_dword s7, s[4:5], 0xa0
	s_load_dwordx4 s[0:3], s[4:5], 0x90
	s_load_dwordx2 s[8:9], s[4:5], 0x20
	s_load_dwordx2 s[28:29], s[4:5], 0x58
	s_waitcnt lgkmcnt(0)
	s_and_b32 s10, 1, s7
	s_bitcmp1_b32 s7, 16
	s_cselect_b64 s[30:31], -1, 0
	s_cmp_eq_u32 s10, 1
	s_cselect_b64 s[44:45], -1, 0
	s_and_b64 s[10:11], s[44:45], exec
	s_cselect_b32 s11, s9, 0
	s_cselect_b32 s10, s8, 0
	s_xor_b64 s[12:13], s[44:45], -1
	s_or_b64 s[12:13], s[12:13], s[30:31]
	s_and_b64 vcc, exec, s[12:13]
	v_pk_mov_b32 v[8:9], s[10:11], s[10:11] op_sel:[0,1]
	s_cbranch_vccnz .LBB189_2
; %bb.1:
	v_pk_mov_b32 v[2:3], s[8:9], s[8:9] op_sel:[0,1]
	flat_load_dwordx2 v[8:9], v[2:3]
.LBB189_2:
	s_load_dwordx4 s[24:27], s[4:5], 0x80
	s_load_dwordx8 s[8:15], s[4:5], 0x60
	s_load_dwordx4 s[36:39], s[4:5], 0x48
	s_load_dwordx4 s[40:43], s[4:5], 0x10
	s_load_dwordx8 s[16:23], s[4:5], 0x28
	s_bitcmp1_b32 s7, 8
	s_cselect_b64 s[34:35], -1, 0
	s_and_b64 s[46:47], s[34:35], exec
	s_cselect_b32 s47, s29, 0
	s_cselect_b32 s46, s28, 0
	s_xor_b64 s[48:49], s[34:35], -1
	s_or_b64 s[30:31], s[48:49], s[30:31]
	s_and_b64 vcc, exec, s[30:31]
	v_pk_mov_b32 v[4:5], s[46:47], s[46:47] op_sel:[0,1]
	s_cbranch_vccnz .LBB189_4
; %bb.3:
	v_pk_mov_b32 v[2:3], s[28:29], s[28:29] op_sel:[0,1]
	flat_load_dwordx2 v[4:5], v[2:3]
.LBB189_4:
	s_load_dwordx4 s[28:31], s[4:5], 0x0
	v_and_b32_e32 v34, 15, v0
	v_lshrrev_b32_e32 v36, 4, v0
	v_mov_b32_e32 v0, 0x4000
	v_lshl_or_b32 v32, v36, 7, v0
	v_lshl_or_b32 v0, v34, 2, v32
	s_waitcnt lgkmcnt(0)
	v_mov_b32_e32 v1, s30
	ds_write2_b32 v0, v1, v1 offset1:16
	v_or_b32_e32 v33, -16, v34
	v_lshlrev_b32_e32 v35, 10, v36
	v_mov_b32_e32 v0, 0
	v_lshl_or_b32 v2, v34, 3, v35
	s_mov_b64 s[4:5], 0
	v_mov_b32_e32 v1, v0
	s_movk_i32 s7, 0x6f
	v_mov_b32_e32 v3, v33
.LBB189_5:                              ; =>This Inner Loop Header: Depth=1
	v_add_u32_e32 v3, 16, v3
	v_cmp_lt_u32_e32 vcc, s7, v3
	ds_write_b64 v2, v[0:1]
	s_or_b64 s[4:5], vcc, s[4:5]
	v_add_u32_e32 v2, 0x80, v2
	s_andn2_b64 exec, exec, s[4:5]
	s_cbranch_execnz .LBB189_5
; %bb.6:
	s_or_b64 exec, exec, s[4:5]
	v_lshl_or_b32 v0, s6, 4, v36
	v_cmp_gt_i32_e32 vcc, s29, v0
	s_waitcnt lgkmcnt(0)
	s_barrier
	s_and_saveexec_b64 s[4:5], vcc
	s_cbranch_execz .LBB189_122
; %bb.7:
	s_cmp_eq_u64 s[42:43], 0
	s_cbranch_scc1 .LBB189_9
; %bb.8:
	s_load_dword s4, s[40:41], 0x0
	v_mov_b32_e32 v2, s43
	s_waitcnt lgkmcnt(0)
	v_add_u32_e32 v0, s4, v0
	v_ashrrev_i32_e32 v1, 31, v0
	v_lshlrev_b64 v[0:1], 2, v[0:1]
	v_add_co_u32_e32 v0, vcc, s42, v0
	v_addc_co_u32_e32 v1, vcc, v2, v1, vcc
	global_load_dword v0, v[0:1], off
.LBB189_9:
	s_waitcnt vmcnt(0)
	v_ashrrev_i32_e32 v1, 31, v0
	s_andn2_b64 vcc, exec, s[44:45]
	v_lshlrev_b64 v[6:7], 3, v[0:1]
	s_cbranch_vccnz .LBB189_65
; %bb.10:
	v_mov_b32_e32 v1, s17
	v_add_co_u32_e32 v0, vcc, s16, v6
	v_addc_co_u32_e32 v1, vcc, v1, v7, vcc
	global_load_dwordx4 v[0:3], v[0:1], off
	v_subrev_co_u32_e32 v12, vcc, s0, v34
	v_subb_co_u32_e64 v13, s[4:5], 0, 0, vcc
	s_mov_b32 s29, 0
	s_waitcnt vmcnt(0)
	v_subrev_co_u32_e32 v10, vcc, s0, v2
	v_subbrev_co_u32_e32 v11, vcc, 0, v3, vcc
	v_add_co_u32_e32 v12, vcc, v0, v12
	v_addc_co_u32_e32 v13, vcc, v1, v13, vcc
	v_cmp_lt_i64_e32 vcc, v[12:13], v[10:11]
	s_and_saveexec_b64 s[4:5], vcc
	s_cbranch_execz .LBB189_64
; %bb.11:
	s_cmp_eq_u32 s28, 0
	s_mov_b32 s31, s1
	s_cselect_b32 s33, 1, 2
	s_cselect_b32 s54, 2, 1
	v_add_u32_e32 v37, 8, v35
	v_add_u32_e32 v38, 16, v35
	;; [unrolled: 1-line block ×3, first 2 shown]
	s_mov_b64 s[6:7], 0
	v_mov_b32_e32 v40, s19
	v_mov_b32_e32 v41, s23
	s_branch .LBB189_13
.LBB189_12:                             ;   in Loop: Header=BB189_13 Depth=1
	s_or_b64 exec, exec, s[16:17]
	v_add_co_u32_e32 v12, vcc, 16, v12
	v_addc_co_u32_e32 v13, vcc, 0, v13, vcc
	v_cmp_ge_i64_e32 vcc, v[12:13], v[10:11]
	s_or_b64 s[6:7], vcc, s[6:7]
	s_andn2_b64 exec, exec, s[6:7]
	s_cbranch_execz .LBB189_64
.LBB189_13:                             ; =>This Loop Header: Depth=1
                                        ;     Child Loop BB189_16 Depth 2
                                        ;       Child Loop BB189_18 Depth 3
                                        ;       Child Loop BB189_30 Depth 3
	;; [unrolled: 1-line block ×4, first 2 shown]
	v_lshlrev_b64 v[14:15], 2, v[12:13]
	v_add_co_u32_e32 v0, vcc, s18, v14
	v_addc_co_u32_e32 v1, vcc, v40, v15, vcc
	global_load_dword v0, v[0:1], off
	s_waitcnt vmcnt(0)
	v_subrev_u32_e32 v0, s0, v0
	v_ashrrev_i32_e32 v1, 31, v0
	v_lshlrev_b64 v[0:1], 3, v[0:1]
	v_add_co_u32_e32 v0, vcc, s22, v0
	v_addc_co_u32_e32 v1, vcc, v41, v1, vcc
	global_load_dwordx4 v[0:3], v[0:1], off
	s_waitcnt vmcnt(0)
	v_cmp_lt_i64_e32 vcc, v[0:1], v[2:3]
	s_and_saveexec_b64 s[16:17], vcc
	s_cbranch_execz .LBB189_12
; %bb.14:                               ;   in Loop: Header=BB189_13 Depth=1
	v_lshlrev_b64 v[18:19], 5, v[12:13]
	v_or_b32_e32 v17, 0, v15
	v_or_b32_e32 v16, s33, v14
	;; [unrolled: 1-line block ×4, first 2 shown]
	v_mov_b32_e32 v20, s21
	v_add_co_u32_e32 v18, vcc, s20, v18
	v_addc_co_u32_e32 v19, vcc, v20, v19, vcc
	v_lshlrev_b64 v[14:15], 3, v[14:15]
	v_add_co_u32_e32 v14, vcc, s20, v14
	v_addc_co_u32_e32 v15, vcc, v20, v15, vcc
	v_lshlrev_b64 v[16:17], 3, v[16:17]
	v_add_co_u32_e32 v16, vcc, s20, v16
	v_addc_co_u32_e32 v17, vcc, v20, v17, vcc
	global_load_dwordx2 v[20:21], v[18:19], off offset:24
	global_load_dwordx2 v[22:23], v[14:15], off
	global_load_dwordx2 v[24:25], v[16:17], off
	;; [unrolled: 1-line block ×3, first 2 shown]
	v_mov_b32_e32 v14, s29
	v_subrev_co_u32_e32 v2, vcc, s31, v2
	v_subb_co_u32_e32 v3, vcc, v3, v14, vcc
	v_subrev_co_u32_e32 v0, vcc, s31, v0
	v_subb_co_u32_e32 v1, vcc, v1, v14, vcc
	s_mov_b64 s[40:41], 0
	s_waitcnt vmcnt(3)
	v_mul_f64 v[14:15], v[8:9], v[20:21]
	s_waitcnt vmcnt(2)
	v_mul_f64 v[16:17], v[8:9], v[22:23]
	;; [unrolled: 2-line block ×4, first 2 shown]
	s_branch .LBB189_16
.LBB189_15:                             ;   in Loop: Header=BB189_16 Depth=2
	s_or_b64 exec, exec, s[42:43]
	v_add_co_u32_e32 v0, vcc, 1, v0
	v_addc_co_u32_e32 v1, vcc, 0, v1, vcc
	v_cmp_ge_i64_e32 vcc, v[0:1], v[2:3]
	s_or_b64 s[40:41], vcc, s[40:41]
	s_andn2_b64 exec, exec, s[40:41]
	s_cbranch_execz .LBB189_12
.LBB189_16:                             ;   Parent Loop BB189_13 Depth=1
                                        ; =>  This Loop Header: Depth=2
                                        ;       Child Loop BB189_18 Depth 3
                                        ;       Child Loop BB189_30 Depth 3
                                        ;       Child Loop BB189_42 Depth 3
                                        ;       Child Loop BB189_54 Depth 3
	v_lshlrev_b64 v[22:23], 2, v[0:1]
	v_mov_b32_e32 v25, s37
	v_add_co_u32_e32 v24, vcc, s36, v22
	v_addc_co_u32_e32 v25, vcc, v25, v23, vcc
	v_lshlrev_b64 v[26:27], 5, v[0:1]
	global_load_dword v44, v[24:25], off
	v_or_b32_e32 v25, 0, v23
	v_or_b32_e32 v24, s33, v22
	;; [unrolled: 1-line block ×4, first 2 shown]
	v_mov_b32_e32 v43, s39
	v_add_co_u32_e32 v30, vcc, s38, v26
	v_addc_co_u32_e32 v31, vcc, v43, v27, vcc
	v_lshlrev_b64 v[22:23], 3, v[22:23]
	v_add_co_u32_e32 v22, vcc, s38, v22
	v_lshlrev_b64 v[24:25], 3, v[24:25]
	v_addc_co_u32_e32 v23, vcc, v43, v23, vcc
	global_load_dwordx2 v[26:27], v[30:31], off
	global_load_dwordx2 v[28:29], v[22:23], off
	v_add_co_u32_e32 v42, vcc, s38, v24
	v_addc_co_u32_e32 v43, vcc, v43, v25, vcc
	global_load_dwordx2 v[22:23], v[42:43], off
	global_load_dwordx2 v[24:25], v[30:31], off offset:24
	s_mov_b64 s[42:43], 0
	s_waitcnt vmcnt(4)
	v_subrev_u32_e32 v42, s1, v44
	v_lshl_add_u32 v43, v42, 3, v42
	v_and_b32_e32 v43, 31, v43
	v_mov_b32_e32 v44, v43
	s_waitcnt vmcnt(2)
	v_mul_f64 v[30:31], v[20:21], v[28:29]
	v_fmac_f64_e32 v[30:31], v[18:19], v[26:27]
	s_branch .LBB189_18
.LBB189_17:                             ;   in Loop: Header=BB189_18 Depth=3
	s_or_b64 exec, exec, s[44:45]
	s_xor_b64 s[44:45], s[46:47], -1
	s_and_b64 s[44:45], exec, s[44:45]
	s_or_b64 s[42:43], s[44:45], s[42:43]
	s_andn2_b64 exec, exec, s[42:43]
	s_cbranch_execz .LBB189_28
.LBB189_18:                             ;   Parent Loop BB189_13 Depth=1
                                        ;     Parent Loop BB189_16 Depth=2
                                        ; =>    This Inner Loop Header: Depth=3
	v_lshl_add_u32 v45, v44, 2, v32
	ds_read_b32 v46, v45
                                        ; implicit-def: $sgpr46_sgpr47
	s_waitcnt lgkmcnt(0)
	v_cmp_ne_u32_e32 vcc, v46, v42
	s_and_saveexec_b64 s[44:45], vcc
	s_xor_b64 s[44:45], exec, s[44:45]
	s_cbranch_execz .LBB189_26
; %bb.19:                               ;   in Loop: Header=BB189_18 Depth=3
	v_cmp_ne_u32_e32 vcc, s30, v46
                                        ; implicit-def: $sgpr46_sgpr47
	s_and_saveexec_b64 s[48:49], vcc
	s_xor_b64 s[48:49], exec, s[48:49]
; %bb.20:                               ;   in Loop: Header=BB189_18 Depth=3
	v_add_u32_e32 v44, 1, v44
	v_and_b32_e32 v44, 31, v44
	s_mov_b64 s[46:47], -1
                                        ; implicit-def: $vgpr45
; %bb.21:                               ;   in Loop: Header=BB189_18 Depth=3
	s_andn2_saveexec_b64 s[48:49], s[48:49]
	s_cbranch_execz .LBB189_25
; %bb.22:                               ;   in Loop: Header=BB189_18 Depth=3
	v_mov_b32_e32 v46, s30
	ds_cmpst_rtn_b32 v45, v45, v46, v42
	s_mov_b64 s[50:51], -1
	s_waitcnt lgkmcnt(0)
	v_cmp_eq_u32_e32 vcc, s30, v45
	s_and_saveexec_b64 s[52:53], vcc
	s_cbranch_execz .LBB189_24
; %bb.23:                               ;   in Loop: Header=BB189_18 Depth=3
	v_lshl_add_u32 v45, v44, 5, v35
	ds_add_f64 v45, v[30:31]
	s_xor_b64 s[50:51], exec, -1
.LBB189_24:                             ;   in Loop: Header=BB189_18 Depth=3
	s_or_b64 exec, exec, s[52:53]
	s_andn2_b64 s[46:47], s[46:47], exec
	s_and_b64 s[50:51], s[50:51], exec
	s_or_b64 s[46:47], s[46:47], s[50:51]
.LBB189_25:                             ;   in Loop: Header=BB189_18 Depth=3
	s_or_b64 exec, exec, s[48:49]
	s_and_b64 s[46:47], s[46:47], exec
.LBB189_26:                             ;   in Loop: Header=BB189_18 Depth=3
	s_andn2_saveexec_b64 s[44:45], s[44:45]
	s_cbranch_execz .LBB189_17
; %bb.27:                               ;   in Loop: Header=BB189_18 Depth=3
	v_lshl_add_u32 v45, v44, 5, v35
	ds_add_f64 v45, v[30:31]
	s_andn2_b64 s[46:47], s[46:47], exec
	s_branch .LBB189_17
.LBB189_28:                             ;   in Loop: Header=BB189_16 Depth=2
	s_or_b64 exec, exec, s[42:43]
	s_waitcnt vmcnt(0)
	v_mul_f64 v[30:31], v[20:21], v[24:25]
	v_fmac_f64_e32 v[30:31], v[18:19], v[22:23]
	s_mov_b64 s[42:43], 0
	v_mov_b32_e32 v44, v43
	s_branch .LBB189_30
.LBB189_29:                             ;   in Loop: Header=BB189_30 Depth=3
	s_or_b64 exec, exec, s[44:45]
	s_xor_b64 s[44:45], s[46:47], -1
	s_and_b64 s[44:45], exec, s[44:45]
	s_or_b64 s[42:43], s[44:45], s[42:43]
	s_andn2_b64 exec, exec, s[42:43]
	s_cbranch_execz .LBB189_40
.LBB189_30:                             ;   Parent Loop BB189_13 Depth=1
                                        ;     Parent Loop BB189_16 Depth=2
                                        ; =>    This Inner Loop Header: Depth=3
	v_lshl_add_u32 v45, v44, 2, v32
	ds_read_b32 v46, v45
                                        ; implicit-def: $sgpr46_sgpr47
	s_waitcnt lgkmcnt(0)
	v_cmp_ne_u32_e32 vcc, v46, v42
	s_and_saveexec_b64 s[44:45], vcc
	s_xor_b64 s[44:45], exec, s[44:45]
	s_cbranch_execz .LBB189_38
; %bb.31:                               ;   in Loop: Header=BB189_30 Depth=3
	v_cmp_ne_u32_e32 vcc, s30, v46
                                        ; implicit-def: $sgpr46_sgpr47
	s_and_saveexec_b64 s[48:49], vcc
	s_xor_b64 s[48:49], exec, s[48:49]
; %bb.32:                               ;   in Loop: Header=BB189_30 Depth=3
	v_add_u32_e32 v44, 1, v44
	v_and_b32_e32 v44, 31, v44
	s_mov_b64 s[46:47], -1
                                        ; implicit-def: $vgpr45
; %bb.33:                               ;   in Loop: Header=BB189_30 Depth=3
	s_andn2_saveexec_b64 s[48:49], s[48:49]
	s_cbranch_execz .LBB189_37
; %bb.34:                               ;   in Loop: Header=BB189_30 Depth=3
	v_mov_b32_e32 v46, s30
	ds_cmpst_rtn_b32 v45, v45, v46, v42
	s_mov_b64 s[50:51], -1
	s_waitcnt lgkmcnt(0)
	v_cmp_eq_u32_e32 vcc, s30, v45
	s_and_saveexec_b64 s[52:53], vcc
	s_cbranch_execz .LBB189_36
; %bb.35:                               ;   in Loop: Header=BB189_30 Depth=3
	v_lshl_add_u32 v45, v44, 5, v37
	ds_add_f64 v45, v[30:31]
	s_xor_b64 s[50:51], exec, -1
.LBB189_36:                             ;   in Loop: Header=BB189_30 Depth=3
	s_or_b64 exec, exec, s[52:53]
	s_andn2_b64 s[46:47], s[46:47], exec
	s_and_b64 s[50:51], s[50:51], exec
	s_or_b64 s[46:47], s[46:47], s[50:51]
.LBB189_37:                             ;   in Loop: Header=BB189_30 Depth=3
	s_or_b64 exec, exec, s[48:49]
	s_and_b64 s[46:47], s[46:47], exec
.LBB189_38:                             ;   in Loop: Header=BB189_30 Depth=3
	s_andn2_saveexec_b64 s[44:45], s[44:45]
	s_cbranch_execz .LBB189_29
; %bb.39:                               ;   in Loop: Header=BB189_30 Depth=3
	v_lshl_add_u32 v45, v44, 5, v37
	ds_add_f64 v45, v[30:31]
	s_andn2_b64 s[46:47], s[46:47], exec
	s_branch .LBB189_29
.LBB189_40:                             ;   in Loop: Header=BB189_16 Depth=2
	s_or_b64 exec, exec, s[42:43]
	v_mul_f64 v[28:29], v[14:15], v[28:29]
	v_fmac_f64_e32 v[28:29], v[16:17], v[26:27]
	s_mov_b64 s[42:43], 0
	v_mov_b32_e32 v26, v43
	s_branch .LBB189_42
.LBB189_41:                             ;   in Loop: Header=BB189_42 Depth=3
	s_or_b64 exec, exec, s[44:45]
	s_xor_b64 s[44:45], s[46:47], -1
	s_and_b64 s[44:45], exec, s[44:45]
	s_or_b64 s[42:43], s[44:45], s[42:43]
	s_andn2_b64 exec, exec, s[42:43]
	s_cbranch_execz .LBB189_52
.LBB189_42:                             ;   Parent Loop BB189_13 Depth=1
                                        ;     Parent Loop BB189_16 Depth=2
                                        ; =>    This Inner Loop Header: Depth=3
	v_lshl_add_u32 v27, v26, 2, v32
	ds_read_b32 v30, v27
                                        ; implicit-def: $sgpr46_sgpr47
	s_waitcnt lgkmcnt(0)
	v_cmp_ne_u32_e32 vcc, v30, v42
	s_and_saveexec_b64 s[44:45], vcc
	s_xor_b64 s[44:45], exec, s[44:45]
	s_cbranch_execz .LBB189_50
; %bb.43:                               ;   in Loop: Header=BB189_42 Depth=3
	v_cmp_ne_u32_e32 vcc, s30, v30
                                        ; implicit-def: $sgpr46_sgpr47
	s_and_saveexec_b64 s[48:49], vcc
	s_xor_b64 s[48:49], exec, s[48:49]
; %bb.44:                               ;   in Loop: Header=BB189_42 Depth=3
	v_add_u32_e32 v26, 1, v26
	v_and_b32_e32 v26, 31, v26
	s_mov_b64 s[46:47], -1
                                        ; implicit-def: $vgpr27
; %bb.45:                               ;   in Loop: Header=BB189_42 Depth=3
	s_andn2_saveexec_b64 s[48:49], s[48:49]
	s_cbranch_execz .LBB189_49
; %bb.46:                               ;   in Loop: Header=BB189_42 Depth=3
	v_mov_b32_e32 v30, s30
	ds_cmpst_rtn_b32 v27, v27, v30, v42
	s_mov_b64 s[50:51], -1
	s_waitcnt lgkmcnt(0)
	v_cmp_eq_u32_e32 vcc, s30, v27
	s_and_saveexec_b64 s[52:53], vcc
	s_cbranch_execz .LBB189_48
; %bb.47:                               ;   in Loop: Header=BB189_42 Depth=3
	v_lshl_add_u32 v27, v26, 5, v38
	ds_add_f64 v27, v[28:29]
	s_xor_b64 s[50:51], exec, -1
.LBB189_48:                             ;   in Loop: Header=BB189_42 Depth=3
	s_or_b64 exec, exec, s[52:53]
	s_andn2_b64 s[46:47], s[46:47], exec
	s_and_b64 s[50:51], s[50:51], exec
	s_or_b64 s[46:47], s[46:47], s[50:51]
.LBB189_49:                             ;   in Loop: Header=BB189_42 Depth=3
	s_or_b64 exec, exec, s[48:49]
	s_and_b64 s[46:47], s[46:47], exec
.LBB189_50:                             ;   in Loop: Header=BB189_42 Depth=3
	s_andn2_saveexec_b64 s[44:45], s[44:45]
	s_cbranch_execz .LBB189_41
; %bb.51:                               ;   in Loop: Header=BB189_42 Depth=3
	v_lshl_add_u32 v27, v26, 5, v38
	ds_add_f64 v27, v[28:29]
	s_andn2_b64 s[46:47], s[46:47], exec
	s_branch .LBB189_41
.LBB189_52:                             ;   in Loop: Header=BB189_16 Depth=2
	s_or_b64 exec, exec, s[42:43]
	v_mul_f64 v[24:25], v[14:15], v[24:25]
	v_fmac_f64_e32 v[24:25], v[16:17], v[22:23]
	s_mov_b64 s[42:43], 0
	s_branch .LBB189_54
.LBB189_53:                             ;   in Loop: Header=BB189_54 Depth=3
	s_or_b64 exec, exec, s[44:45]
	s_xor_b64 s[44:45], s[46:47], -1
	s_and_b64 s[44:45], exec, s[44:45]
	s_or_b64 s[42:43], s[44:45], s[42:43]
	s_andn2_b64 exec, exec, s[42:43]
	s_cbranch_execz .LBB189_15
.LBB189_54:                             ;   Parent Loop BB189_13 Depth=1
                                        ;     Parent Loop BB189_16 Depth=2
                                        ; =>    This Inner Loop Header: Depth=3
	v_lshl_add_u32 v22, v43, 2, v32
	ds_read_b32 v23, v22
                                        ; implicit-def: $sgpr46_sgpr47
	s_waitcnt lgkmcnt(0)
	v_cmp_ne_u32_e32 vcc, v23, v42
	s_and_saveexec_b64 s[44:45], vcc
	s_xor_b64 s[44:45], exec, s[44:45]
	s_cbranch_execz .LBB189_62
; %bb.55:                               ;   in Loop: Header=BB189_54 Depth=3
	v_cmp_ne_u32_e32 vcc, s30, v23
                                        ; implicit-def: $sgpr46_sgpr47
	s_and_saveexec_b64 s[48:49], vcc
	s_xor_b64 s[48:49], exec, s[48:49]
; %bb.56:                               ;   in Loop: Header=BB189_54 Depth=3
	v_add_u32_e32 v22, 1, v43
	v_and_b32_e32 v43, 31, v22
	s_mov_b64 s[46:47], -1
                                        ; implicit-def: $vgpr22
; %bb.57:                               ;   in Loop: Header=BB189_54 Depth=3
	s_andn2_saveexec_b64 s[48:49], s[48:49]
	s_cbranch_execz .LBB189_61
; %bb.58:                               ;   in Loop: Header=BB189_54 Depth=3
	v_mov_b32_e32 v23, s30
	ds_cmpst_rtn_b32 v22, v22, v23, v42
	s_mov_b64 s[50:51], -1
	s_waitcnt lgkmcnt(0)
	v_cmp_eq_u32_e32 vcc, s30, v22
	s_and_saveexec_b64 s[52:53], vcc
	s_cbranch_execz .LBB189_60
; %bb.59:                               ;   in Loop: Header=BB189_54 Depth=3
	v_lshl_add_u32 v22, v43, 5, v39
	ds_add_f64 v22, v[24:25]
	s_xor_b64 s[50:51], exec, -1
.LBB189_60:                             ;   in Loop: Header=BB189_54 Depth=3
	s_or_b64 exec, exec, s[52:53]
	s_andn2_b64 s[46:47], s[46:47], exec
	s_and_b64 s[50:51], s[50:51], exec
	s_or_b64 s[46:47], s[46:47], s[50:51]
.LBB189_61:                             ;   in Loop: Header=BB189_54 Depth=3
	s_or_b64 exec, exec, s[48:49]
	s_and_b64 s[46:47], s[46:47], exec
.LBB189_62:                             ;   in Loop: Header=BB189_54 Depth=3
	s_andn2_saveexec_b64 s[44:45], s[44:45]
	s_cbranch_execz .LBB189_53
; %bb.63:                               ;   in Loop: Header=BB189_54 Depth=3
	v_lshl_add_u32 v22, v43, 5, v39
	ds_add_f64 v22, v[24:25]
	s_andn2_b64 s[46:47], s[46:47], exec
	s_branch .LBB189_53
.LBB189_64:
	s_or_b64 exec, exec, s[4:5]
.LBB189_65:
	v_lshlrev_b32_e32 v16, 7, v36
	s_andn2_b64 vcc, exec, s[34:35]
	s_waitcnt lgkmcnt(0)
	s_cbranch_vccnz .LBB189_118
; %bb.66:
	v_mov_b32_e32 v1, s9
	v_add_co_u32_e32 v0, vcc, s8, v6
	v_addc_co_u32_e32 v1, vcc, v1, v7, vcc
	global_load_dwordx4 v[8:11], v[0:1], off
	v_subrev_co_u32_e32 v2, vcc, s3, v34
	v_subb_co_u32_e64 v3, s[0:1], 0, 0, vcc
	s_waitcnt vmcnt(0)
	v_subrev_co_u32_e32 v0, vcc, s3, v10
	v_subbrev_co_u32_e32 v1, vcc, 0, v11, vcc
	v_add_co_u32_e32 v2, vcc, v8, v2
	v_addc_co_u32_e32 v3, vcc, v9, v3, vcc
	v_cmp_lt_i64_e32 vcc, v[2:3], v[0:1]
	s_and_saveexec_b64 s[0:1], vcc
	s_cbranch_execz .LBB189_117
; %bb.67:
	s_cmp_eq_u32 s28, 0
	s_cselect_b32 s29, 1, 2
	s_cselect_b32 s31, 2, 1
	v_add_u32_e32 v17, 8, v35
	v_add_u32_e32 v18, 16, v35
	;; [unrolled: 1-line block ×3, first 2 shown]
	s_mov_b64 s[4:5], 0
	v_mov_b32_e32 v20, s13
	v_mov_b32_e32 v21, s11
	s_branch .LBB189_69
.LBB189_68:                             ;   in Loop: Header=BB189_69 Depth=1
	s_or_b64 exec, exec, s[6:7]
	v_add_co_u32_e32 v2, vcc, 16, v2
	v_addc_co_u32_e32 v3, vcc, 0, v3, vcc
	v_cmp_ge_i64_e32 vcc, v[2:3], v[0:1]
	s_or_b64 s[4:5], vcc, s[4:5]
	s_andn2_b64 exec, exec, s[4:5]
	s_cbranch_execz .LBB189_117
.LBB189_69:                             ; =>This Loop Header: Depth=1
                                        ;     Child Loop BB189_71 Depth 2
                                        ;     Child Loop BB189_83 Depth 2
	;; [unrolled: 1-line block ×4, first 2 shown]
	v_lshlrev_b64 v[8:9], 2, v[2:3]
	v_lshlrev_b64 v[14:15], 5, v[2:3]
	v_or_b32_e32 v11, 0, v9
	v_or_b32_e32 v10, s29, v8
	v_add_co_u32_e32 v14, vcc, s12, v14
	v_addc_co_u32_e32 v15, vcc, v20, v15, vcc
	v_lshlrev_b64 v[10:11], 3, v[10:11]
	v_add_co_u32_e32 v24, vcc, s12, v10
	v_addc_co_u32_e32 v25, vcc, v20, v11, vcc
	v_or_b32_e32 v12, s31, v8
	v_add_co_u32_e32 v8, vcc, s10, v8
	v_or_b32_e32 v13, 0, v9
	v_addc_co_u32_e32 v9, vcc, v21, v9, vcc
	global_load_dwordx2 v[22:23], v[14:15], off
	v_lshlrev_b64 v[10:11], 3, v[12:13]
	global_load_dword v28, v[8:9], off
	v_add_co_u32_e32 v26, vcc, s12, v10
	v_addc_co_u32_e32 v27, vcc, v20, v11, vcc
	global_load_dwordx2 v[10:11], v[26:27], off
	global_load_dwordx2 v[12:13], v[24:25], off
	global_load_dwordx2 v[8:9], v[14:15], off offset:24
	s_mov_b64 s[6:7], 0
	s_waitcnt vmcnt(4)
	v_mul_f64 v[14:15], v[4:5], v[22:23]
	s_waitcnt vmcnt(3)
	v_subrev_u32_e32 v22, s3, v28
	v_lshl_add_u32 v23, v22, 3, v22
	v_and_b32_e32 v23, 31, v23
	v_mov_b32_e32 v24, v23
	s_branch .LBB189_71
.LBB189_70:                             ;   in Loop: Header=BB189_71 Depth=2
	s_or_b64 exec, exec, s[8:9]
	s_xor_b64 s[8:9], s[16:17], -1
	s_and_b64 s[8:9], exec, s[8:9]
	s_or_b64 s[6:7], s[8:9], s[6:7]
	s_andn2_b64 exec, exec, s[6:7]
	s_cbranch_execz .LBB189_81
.LBB189_71:                             ;   Parent Loop BB189_69 Depth=1
                                        ; =>  This Inner Loop Header: Depth=2
	v_lshl_add_u32 v25, v24, 2, v32
	ds_read_b32 v26, v25
                                        ; implicit-def: $sgpr16_sgpr17
	s_waitcnt lgkmcnt(0)
	v_cmp_ne_u32_e32 vcc, v26, v22
	s_and_saveexec_b64 s[8:9], vcc
	s_xor_b64 s[8:9], exec, s[8:9]
	s_cbranch_execz .LBB189_79
; %bb.72:                               ;   in Loop: Header=BB189_71 Depth=2
	v_cmp_ne_u32_e32 vcc, s30, v26
                                        ; implicit-def: $sgpr16_sgpr17
	s_and_saveexec_b64 s[18:19], vcc
	s_xor_b64 s[18:19], exec, s[18:19]
; %bb.73:                               ;   in Loop: Header=BB189_71 Depth=2
	v_add_u32_e32 v24, 1, v24
	v_and_b32_e32 v24, 31, v24
	s_mov_b64 s[16:17], -1
                                        ; implicit-def: $vgpr25
; %bb.74:                               ;   in Loop: Header=BB189_71 Depth=2
	s_andn2_saveexec_b64 s[18:19], s[18:19]
	s_cbranch_execz .LBB189_78
; %bb.75:                               ;   in Loop: Header=BB189_71 Depth=2
	v_mov_b32_e32 v26, s30
	ds_cmpst_rtn_b32 v25, v25, v26, v22
	s_mov_b64 s[20:21], -1
	s_waitcnt lgkmcnt(0)
	v_cmp_eq_u32_e32 vcc, s30, v25
	s_and_saveexec_b64 s[22:23], vcc
	s_cbranch_execz .LBB189_77
; %bb.76:                               ;   in Loop: Header=BB189_71 Depth=2
	v_lshl_add_u32 v25, v24, 5, v35
	ds_add_f64 v25, v[14:15]
	s_xor_b64 s[20:21], exec, -1
.LBB189_77:                             ;   in Loop: Header=BB189_71 Depth=2
	s_or_b64 exec, exec, s[22:23]
	s_andn2_b64 s[16:17], s[16:17], exec
	s_and_b64 s[20:21], s[20:21], exec
	s_or_b64 s[16:17], s[16:17], s[20:21]
.LBB189_78:                             ;   in Loop: Header=BB189_71 Depth=2
	s_or_b64 exec, exec, s[18:19]
	s_and_b64 s[16:17], s[16:17], exec
.LBB189_79:                             ;   in Loop: Header=BB189_71 Depth=2
	s_andn2_saveexec_b64 s[8:9], s[8:9]
	s_cbranch_execz .LBB189_70
; %bb.80:                               ;   in Loop: Header=BB189_71 Depth=2
	v_lshl_add_u32 v25, v24, 5, v35
	ds_add_f64 v25, v[14:15]
	s_andn2_b64 s[16:17], s[16:17], exec
	s_branch .LBB189_70
.LBB189_81:                             ;   in Loop: Header=BB189_69 Depth=1
	s_or_b64 exec, exec, s[6:7]
	s_waitcnt vmcnt(1)
	v_mul_f64 v[12:13], v[4:5], v[12:13]
	s_mov_b64 s[6:7], 0
	v_mov_b32_e32 v14, v23
	s_branch .LBB189_83
.LBB189_82:                             ;   in Loop: Header=BB189_83 Depth=2
	s_or_b64 exec, exec, s[8:9]
	s_xor_b64 s[8:9], s[16:17], -1
	s_and_b64 s[8:9], exec, s[8:9]
	s_or_b64 s[6:7], s[8:9], s[6:7]
	s_andn2_b64 exec, exec, s[6:7]
	s_cbranch_execz .LBB189_93
.LBB189_83:                             ;   Parent Loop BB189_69 Depth=1
                                        ; =>  This Inner Loop Header: Depth=2
	v_lshl_add_u32 v15, v14, 2, v32
	ds_read_b32 v24, v15
                                        ; implicit-def: $sgpr16_sgpr17
	s_waitcnt lgkmcnt(0)
	v_cmp_ne_u32_e32 vcc, v24, v22
	s_and_saveexec_b64 s[8:9], vcc
	s_xor_b64 s[8:9], exec, s[8:9]
	s_cbranch_execz .LBB189_91
; %bb.84:                               ;   in Loop: Header=BB189_83 Depth=2
	v_cmp_ne_u32_e32 vcc, s30, v24
                                        ; implicit-def: $sgpr16_sgpr17
	s_and_saveexec_b64 s[18:19], vcc
	s_xor_b64 s[18:19], exec, s[18:19]
; %bb.85:                               ;   in Loop: Header=BB189_83 Depth=2
	v_add_u32_e32 v14, 1, v14
	v_and_b32_e32 v14, 31, v14
	s_mov_b64 s[16:17], -1
                                        ; implicit-def: $vgpr15
; %bb.86:                               ;   in Loop: Header=BB189_83 Depth=2
	s_andn2_saveexec_b64 s[18:19], s[18:19]
	s_cbranch_execz .LBB189_90
; %bb.87:                               ;   in Loop: Header=BB189_83 Depth=2
	v_mov_b32_e32 v24, s30
	ds_cmpst_rtn_b32 v15, v15, v24, v22
	s_mov_b64 s[20:21], -1
	s_waitcnt lgkmcnt(0)
	v_cmp_eq_u32_e32 vcc, s30, v15
	s_and_saveexec_b64 s[22:23], vcc
	s_cbranch_execz .LBB189_89
; %bb.88:                               ;   in Loop: Header=BB189_83 Depth=2
	v_lshl_add_u32 v15, v14, 5, v17
	ds_add_f64 v15, v[12:13]
	s_xor_b64 s[20:21], exec, -1
.LBB189_89:                             ;   in Loop: Header=BB189_83 Depth=2
	s_or_b64 exec, exec, s[22:23]
	s_andn2_b64 s[16:17], s[16:17], exec
	s_and_b64 s[20:21], s[20:21], exec
	s_or_b64 s[16:17], s[16:17], s[20:21]
.LBB189_90:                             ;   in Loop: Header=BB189_83 Depth=2
	s_or_b64 exec, exec, s[18:19]
	s_and_b64 s[16:17], s[16:17], exec
.LBB189_91:                             ;   in Loop: Header=BB189_83 Depth=2
	s_andn2_saveexec_b64 s[8:9], s[8:9]
	s_cbranch_execz .LBB189_82
; %bb.92:                               ;   in Loop: Header=BB189_83 Depth=2
	v_lshl_add_u32 v15, v14, 5, v17
	ds_add_f64 v15, v[12:13]
	s_andn2_b64 s[16:17], s[16:17], exec
	s_branch .LBB189_82
.LBB189_93:                             ;   in Loop: Header=BB189_69 Depth=1
	s_or_b64 exec, exec, s[6:7]
	v_mul_f64 v[10:11], v[4:5], v[10:11]
	s_mov_b64 s[6:7], 0
	v_mov_b32_e32 v12, v23
	s_branch .LBB189_95
.LBB189_94:                             ;   in Loop: Header=BB189_95 Depth=2
	s_or_b64 exec, exec, s[8:9]
	s_xor_b64 s[8:9], s[16:17], -1
	s_and_b64 s[8:9], exec, s[8:9]
	s_or_b64 s[6:7], s[8:9], s[6:7]
	s_andn2_b64 exec, exec, s[6:7]
	s_cbranch_execz .LBB189_105
.LBB189_95:                             ;   Parent Loop BB189_69 Depth=1
                                        ; =>  This Inner Loop Header: Depth=2
	v_lshl_add_u32 v13, v12, 2, v32
	ds_read_b32 v14, v13
                                        ; implicit-def: $sgpr16_sgpr17
	s_waitcnt lgkmcnt(0)
	v_cmp_ne_u32_e32 vcc, v14, v22
	s_and_saveexec_b64 s[8:9], vcc
	s_xor_b64 s[8:9], exec, s[8:9]
	s_cbranch_execz .LBB189_103
; %bb.96:                               ;   in Loop: Header=BB189_95 Depth=2
	v_cmp_ne_u32_e32 vcc, s30, v14
                                        ; implicit-def: $sgpr16_sgpr17
	s_and_saveexec_b64 s[18:19], vcc
	s_xor_b64 s[18:19], exec, s[18:19]
; %bb.97:                               ;   in Loop: Header=BB189_95 Depth=2
	v_add_u32_e32 v12, 1, v12
	v_and_b32_e32 v12, 31, v12
	s_mov_b64 s[16:17], -1
                                        ; implicit-def: $vgpr13
; %bb.98:                               ;   in Loop: Header=BB189_95 Depth=2
	s_andn2_saveexec_b64 s[18:19], s[18:19]
	s_cbranch_execz .LBB189_102
; %bb.99:                               ;   in Loop: Header=BB189_95 Depth=2
	v_mov_b32_e32 v14, s30
	ds_cmpst_rtn_b32 v13, v13, v14, v22
	s_mov_b64 s[20:21], -1
	s_waitcnt lgkmcnt(0)
	v_cmp_eq_u32_e32 vcc, s30, v13
	s_and_saveexec_b64 s[22:23], vcc
	s_cbranch_execz .LBB189_101
; %bb.100:                              ;   in Loop: Header=BB189_95 Depth=2
	v_lshl_add_u32 v13, v12, 5, v18
	ds_add_f64 v13, v[10:11]
	s_xor_b64 s[20:21], exec, -1
.LBB189_101:                            ;   in Loop: Header=BB189_95 Depth=2
	s_or_b64 exec, exec, s[22:23]
	s_andn2_b64 s[16:17], s[16:17], exec
	s_and_b64 s[20:21], s[20:21], exec
	s_or_b64 s[16:17], s[16:17], s[20:21]
.LBB189_102:                            ;   in Loop: Header=BB189_95 Depth=2
	s_or_b64 exec, exec, s[18:19]
	s_and_b64 s[16:17], s[16:17], exec
.LBB189_103:                            ;   in Loop: Header=BB189_95 Depth=2
	s_andn2_saveexec_b64 s[8:9], s[8:9]
	s_cbranch_execz .LBB189_94
; %bb.104:                              ;   in Loop: Header=BB189_95 Depth=2
	v_lshl_add_u32 v13, v12, 5, v18
	ds_add_f64 v13, v[10:11]
	s_andn2_b64 s[16:17], s[16:17], exec
	s_branch .LBB189_94
.LBB189_105:                            ;   in Loop: Header=BB189_69 Depth=1
	s_or_b64 exec, exec, s[6:7]
	s_waitcnt vmcnt(0)
	v_mul_f64 v[8:9], v[4:5], v[8:9]
	s_mov_b64 s[6:7], 0
	s_branch .LBB189_107
.LBB189_106:                            ;   in Loop: Header=BB189_107 Depth=2
	s_or_b64 exec, exec, s[8:9]
	s_xor_b64 s[8:9], s[16:17], -1
	s_and_b64 s[8:9], exec, s[8:9]
	s_or_b64 s[6:7], s[8:9], s[6:7]
	s_andn2_b64 exec, exec, s[6:7]
	s_cbranch_execz .LBB189_68
.LBB189_107:                            ;   Parent Loop BB189_69 Depth=1
                                        ; =>  This Inner Loop Header: Depth=2
	v_lshl_add_u32 v10, v23, 2, v32
	ds_read_b32 v11, v10
                                        ; implicit-def: $sgpr16_sgpr17
	s_waitcnt lgkmcnt(0)
	v_cmp_ne_u32_e32 vcc, v11, v22
	s_and_saveexec_b64 s[8:9], vcc
	s_xor_b64 s[8:9], exec, s[8:9]
	s_cbranch_execz .LBB189_115
; %bb.108:                              ;   in Loop: Header=BB189_107 Depth=2
	v_cmp_ne_u32_e32 vcc, s30, v11
                                        ; implicit-def: $sgpr16_sgpr17
	s_and_saveexec_b64 s[18:19], vcc
	s_xor_b64 s[18:19], exec, s[18:19]
; %bb.109:                              ;   in Loop: Header=BB189_107 Depth=2
	v_add_u32_e32 v10, 1, v23
	v_and_b32_e32 v23, 31, v10
	s_mov_b64 s[16:17], -1
                                        ; implicit-def: $vgpr10
; %bb.110:                              ;   in Loop: Header=BB189_107 Depth=2
	s_andn2_saveexec_b64 s[18:19], s[18:19]
	s_cbranch_execz .LBB189_114
; %bb.111:                              ;   in Loop: Header=BB189_107 Depth=2
	v_mov_b32_e32 v11, s30
	ds_cmpst_rtn_b32 v10, v10, v11, v22
	s_mov_b64 s[20:21], -1
	s_waitcnt lgkmcnt(0)
	v_cmp_eq_u32_e32 vcc, s30, v10
	s_and_saveexec_b64 s[22:23], vcc
	s_cbranch_execz .LBB189_113
; %bb.112:                              ;   in Loop: Header=BB189_107 Depth=2
	v_lshl_add_u32 v10, v23, 5, v19
	ds_add_f64 v10, v[8:9]
	s_xor_b64 s[20:21], exec, -1
.LBB189_113:                            ;   in Loop: Header=BB189_107 Depth=2
	s_or_b64 exec, exec, s[22:23]
	s_andn2_b64 s[16:17], s[16:17], exec
	s_and_b64 s[20:21], s[20:21], exec
	s_or_b64 s[16:17], s[16:17], s[20:21]
.LBB189_114:                            ;   in Loop: Header=BB189_107 Depth=2
	s_or_b64 exec, exec, s[18:19]
	s_and_b64 s[16:17], s[16:17], exec
.LBB189_115:                            ;   in Loop: Header=BB189_107 Depth=2
	s_andn2_saveexec_b64 s[8:9], s[8:9]
	s_cbranch_execz .LBB189_106
; %bb.116:                              ;   in Loop: Header=BB189_107 Depth=2
	v_lshl_add_u32 v10, v23, 5, v19
	ds_add_f64 v10, v[8:9]
	s_andn2_b64 s[16:17], s[16:17], exec
	s_branch .LBB189_106
.LBB189_117:
	s_or_b64 exec, exec, s[0:1]
.LBB189_118:
	v_mov_b32_e32 v1, s15
	v_add_co_u32_e32 v0, vcc, s14, v6
	v_addc_co_u32_e32 v1, vcc, v1, v7, vcc
	s_waitcnt lgkmcnt(0)
	global_load_dwordx2 v[2:3], v[0:1], off
	s_cmp_eq_u32 s28, 0
	v_lshl_add_u32 v1, v34, 2, v16
	v_lshl_add_u32 v0, v34, 5, v35
	s_cselect_b32 s3, 8, 16
	s_cselect_b32 s6, 16, 8
	v_or_b32_e32 v1, 0x4000, v1
	s_mov_b64 s[0:1], 0
	s_waitcnt vmcnt(0)
	v_subrev_co_u32_e32 v2, vcc, s2, v2
	v_subbrev_co_u32_e32 v3, vcc, 0, v3, vcc
	s_branch .LBB189_120
.LBB189_119:                            ;   in Loop: Header=BB189_120 Depth=1
	s_or_b64 exec, exec, s[4:5]
	v_add_co_u32_e32 v33, vcc, 16, v33
	s_xor_b64 s[4:5], vcc, -1
	s_and_b64 s[4:5], exec, s[4:5]
	v_add_u32_e32 v0, 0x200, v0
	s_or_b64 s[0:1], s[4:5], s[0:1]
	v_add_u32_e32 v1, 64, v1
	s_andn2_b64 exec, exec, s[0:1]
	s_cbranch_execz .LBB189_122
.LBB189_120:                            ; =>This Inner Loop Header: Depth=1
	ds_read_b32 v4, v1
	s_waitcnt lgkmcnt(0)
	v_cmp_gt_i32_e32 vcc, s30, v4
	s_and_saveexec_b64 s[4:5], vcc
	s_cbranch_execz .LBB189_119
; %bb.121:                              ;   in Loop: Header=BB189_120 Depth=1
	ds_read_b128 v[6:9], v32
	ds_read_b128 v[10:13], v32 offset:16
	ds_read_b128 v[14:17], v32 offset:32
	;; [unrolled: 1-line block ×3, first 2 shown]
	s_waitcnt lgkmcnt(3)
	v_cmp_gt_i32_e32 vcc, v4, v6
	v_cndmask_b32_e64 v5, 0, 1, vcc
	v_add_co_u32_e32 v5, vcc, v2, v5
	v_addc_co_u32_e32 v6, vcc, 0, v3, vcc
	v_cmp_gt_i32_e32 vcc, v4, v7
	v_cndmask_b32_e64 v7, 0, 1, vcc
	v_add_co_u32_e32 v5, vcc, v5, v7
	v_addc_co_u32_e32 v6, vcc, 0, v6, vcc
	v_cmp_gt_i32_e32 vcc, v4, v8
	v_cndmask_b32_e64 v7, 0, 1, vcc
	v_add_co_u32_e32 v5, vcc, v5, v7
	v_addc_co_u32_e32 v6, vcc, 0, v6, vcc
	v_cmp_gt_i32_e32 vcc, v4, v9
	v_cndmask_b32_e64 v7, 0, 1, vcc
	v_add_co_u32_e32 v5, vcc, v5, v7
	v_addc_co_u32_e32 v6, vcc, 0, v6, vcc
	s_waitcnt lgkmcnt(2)
	v_cmp_gt_i32_e32 vcc, v4, v10
	v_cndmask_b32_e64 v7, 0, 1, vcc
	v_add_co_u32_e32 v5, vcc, v5, v7
	v_addc_co_u32_e32 v6, vcc, 0, v6, vcc
	v_cmp_gt_i32_e32 vcc, v4, v11
	v_cndmask_b32_e64 v7, 0, 1, vcc
	v_add_co_u32_e32 v5, vcc, v5, v7
	v_addc_co_u32_e32 v6, vcc, 0, v6, vcc
	v_cmp_gt_i32_e32 vcc, v4, v12
	v_cndmask_b32_e64 v7, 0, 1, vcc
	v_add_co_u32_e32 v5, vcc, v5, v7
	v_addc_co_u32_e32 v6, vcc, 0, v6, vcc
	v_cmp_gt_i32_e32 vcc, v4, v13
	v_cndmask_b32_e64 v7, 0, 1, vcc
	v_add_co_u32_e32 v5, vcc, v5, v7
	v_addc_co_u32_e32 v6, vcc, 0, v6, vcc
	;; [unrolled: 17-line block ×3, first 2 shown]
	s_waitcnt lgkmcnt(0)
	v_cmp_gt_i32_e32 vcc, v4, v18
	v_cndmask_b32_e64 v7, 0, 1, vcc
	v_add_co_u32_e32 v5, vcc, v5, v7
	v_addc_co_u32_e32 v6, vcc, 0, v6, vcc
	v_cmp_gt_i32_e32 vcc, v4, v19
	v_cndmask_b32_e64 v7, 0, 1, vcc
	v_add_co_u32_e32 v5, vcc, v5, v7
	v_addc_co_u32_e32 v6, vcc, 0, v6, vcc
	;; [unrolled: 4-line block ×3, first 2 shown]
	ds_read_b128 v[6:9], v32 offset:64
	v_cmp_gt_i32_e32 vcc, v4, v21
	v_cndmask_b32_e64 v11, 0, 1, vcc
	v_add_co_u32_e32 v5, vcc, v5, v11
	v_addc_co_u32_e32 v14, vcc, 0, v10, vcc
	ds_read_b128 v[10:13], v32 offset:80
	s_waitcnt lgkmcnt(1)
	v_cmp_gt_i32_e32 vcc, v4, v6
	v_cndmask_b32_e64 v6, 0, 1, vcc
	v_add_co_u32_e32 v5, vcc, v5, v6
	v_addc_co_u32_e32 v6, vcc, 0, v14, vcc
	v_cmp_gt_i32_e32 vcc, v4, v7
	v_cndmask_b32_e64 v7, 0, 1, vcc
	v_add_co_u32_e32 v5, vcc, v5, v7
	v_addc_co_u32_e32 v6, vcc, 0, v6, vcc
	;; [unrolled: 4-line block ×4, first 2 shown]
	s_waitcnt lgkmcnt(0)
	v_cmp_gt_i32_e32 vcc, v4, v10
	v_cndmask_b32_e64 v7, 0, 1, vcc
	v_add_co_u32_e32 v5, vcc, v5, v7
	v_addc_co_u32_e32 v6, vcc, 0, v6, vcc
	v_cmp_gt_i32_e32 vcc, v4, v11
	v_cndmask_b32_e64 v7, 0, 1, vcc
	v_add_co_u32_e32 v5, vcc, v5, v7
	v_addc_co_u32_e32 v6, vcc, 0, v6, vcc
	;; [unrolled: 4-line block ×3, first 2 shown]
	ds_read_b128 v[6:9], v32 offset:96
	v_cmp_gt_i32_e32 vcc, v4, v13
	v_cndmask_b32_e64 v11, 0, 1, vcc
	v_add_co_u32_e32 v5, vcc, v5, v11
	v_addc_co_u32_e32 v14, vcc, 0, v10, vcc
	ds_read_b128 v[10:13], v32 offset:112
	s_waitcnt lgkmcnt(1)
	v_cmp_gt_i32_e32 vcc, v4, v6
	v_cndmask_b32_e64 v6, 0, 1, vcc
	v_add_co_u32_e32 v5, vcc, v5, v6
	v_addc_co_u32_e32 v6, vcc, 0, v14, vcc
	v_cmp_gt_i32_e32 vcc, v4, v7
	v_cndmask_b32_e64 v7, 0, 1, vcc
	v_add_co_u32_e32 v5, vcc, v5, v7
	v_addc_co_u32_e32 v6, vcc, 0, v6, vcc
	;; [unrolled: 4-line block ×4, first 2 shown]
	s_waitcnt lgkmcnt(0)
	v_cmp_gt_i32_e32 vcc, v4, v10
	v_cndmask_b32_e64 v7, 0, 1, vcc
	v_add_co_u32_e32 v5, vcc, v5, v7
	v_addc_co_u32_e32 v6, vcc, 0, v6, vcc
	v_cmp_gt_i32_e32 vcc, v4, v11
	v_cndmask_b32_e64 v7, 0, 1, vcc
	v_add_co_u32_e32 v5, vcc, v5, v7
	v_addc_co_u32_e32 v6, vcc, 0, v6, vcc
	;; [unrolled: 4-line block ×4, first 2 shown]
	v_add_u32_e32 v12, s2, v4
	v_lshlrev_b64 v[4:5], 2, v[8:9]
	v_mov_b32_e32 v6, s25
	v_add_co_u32_e32 v10, vcc, s24, v4
	v_addc_co_u32_e32 v11, vcc, v6, v5, vcc
	ds_read2_b64 v[4:7], v0 offset1:3
	global_store_dword v[10:11], v12, off
	v_lshlrev_b64 v[12:13], 5, v[8:9]
	v_add_u32_e32 v10, s3, v0
	v_mov_b32_e32 v14, s27
	s_waitcnt lgkmcnt(0)
	v_mov_b32_e32 v8, v4
	v_add_u32_e32 v4, s6, v0
	v_mov_b32_e32 v9, v5
	ds_read_b64 v[10:11], v10
	ds_read_b64 v[4:5], v4
	v_add_co_u32_e32 v12, vcc, s26, v12
	v_addc_co_u32_e32 v13, vcc, v14, v13, vcc
	s_waitcnt lgkmcnt(1)
	global_store_dwordx4 v[12:13], v[8:11], off
	s_waitcnt lgkmcnt(0)
	global_store_dwordx4 v[12:13], v[4:7], off offset:16
	s_branch .LBB189_119
.LBB189_122:
	s_endpgm
	.section	.rodata,"a",@progbits
	.p2align	6, 0x0
	.amdhsa_kernel _ZN9rocsparseL27bsrgemm_fill_wf_per_row_2x2ILj256ELj16ELj32ELj137ElidEEv20rocsparse_direction_T4_S2_PKS2_S4_NS_24const_host_device_scalarIT5_EEPKT3_S4_PKS6_SA_S4_SC_S7_SA_S4_SC_SA_PS2_PS6_21rocsparse_index_base_SF_SF_SF_bbb
		.amdhsa_group_segment_fixed_size 18432
		.amdhsa_private_segment_fixed_size 0
		.amdhsa_kernarg_size 164
		.amdhsa_user_sgpr_count 6
		.amdhsa_user_sgpr_private_segment_buffer 1
		.amdhsa_user_sgpr_dispatch_ptr 0
		.amdhsa_user_sgpr_queue_ptr 0
		.amdhsa_user_sgpr_kernarg_segment_ptr 1
		.amdhsa_user_sgpr_dispatch_id 0
		.amdhsa_user_sgpr_flat_scratch_init 0
		.amdhsa_user_sgpr_kernarg_preload_length 0
		.amdhsa_user_sgpr_kernarg_preload_offset 0
		.amdhsa_user_sgpr_private_segment_size 0
		.amdhsa_uses_dynamic_stack 0
		.amdhsa_system_sgpr_private_segment_wavefront_offset 0
		.amdhsa_system_sgpr_workgroup_id_x 1
		.amdhsa_system_sgpr_workgroup_id_y 0
		.amdhsa_system_sgpr_workgroup_id_z 0
		.amdhsa_system_sgpr_workgroup_info 0
		.amdhsa_system_vgpr_workitem_id 0
		.amdhsa_next_free_vgpr 47
		.amdhsa_next_free_sgpr 55
		.amdhsa_accum_offset 48
		.amdhsa_reserve_vcc 1
		.amdhsa_reserve_flat_scratch 0
		.amdhsa_float_round_mode_32 0
		.amdhsa_float_round_mode_16_64 0
		.amdhsa_float_denorm_mode_32 3
		.amdhsa_float_denorm_mode_16_64 3
		.amdhsa_dx10_clamp 1
		.amdhsa_ieee_mode 1
		.amdhsa_fp16_overflow 0
		.amdhsa_tg_split 0
		.amdhsa_exception_fp_ieee_invalid_op 0
		.amdhsa_exception_fp_denorm_src 0
		.amdhsa_exception_fp_ieee_div_zero 0
		.amdhsa_exception_fp_ieee_overflow 0
		.amdhsa_exception_fp_ieee_underflow 0
		.amdhsa_exception_fp_ieee_inexact 0
		.amdhsa_exception_int_div_zero 0
	.end_amdhsa_kernel
	.section	.text._ZN9rocsparseL27bsrgemm_fill_wf_per_row_2x2ILj256ELj16ELj32ELj137ElidEEv20rocsparse_direction_T4_S2_PKS2_S4_NS_24const_host_device_scalarIT5_EEPKT3_S4_PKS6_SA_S4_SC_S7_SA_S4_SC_SA_PS2_PS6_21rocsparse_index_base_SF_SF_SF_bbb,"axG",@progbits,_ZN9rocsparseL27bsrgemm_fill_wf_per_row_2x2ILj256ELj16ELj32ELj137ElidEEv20rocsparse_direction_T4_S2_PKS2_S4_NS_24const_host_device_scalarIT5_EEPKT3_S4_PKS6_SA_S4_SC_S7_SA_S4_SC_SA_PS2_PS6_21rocsparse_index_base_SF_SF_SF_bbb,comdat
.Lfunc_end189:
	.size	_ZN9rocsparseL27bsrgemm_fill_wf_per_row_2x2ILj256ELj16ELj32ELj137ElidEEv20rocsparse_direction_T4_S2_PKS2_S4_NS_24const_host_device_scalarIT5_EEPKT3_S4_PKS6_SA_S4_SC_S7_SA_S4_SC_SA_PS2_PS6_21rocsparse_index_base_SF_SF_SF_bbb, .Lfunc_end189-_ZN9rocsparseL27bsrgemm_fill_wf_per_row_2x2ILj256ELj16ELj32ELj137ElidEEv20rocsparse_direction_T4_S2_PKS2_S4_NS_24const_host_device_scalarIT5_EEPKT3_S4_PKS6_SA_S4_SC_S7_SA_S4_SC_SA_PS2_PS6_21rocsparse_index_base_SF_SF_SF_bbb
                                        ; -- End function
	.section	.AMDGPU.csdata,"",@progbits
; Kernel info:
; codeLenInByte = 4132
; NumSgprs: 59
; NumVgprs: 47
; NumAgprs: 0
; TotalNumVgprs: 47
; ScratchSize: 0
; MemoryBound: 0
; FloatMode: 240
; IeeeMode: 1
; LDSByteSize: 18432 bytes/workgroup (compile time only)
; SGPRBlocks: 7
; VGPRBlocks: 5
; NumSGPRsForWavesPerEU: 59
; NumVGPRsForWavesPerEU: 47
; AccumOffset: 48
; Occupancy: 3
; WaveLimiterHint : 1
; COMPUTE_PGM_RSRC2:SCRATCH_EN: 0
; COMPUTE_PGM_RSRC2:USER_SGPR: 6
; COMPUTE_PGM_RSRC2:TRAP_HANDLER: 0
; COMPUTE_PGM_RSRC2:TGID_X_EN: 1
; COMPUTE_PGM_RSRC2:TGID_Y_EN: 0
; COMPUTE_PGM_RSRC2:TGID_Z_EN: 0
; COMPUTE_PGM_RSRC2:TIDIG_COMP_CNT: 0
; COMPUTE_PGM_RSRC3_GFX90A:ACCUM_OFFSET: 11
; COMPUTE_PGM_RSRC3_GFX90A:TG_SPLIT: 0
	.section	.text._ZN9rocsparseL30bsrgemm_fill_block_per_row_2x2ILj256ELj16ELj64ELj137ElidEEv20rocsparse_direction_T4_S2_PKS2_S4_NS_24const_host_device_scalarIT5_EEPKT3_S4_PKS6_SA_S4_SC_S7_SA_S4_SC_SA_PS2_PS6_21rocsparse_index_base_SF_SF_SF_bbb,"axG",@progbits,_ZN9rocsparseL30bsrgemm_fill_block_per_row_2x2ILj256ELj16ELj64ELj137ElidEEv20rocsparse_direction_T4_S2_PKS2_S4_NS_24const_host_device_scalarIT5_EEPKT3_S4_PKS6_SA_S4_SC_S7_SA_S4_SC_SA_PS2_PS6_21rocsparse_index_base_SF_SF_SF_bbb,comdat
	.globl	_ZN9rocsparseL30bsrgemm_fill_block_per_row_2x2ILj256ELj16ELj64ELj137ElidEEv20rocsparse_direction_T4_S2_PKS2_S4_NS_24const_host_device_scalarIT5_EEPKT3_S4_PKS6_SA_S4_SC_S7_SA_S4_SC_SA_PS2_PS6_21rocsparse_index_base_SF_SF_SF_bbb ; -- Begin function _ZN9rocsparseL30bsrgemm_fill_block_per_row_2x2ILj256ELj16ELj64ELj137ElidEEv20rocsparse_direction_T4_S2_PKS2_S4_NS_24const_host_device_scalarIT5_EEPKT3_S4_PKS6_SA_S4_SC_S7_SA_S4_SC_SA_PS2_PS6_21rocsparse_index_base_SF_SF_SF_bbb
	.p2align	8
	.type	_ZN9rocsparseL30bsrgemm_fill_block_per_row_2x2ILj256ELj16ELj64ELj137ElidEEv20rocsparse_direction_T4_S2_PKS2_S4_NS_24const_host_device_scalarIT5_EEPKT3_S4_PKS6_SA_S4_SC_S7_SA_S4_SC_SA_PS2_PS6_21rocsparse_index_base_SF_SF_SF_bbb,@function
_ZN9rocsparseL30bsrgemm_fill_block_per_row_2x2ILj256ELj16ELj64ELj137ElidEEv20rocsparse_direction_T4_S2_PKS2_S4_NS_24const_host_device_scalarIT5_EEPKT3_S4_PKS6_SA_S4_SC_S7_SA_S4_SC_SA_PS2_PS6_21rocsparse_index_base_SF_SF_SF_bbb: ; @_ZN9rocsparseL30bsrgemm_fill_block_per_row_2x2ILj256ELj16ELj64ELj137ElidEEv20rocsparse_direction_T4_S2_PKS2_S4_NS_24const_host_device_scalarIT5_EEPKT3_S4_PKS6_SA_S4_SC_S7_SA_S4_SC_SA_PS2_PS6_21rocsparse_index_base_SF_SF_SF_bbb
; %bb.0:
	s_load_dword s7, s[4:5], 0xa0
	s_load_dwordx2 s[2:3], s[4:5], 0x20
	s_load_dwordx2 s[0:1], s[4:5], 0x58
	s_waitcnt lgkmcnt(0)
	s_and_b32 s8, 1, s7
	s_bitcmp1_b32 s7, 16
	s_cselect_b64 s[10:11], -1, 0
	s_cmp_eq_u32 s8, 1
	s_cselect_b64 s[8:9], -1, 0
	s_and_b64 s[12:13], s[8:9], exec
	s_cselect_b32 s13, s3, 0
	s_cselect_b32 s12, s2, 0
	s_xor_b64 s[14:15], s[8:9], -1
	s_or_b64 s[14:15], s[14:15], s[10:11]
	s_and_b64 vcc, exec, s[14:15]
	v_pk_mov_b32 v[4:5], s[12:13], s[12:13] op_sel:[0,1]
	s_cbranch_vccnz .LBB190_2
; %bb.1:
	v_pk_mov_b32 v[2:3], s[2:3], s[2:3] op_sel:[0,1]
	flat_load_dwordx2 v[4:5], v[2:3]
.LBB190_2:
	s_bitcmp1_b32 s7, 8
	s_cselect_b64 s[2:3], -1, 0
	s_and_b64 s[12:13], s[2:3], exec
	s_cselect_b32 s13, s1, 0
	s_cselect_b32 s12, s0, 0
	s_xor_b64 s[14:15], s[2:3], -1
	s_or_b64 s[10:11], s[14:15], s[10:11]
	s_and_b64 vcc, exec, s[10:11]
	v_pk_mov_b32 v[2:3], s[12:13], s[12:13] op_sel:[0,1]
	s_cbranch_vccnz .LBB190_4
; %bb.3:
	v_pk_mov_b32 v[2:3], s[0:1], s[0:1] op_sel:[0,1]
	flat_load_dwordx2 v[2:3], v[2:3]
.LBB190_4:
	s_load_dword s46, s[4:5], 0x8
	v_cmp_gt_u32_e64 s[0:1], 64, v0
	v_lshl_add_u32 v1, v0, 2, 0
	s_and_saveexec_b64 s[10:11], s[0:1]
	s_cbranch_execz .LBB190_6
; %bb.5:
	s_waitcnt lgkmcnt(0)
	v_mov_b32_e32 v6, s46
	ds_write_b32 v1, v6
.LBB190_6:
	s_or_b64 exec, exec, s[10:11]
	s_load_dwordx4 s[16:19], s[4:5], 0x90
	s_load_dwordx2 s[10:11], s[4:5], 0x18
	s_movk_i32 s7, 0x100
	v_cmp_gt_u32_e32 vcc, s7, v0
	s_and_saveexec_b64 s[12:13], vcc
	s_cbranch_execz .LBB190_8
; %bb.7:
	v_mov_b32_e32 v6, 0
	v_lshl_add_u32 v8, v0, 3, 0
	v_mov_b32_e32 v7, v6
	ds_write_b64 v8, v[6:7] offset:256
.LBB190_8:
	s_or_b64 exec, exec, s[12:13]
	s_waitcnt lgkmcnt(0)
	s_cmp_eq_u64 s[10:11], 0
	s_barrier
	s_cbranch_scc1 .LBB190_10
; %bb.9:
	s_load_dwordx2 s[12:13], s[4:5], 0x10
	s_waitcnt lgkmcnt(0)
	s_load_dword s7, s[12:13], 0x0
	s_waitcnt lgkmcnt(0)
	s_add_i32 s6, s7, s6
	s_mov_b32 s7, 0
	s_lshl_b64 s[6:7], s[6:7], 2
	s_add_u32 s6, s10, s6
	s_addc_u32 s7, s11, s7
	s_load_dword s6, s[6:7], 0x0
.LBB190_10:
	s_nop 0
	s_load_dword s33, s[4:5], 0x0
	s_andn2_b64 vcc, exec, s[8:9]
	s_waitcnt lgkmcnt(0)
	s_ashr_i32 s7, s6, 31
	s_cbranch_vccnz .LBB190_66
; %bb.11:
	s_load_dwordx2 s[8:9], s[4:5], 0x28
	s_lshl_b64 s[10:11], s[6:7], 3
	v_lshrrev_b32_e32 v6, 4, v0
	v_subrev_co_u32_e32 v6, vcc, s16, v6
	s_waitcnt lgkmcnt(0)
	s_add_u32 s8, s8, s10
	s_addc_u32 s9, s9, s11
	s_load_dwordx4 s[8:11], s[8:9], 0x0
	v_subb_co_u32_e64 v7, s[12:13], 0, 0, vcc
	s_mov_b32 s28, 0
	s_waitcnt lgkmcnt(0)
	s_sub_u32 s20, s10, s16
	v_mov_b32_e32 v8, s9
	v_add_co_u32_e32 v6, vcc, s8, v6
	s_subb_u32 s21, s11, 0
	v_addc_co_u32_e32 v7, vcc, v8, v7, vcc
	v_cmp_gt_i64_e32 vcc, s[20:21], v[6:7]
	s_and_saveexec_b64 s[22:23], vcc
	s_cbranch_execz .LBB190_65
; %bb.12:
	s_load_dwordx2 s[24:25], s[4:5], 0x50
	s_load_dwordx8 s[8:15], s[4:5], 0x30
	v_and_b32_e32 v8, 15, v0
	v_subrev_co_u32_e32 v31, vcc, s17, v8
	s_cmp_eq_u32 s33, 0
	v_subb_co_u32_e64 v32, s[26:27], 0, 0, vcc
	s_mov_b32 s47, s17
	s_cselect_b32 s48, 1, 2
	s_cselect_b32 s49, 2, 1
	s_mov_b64 s[26:27], 0
	s_waitcnt lgkmcnt(0)
	v_mov_b32_e32 v33, s9
	v_mov_b32_e32 v34, s13
	v_mov_b32_e32 v35, s28
	s_branch .LBB190_14
.LBB190_13:                             ;   in Loop: Header=BB190_14 Depth=1
	s_or_b64 exec, exec, s[28:29]
	v_add_co_u32_e32 v6, vcc, 16, v6
	v_addc_co_u32_e32 v7, vcc, 0, v7, vcc
	v_cmp_le_i64_e32 vcc, s[20:21], v[6:7]
	s_or_b64 s[26:27], vcc, s[26:27]
	s_andn2_b64 exec, exec, s[26:27]
	s_cbranch_execz .LBB190_65
.LBB190_14:                             ; =>This Loop Header: Depth=1
                                        ;     Child Loop BB190_17 Depth 2
                                        ;       Child Loop BB190_19 Depth 3
                                        ;       Child Loop BB190_31 Depth 3
	;; [unrolled: 1-line block ×4, first 2 shown]
	v_lshlrev_b64 v[12:13], 2, v[6:7]
	v_add_co_u32_e32 v8, vcc, s8, v12
	v_addc_co_u32_e32 v9, vcc, v33, v13, vcc
	global_load_dword v8, v[8:9], off
	s_waitcnt vmcnt(0)
	v_subrev_u32_e32 v8, s16, v8
	v_ashrrev_i32_e32 v9, 31, v8
	v_lshlrev_b64 v[8:9], 3, v[8:9]
	v_add_co_u32_e32 v8, vcc, s12, v8
	v_addc_co_u32_e32 v9, vcc, v34, v9, vcc
	global_load_dwordx4 v[14:17], v[8:9], off
	s_waitcnt vmcnt(0)
	v_subrev_co_u32_e32 v8, vcc, s47, v16
	v_subb_co_u32_e32 v9, vcc, v17, v35, vcc
	v_add_co_u32_e32 v10, vcc, v14, v31
	v_addc_co_u32_e32 v11, vcc, v15, v32, vcc
	v_cmp_lt_i64_e32 vcc, v[10:11], v[8:9]
	s_and_saveexec_b64 s[28:29], vcc
	s_cbranch_execz .LBB190_13
; %bb.15:                               ;   in Loop: Header=BB190_14 Depth=1
	v_lshlrev_b64 v[16:17], 5, v[6:7]
	v_or_b32_e32 v15, 0, v13
	v_or_b32_e32 v14, s48, v12
	;; [unrolled: 1-line block ×4, first 2 shown]
	v_mov_b32_e32 v18, s11
	v_add_co_u32_e32 v16, vcc, s10, v16
	v_addc_co_u32_e32 v17, vcc, v18, v17, vcc
	v_lshlrev_b64 v[12:13], 3, v[12:13]
	v_add_co_u32_e32 v12, vcc, s10, v12
	v_addc_co_u32_e32 v13, vcc, v18, v13, vcc
	v_lshlrev_b64 v[14:15], 3, v[14:15]
	v_add_co_u32_e32 v14, vcc, s10, v14
	v_addc_co_u32_e32 v15, vcc, v18, v15, vcc
	global_load_dwordx2 v[18:19], v[16:17], off offset:24
	global_load_dwordx2 v[20:21], v[12:13], off
	global_load_dwordx2 v[22:23], v[14:15], off
	;; [unrolled: 1-line block ×3, first 2 shown]
	s_mov_b64 s[30:31], 0
	s_waitcnt vmcnt(3)
	v_mul_f64 v[12:13], v[4:5], v[18:19]
	s_waitcnt vmcnt(2)
	v_mul_f64 v[14:15], v[4:5], v[20:21]
	;; [unrolled: 2-line block ×4, first 2 shown]
	s_branch .LBB190_17
.LBB190_16:                             ;   in Loop: Header=BB190_17 Depth=2
	s_or_b64 exec, exec, s[34:35]
	v_add_co_u32_e32 v10, vcc, 16, v10
	v_addc_co_u32_e32 v11, vcc, 0, v11, vcc
	v_cmp_ge_i64_e32 vcc, v[10:11], v[8:9]
	s_or_b64 s[30:31], vcc, s[30:31]
	s_andn2_b64 exec, exec, s[30:31]
	s_cbranch_execz .LBB190_13
.LBB190_17:                             ;   Parent Loop BB190_14 Depth=1
                                        ; =>  This Loop Header: Depth=2
                                        ;       Child Loop BB190_19 Depth 3
                                        ;       Child Loop BB190_31 Depth 3
	;; [unrolled: 1-line block ×4, first 2 shown]
	v_lshlrev_b64 v[20:21], 2, v[10:11]
	v_mov_b32_e32 v23, s15
	v_add_co_u32_e32 v22, vcc, s14, v20
	v_addc_co_u32_e32 v23, vcc, v23, v21, vcc
	v_lshlrev_b64 v[24:25], 5, v[10:11]
	global_load_dword v30, v[22:23], off
	v_or_b32_e32 v23, 0, v21
	v_or_b32_e32 v22, s48, v20
	;; [unrolled: 1-line block ×4, first 2 shown]
	v_mov_b32_e32 v37, s25
	v_add_co_u32_e32 v28, vcc, s24, v24
	v_addc_co_u32_e32 v29, vcc, v37, v25, vcc
	v_lshlrev_b64 v[20:21], 3, v[20:21]
	v_add_co_u32_e32 v20, vcc, s24, v20
	v_lshlrev_b64 v[22:23], 3, v[22:23]
	v_addc_co_u32_e32 v21, vcc, v37, v21, vcc
	global_load_dwordx2 v[24:25], v[28:29], off
	global_load_dwordx2 v[26:27], v[20:21], off
	v_add_co_u32_e32 v36, vcc, s24, v22
	v_addc_co_u32_e32 v37, vcc, v37, v23, vcc
	global_load_dwordx2 v[20:21], v[36:37], off
	global_load_dwordx2 v[22:23], v[28:29], off offset:24
	s_mov_b64 s[34:35], 0
	s_waitcnt vmcnt(4)
	v_subrev_u32_e32 v36, s17, v30
	v_lshl_add_u32 v30, v36, 3, v36
	v_and_b32_e32 v37, 63, v30
	v_mov_b32_e32 v38, v37
	s_waitcnt vmcnt(2)
	v_mul_f64 v[28:29], v[16:17], v[26:27]
	v_fmac_f64_e32 v[28:29], v[18:19], v[24:25]
	s_branch .LBB190_19
.LBB190_18:                             ;   in Loop: Header=BB190_19 Depth=3
	s_or_b64 exec, exec, s[36:37]
	s_xor_b64 s[36:37], s[38:39], -1
	s_and_b64 s[36:37], exec, s[36:37]
	s_or_b64 s[34:35], s[36:37], s[34:35]
	s_andn2_b64 exec, exec, s[34:35]
	s_cbranch_execz .LBB190_29
.LBB190_19:                             ;   Parent Loop BB190_14 Depth=1
                                        ;     Parent Loop BB190_17 Depth=2
                                        ; =>    This Inner Loop Header: Depth=3
	v_lshl_add_u32 v30, v38, 2, 0
	ds_read_b32 v39, v30
                                        ; implicit-def: $sgpr38_sgpr39
	s_waitcnt lgkmcnt(0)
	v_cmp_ne_u32_e32 vcc, v39, v36
	s_and_saveexec_b64 s[36:37], vcc
	s_xor_b64 s[36:37], exec, s[36:37]
	s_cbranch_execz .LBB190_27
; %bb.20:                               ;   in Loop: Header=BB190_19 Depth=3
	v_cmp_ne_u32_e32 vcc, s46, v39
                                        ; implicit-def: $sgpr38_sgpr39
	s_and_saveexec_b64 s[40:41], vcc
	s_xor_b64 s[40:41], exec, s[40:41]
; %bb.21:                               ;   in Loop: Header=BB190_19 Depth=3
	v_add_u32_e32 v30, 1, v38
	v_and_b32_e32 v38, 63, v30
	s_mov_b64 s[38:39], -1
                                        ; implicit-def: $vgpr30
; %bb.22:                               ;   in Loop: Header=BB190_19 Depth=3
	s_andn2_saveexec_b64 s[40:41], s[40:41]
	s_cbranch_execz .LBB190_26
; %bb.23:                               ;   in Loop: Header=BB190_19 Depth=3
	v_mov_b32_e32 v39, s46
	ds_cmpst_rtn_b32 v39, v30, v39, v36
	s_mov_b64 s[42:43], -1
	s_waitcnt lgkmcnt(0)
	v_cmp_eq_u32_e32 vcc, s46, v39
	s_and_saveexec_b64 s[44:45], vcc
	s_cbranch_execz .LBB190_25
; %bb.24:                               ;   in Loop: Header=BB190_19 Depth=3
	v_mad_u64_u32 v[40:41], s[42:43], v38, 28, v[30:31]
	ds_add_f64 v40, v[28:29] offset:256
	s_xor_b64 s[42:43], exec, -1
.LBB190_25:                             ;   in Loop: Header=BB190_19 Depth=3
	s_or_b64 exec, exec, s[44:45]
	s_andn2_b64 s[38:39], s[38:39], exec
	s_and_b64 s[42:43], s[42:43], exec
	s_or_b64 s[38:39], s[38:39], s[42:43]
.LBB190_26:                             ;   in Loop: Header=BB190_19 Depth=3
	s_or_b64 exec, exec, s[40:41]
	s_and_b64 s[38:39], s[38:39], exec
                                        ; implicit-def: $vgpr30
.LBB190_27:                             ;   in Loop: Header=BB190_19 Depth=3
	s_andn2_saveexec_b64 s[36:37], s[36:37]
	s_cbranch_execz .LBB190_18
; %bb.28:                               ;   in Loop: Header=BB190_19 Depth=3
	v_mad_u64_u32 v[40:41], s[40:41], v38, 28, v[30:31]
	ds_add_f64 v40, v[28:29] offset:256
	s_andn2_b64 s[38:39], s[38:39], exec
	s_branch .LBB190_18
.LBB190_29:                             ;   in Loop: Header=BB190_17 Depth=2
	s_or_b64 exec, exec, s[34:35]
	s_waitcnt vmcnt(0)
	v_mul_f64 v[28:29], v[16:17], v[22:23]
	v_fmac_f64_e32 v[28:29], v[18:19], v[20:21]
	s_mov_b64 s[34:35], 0
	v_mov_b32_e32 v38, v37
	s_branch .LBB190_31
.LBB190_30:                             ;   in Loop: Header=BB190_31 Depth=3
	s_or_b64 exec, exec, s[36:37]
	s_xor_b64 s[36:37], s[38:39], -1
	s_and_b64 s[36:37], exec, s[36:37]
	s_or_b64 s[34:35], s[36:37], s[34:35]
	s_andn2_b64 exec, exec, s[34:35]
	s_cbranch_execz .LBB190_41
.LBB190_31:                             ;   Parent Loop BB190_14 Depth=1
                                        ;     Parent Loop BB190_17 Depth=2
                                        ; =>    This Inner Loop Header: Depth=3
	v_lshl_add_u32 v30, v38, 2, 0
	ds_read_b32 v39, v30
                                        ; implicit-def: $sgpr38_sgpr39
	s_waitcnt lgkmcnt(0)
	v_cmp_ne_u32_e32 vcc, v39, v36
	s_and_saveexec_b64 s[36:37], vcc
	s_xor_b64 s[36:37], exec, s[36:37]
	s_cbranch_execz .LBB190_39
; %bb.32:                               ;   in Loop: Header=BB190_31 Depth=3
	v_cmp_ne_u32_e32 vcc, s46, v39
                                        ; implicit-def: $sgpr38_sgpr39
	s_and_saveexec_b64 s[40:41], vcc
	s_xor_b64 s[40:41], exec, s[40:41]
; %bb.33:                               ;   in Loop: Header=BB190_31 Depth=3
	v_add_u32_e32 v30, 1, v38
	v_and_b32_e32 v38, 63, v30
	s_mov_b64 s[38:39], -1
                                        ; implicit-def: $vgpr30
; %bb.34:                               ;   in Loop: Header=BB190_31 Depth=3
	s_andn2_saveexec_b64 s[40:41], s[40:41]
	s_cbranch_execz .LBB190_38
; %bb.35:                               ;   in Loop: Header=BB190_31 Depth=3
	v_mov_b32_e32 v39, s46
	ds_cmpst_rtn_b32 v39, v30, v39, v36
	s_mov_b64 s[42:43], -1
	s_waitcnt lgkmcnt(0)
	v_cmp_eq_u32_e32 vcc, s46, v39
	s_and_saveexec_b64 s[44:45], vcc
	s_cbranch_execz .LBB190_37
; %bb.36:                               ;   in Loop: Header=BB190_31 Depth=3
	v_mad_u64_u32 v[40:41], s[42:43], v38, 28, v[30:31]
	ds_add_f64 v40, v[28:29] offset:264
	s_xor_b64 s[42:43], exec, -1
.LBB190_37:                             ;   in Loop: Header=BB190_31 Depth=3
	s_or_b64 exec, exec, s[44:45]
	s_andn2_b64 s[38:39], s[38:39], exec
	s_and_b64 s[42:43], s[42:43], exec
	s_or_b64 s[38:39], s[38:39], s[42:43]
.LBB190_38:                             ;   in Loop: Header=BB190_31 Depth=3
	s_or_b64 exec, exec, s[40:41]
	s_and_b64 s[38:39], s[38:39], exec
                                        ; implicit-def: $vgpr30
.LBB190_39:                             ;   in Loop: Header=BB190_31 Depth=3
	s_andn2_saveexec_b64 s[36:37], s[36:37]
	s_cbranch_execz .LBB190_30
; %bb.40:                               ;   in Loop: Header=BB190_31 Depth=3
	v_mad_u64_u32 v[40:41], s[40:41], v38, 28, v[30:31]
	ds_add_f64 v40, v[28:29] offset:264
	s_andn2_b64 s[38:39], s[38:39], exec
	s_branch .LBB190_30
.LBB190_41:                             ;   in Loop: Header=BB190_17 Depth=2
	s_or_b64 exec, exec, s[34:35]
	v_mul_f64 v[26:27], v[12:13], v[26:27]
	v_fmac_f64_e32 v[26:27], v[14:15], v[24:25]
	s_mov_b64 s[34:35], 0
	v_mov_b32_e32 v25, v37
	s_branch .LBB190_43
.LBB190_42:                             ;   in Loop: Header=BB190_43 Depth=3
	s_or_b64 exec, exec, s[36:37]
	s_xor_b64 s[36:37], s[38:39], -1
	s_and_b64 s[36:37], exec, s[36:37]
	s_or_b64 s[34:35], s[36:37], s[34:35]
	s_andn2_b64 exec, exec, s[34:35]
	s_cbranch_execz .LBB190_53
.LBB190_43:                             ;   Parent Loop BB190_14 Depth=1
                                        ;     Parent Loop BB190_17 Depth=2
                                        ; =>    This Inner Loop Header: Depth=3
	v_lshl_add_u32 v24, v25, 2, 0
	ds_read_b32 v28, v24
                                        ; implicit-def: $sgpr38_sgpr39
	s_waitcnt lgkmcnt(0)
	v_cmp_ne_u32_e32 vcc, v28, v36
	s_and_saveexec_b64 s[36:37], vcc
	s_xor_b64 s[36:37], exec, s[36:37]
	s_cbranch_execz .LBB190_51
; %bb.44:                               ;   in Loop: Header=BB190_43 Depth=3
	v_cmp_ne_u32_e32 vcc, s46, v28
                                        ; implicit-def: $sgpr38_sgpr39
	s_and_saveexec_b64 s[40:41], vcc
	s_xor_b64 s[40:41], exec, s[40:41]
; %bb.45:                               ;   in Loop: Header=BB190_43 Depth=3
	v_add_u32_e32 v24, 1, v25
	v_and_b32_e32 v25, 63, v24
	s_mov_b64 s[38:39], -1
                                        ; implicit-def: $vgpr24
; %bb.46:                               ;   in Loop: Header=BB190_43 Depth=3
	s_andn2_saveexec_b64 s[40:41], s[40:41]
	s_cbranch_execz .LBB190_50
; %bb.47:                               ;   in Loop: Header=BB190_43 Depth=3
	v_mov_b32_e32 v28, s46
	ds_cmpst_rtn_b32 v28, v24, v28, v36
	s_mov_b64 s[42:43], -1
	s_waitcnt lgkmcnt(0)
	v_cmp_eq_u32_e32 vcc, s46, v28
	s_and_saveexec_b64 s[44:45], vcc
	s_cbranch_execz .LBB190_49
; %bb.48:                               ;   in Loop: Header=BB190_43 Depth=3
	v_mad_u64_u32 v[28:29], s[42:43], v25, 28, v[24:25]
	ds_add_f64 v28, v[26:27] offset:272
	s_xor_b64 s[42:43], exec, -1
.LBB190_49:                             ;   in Loop: Header=BB190_43 Depth=3
	s_or_b64 exec, exec, s[44:45]
	s_andn2_b64 s[38:39], s[38:39], exec
	s_and_b64 s[42:43], s[42:43], exec
	s_or_b64 s[38:39], s[38:39], s[42:43]
.LBB190_50:                             ;   in Loop: Header=BB190_43 Depth=3
	s_or_b64 exec, exec, s[40:41]
	s_and_b64 s[38:39], s[38:39], exec
                                        ; implicit-def: $vgpr24
.LBB190_51:                             ;   in Loop: Header=BB190_43 Depth=3
	s_andn2_saveexec_b64 s[36:37], s[36:37]
	s_cbranch_execz .LBB190_42
; %bb.52:                               ;   in Loop: Header=BB190_43 Depth=3
	v_mad_u64_u32 v[28:29], s[40:41], v25, 28, v[24:25]
	ds_add_f64 v28, v[26:27] offset:272
	s_andn2_b64 s[38:39], s[38:39], exec
	s_branch .LBB190_42
.LBB190_53:                             ;   in Loop: Header=BB190_17 Depth=2
	s_or_b64 exec, exec, s[34:35]
	v_mul_f64 v[22:23], v[12:13], v[22:23]
	v_fmac_f64_e32 v[22:23], v[14:15], v[20:21]
	s_mov_b64 s[34:35], 0
	s_branch .LBB190_55
.LBB190_54:                             ;   in Loop: Header=BB190_55 Depth=3
	s_or_b64 exec, exec, s[36:37]
	s_xor_b64 s[36:37], s[38:39], -1
	s_and_b64 s[36:37], exec, s[36:37]
	s_or_b64 s[34:35], s[36:37], s[34:35]
	s_andn2_b64 exec, exec, s[34:35]
	s_cbranch_execz .LBB190_16
.LBB190_55:                             ;   Parent Loop BB190_14 Depth=1
                                        ;     Parent Loop BB190_17 Depth=2
                                        ; =>    This Inner Loop Header: Depth=3
	v_lshl_add_u32 v20, v37, 2, 0
	ds_read_b32 v21, v20
                                        ; implicit-def: $sgpr38_sgpr39
	s_waitcnt lgkmcnt(0)
	v_cmp_ne_u32_e32 vcc, v21, v36
	s_and_saveexec_b64 s[36:37], vcc
	s_xor_b64 s[36:37], exec, s[36:37]
	s_cbranch_execz .LBB190_63
; %bb.56:                               ;   in Loop: Header=BB190_55 Depth=3
	v_cmp_ne_u32_e32 vcc, s46, v21
                                        ; implicit-def: $sgpr38_sgpr39
	s_and_saveexec_b64 s[40:41], vcc
	s_xor_b64 s[40:41], exec, s[40:41]
; %bb.57:                               ;   in Loop: Header=BB190_55 Depth=3
	v_add_u32_e32 v20, 1, v37
	v_and_b32_e32 v37, 63, v20
	s_mov_b64 s[38:39], -1
                                        ; implicit-def: $vgpr20
; %bb.58:                               ;   in Loop: Header=BB190_55 Depth=3
	s_andn2_saveexec_b64 s[40:41], s[40:41]
	s_cbranch_execz .LBB190_62
; %bb.59:                               ;   in Loop: Header=BB190_55 Depth=3
	v_mov_b32_e32 v21, s46
	ds_cmpst_rtn_b32 v21, v20, v21, v36
	s_mov_b64 s[42:43], -1
	s_waitcnt lgkmcnt(0)
	v_cmp_eq_u32_e32 vcc, s46, v21
	s_and_saveexec_b64 s[44:45], vcc
	s_cbranch_execz .LBB190_61
; %bb.60:                               ;   in Loop: Header=BB190_55 Depth=3
	v_mad_u64_u32 v[20:21], s[42:43], v37, 28, v[20:21]
	ds_add_f64 v20, v[22:23] offset:280
	s_xor_b64 s[42:43], exec, -1
.LBB190_61:                             ;   in Loop: Header=BB190_55 Depth=3
	s_or_b64 exec, exec, s[44:45]
	s_andn2_b64 s[38:39], s[38:39], exec
	s_and_b64 s[42:43], s[42:43], exec
	s_or_b64 s[38:39], s[38:39], s[42:43]
.LBB190_62:                             ;   in Loop: Header=BB190_55 Depth=3
	s_or_b64 exec, exec, s[40:41]
	s_and_b64 s[38:39], s[38:39], exec
                                        ; implicit-def: $vgpr20
.LBB190_63:                             ;   in Loop: Header=BB190_55 Depth=3
	s_andn2_saveexec_b64 s[36:37], s[36:37]
	s_cbranch_execz .LBB190_54
; %bb.64:                               ;   in Loop: Header=BB190_55 Depth=3
	v_mad_u64_u32 v[20:21], s[40:41], v37, 28, v[20:21]
	ds_add_f64 v20, v[22:23] offset:280
	s_andn2_b64 s[38:39], s[38:39], exec
	s_branch .LBB190_54
.LBB190_65:
	s_or_b64 exec, exec, s[22:23]
.LBB190_66:
	s_andn2_b64 vcc, exec, s[2:3]
	s_waitcnt lgkmcnt(0)
	s_barrier
	s_cbranch_vccnz .LBB190_119
; %bb.67:
	s_load_dwordx2 s[2:3], s[4:5], 0x60
	s_lshl_b64 s[8:9], s[6:7], 3
	s_waitcnt vmcnt(0)
	v_subrev_co_u32_e32 v4, vcc, s19, v0
	s_waitcnt lgkmcnt(0)
	s_add_u32 s2, s2, s8
	s_addc_u32 s3, s3, s9
	s_load_dwordx4 s[8:11], s[2:3], 0x0
	v_subb_co_u32_e64 v5, s[2:3], 0, 0, vcc
	s_waitcnt lgkmcnt(0)
	s_sub_u32 s2, s10, s19
	v_mov_b32_e32 v6, s9
	v_add_co_u32_e32 v4, vcc, s8, v4
	s_subb_u32 s3, s11, 0
	v_addc_co_u32_e32 v5, vcc, v6, v5, vcc
	v_cmp_gt_i64_e32 vcc, s[2:3], v[4:5]
	s_and_saveexec_b64 s[12:13], vcc
	s_cbranch_execz .LBB190_118
; %bb.68:
	s_load_dwordx4 s[8:11], s[4:5], 0x68
	s_cmp_eq_u32 s33, 0
	s_mov_b64 s[14:15], 0
	s_cselect_b32 s30, 1, 2
	s_cselect_b32 s31, 2, 1
	s_waitcnt lgkmcnt(0)
	v_mov_b32_e32 v15, s11
	v_mov_b32_e32 v16, s9
	s_branch .LBB190_70
.LBB190_69:                             ;   in Loop: Header=BB190_70 Depth=1
	s_or_b64 exec, exec, s[16:17]
	v_add_co_u32_e32 v4, vcc, 0x100, v4
	v_addc_co_u32_e32 v5, vcc, 0, v5, vcc
	v_cmp_le_i64_e32 vcc, s[2:3], v[4:5]
	s_or_b64 s[14:15], vcc, s[14:15]
	s_andn2_b64 exec, exec, s[14:15]
	s_cbranch_execz .LBB190_118
.LBB190_70:                             ; =>This Loop Header: Depth=1
                                        ;     Child Loop BB190_72 Depth 2
                                        ;     Child Loop BB190_84 Depth 2
	;; [unrolled: 1-line block ×4, first 2 shown]
	v_lshlrev_b64 v[6:7], 2, v[4:5]
	v_lshlrev_b64 v[12:13], 5, v[4:5]
	v_or_b32_e32 v9, 0, v7
	v_or_b32_e32 v8, s30, v6
	v_add_co_u32_e32 v12, vcc, s10, v12
	v_addc_co_u32_e32 v13, vcc, v15, v13, vcc
	v_lshlrev_b64 v[8:9], 3, v[8:9]
	v_add_co_u32_e32 v20, vcc, s10, v8
	v_addc_co_u32_e32 v21, vcc, v15, v9, vcc
	v_or_b32_e32 v10, s31, v6
	v_add_co_u32_e32 v6, vcc, s8, v6
	v_or_b32_e32 v11, 0, v7
	v_addc_co_u32_e32 v7, vcc, v16, v7, vcc
	v_lshlrev_b64 v[8:9], 3, v[10:11]
	global_load_dword v14, v[6:7], off
	v_add_co_u32_e32 v22, vcc, s10, v8
	global_load_dwordx2 v[18:19], v[12:13], off
	v_addc_co_u32_e32 v23, vcc, v15, v9, vcc
	global_load_dwordx2 v[8:9], v[22:23], off
	global_load_dwordx2 v[10:11], v[20:21], off
	global_load_dwordx2 v[6:7], v[12:13], off offset:24
	s_mov_b64 s[16:17], 0
	s_waitcnt vmcnt(4)
	v_subrev_u32_e32 v17, s19, v14
	v_lshl_add_u32 v14, v17, 3, v17
	s_waitcnt vmcnt(3)
	v_mul_f64 v[12:13], v[2:3], v[18:19]
	v_and_b32_e32 v18, 63, v14
	v_mov_b32_e32 v19, v18
	s_branch .LBB190_72
.LBB190_71:                             ;   in Loop: Header=BB190_72 Depth=2
	s_or_b64 exec, exec, s[20:21]
	s_xor_b64 s[20:21], s[22:23], -1
	s_and_b64 s[20:21], exec, s[20:21]
	s_or_b64 s[16:17], s[20:21], s[16:17]
	s_andn2_b64 exec, exec, s[16:17]
	s_cbranch_execz .LBB190_82
.LBB190_72:                             ;   Parent Loop BB190_70 Depth=1
                                        ; =>  This Inner Loop Header: Depth=2
	v_lshl_add_u32 v14, v19, 2, 0
	ds_read_b32 v20, v14
                                        ; implicit-def: $sgpr22_sgpr23
	s_waitcnt lgkmcnt(0)
	v_cmp_ne_u32_e32 vcc, v20, v17
	s_and_saveexec_b64 s[20:21], vcc
	s_xor_b64 s[20:21], exec, s[20:21]
	s_cbranch_execz .LBB190_80
; %bb.73:                               ;   in Loop: Header=BB190_72 Depth=2
	v_cmp_ne_u32_e32 vcc, s46, v20
                                        ; implicit-def: $sgpr22_sgpr23
	s_and_saveexec_b64 s[24:25], vcc
	s_xor_b64 s[24:25], exec, s[24:25]
; %bb.74:                               ;   in Loop: Header=BB190_72 Depth=2
	v_add_u32_e32 v14, 1, v19
	v_and_b32_e32 v19, 63, v14
	s_mov_b64 s[22:23], -1
                                        ; implicit-def: $vgpr14
; %bb.75:                               ;   in Loop: Header=BB190_72 Depth=2
	s_andn2_saveexec_b64 s[24:25], s[24:25]
	s_cbranch_execz .LBB190_79
; %bb.76:                               ;   in Loop: Header=BB190_72 Depth=2
	v_mov_b32_e32 v20, s46
	ds_cmpst_rtn_b32 v20, v14, v20, v17
	s_mov_b64 s[26:27], -1
	s_waitcnt lgkmcnt(0)
	v_cmp_eq_u32_e32 vcc, s46, v20
	s_and_saveexec_b64 s[28:29], vcc
	s_cbranch_execz .LBB190_78
; %bb.77:                               ;   in Loop: Header=BB190_72 Depth=2
	v_mad_u64_u32 v[20:21], s[26:27], v19, 28, v[14:15]
	ds_add_f64 v20, v[12:13] offset:256
	s_xor_b64 s[26:27], exec, -1
.LBB190_78:                             ;   in Loop: Header=BB190_72 Depth=2
	s_or_b64 exec, exec, s[28:29]
	s_andn2_b64 s[22:23], s[22:23], exec
	s_and_b64 s[26:27], s[26:27], exec
	s_or_b64 s[22:23], s[22:23], s[26:27]
.LBB190_79:                             ;   in Loop: Header=BB190_72 Depth=2
	s_or_b64 exec, exec, s[24:25]
	s_and_b64 s[22:23], s[22:23], exec
                                        ; implicit-def: $vgpr14
.LBB190_80:                             ;   in Loop: Header=BB190_72 Depth=2
	s_andn2_saveexec_b64 s[20:21], s[20:21]
	s_cbranch_execz .LBB190_71
; %bb.81:                               ;   in Loop: Header=BB190_72 Depth=2
	v_mad_u64_u32 v[20:21], s[24:25], v19, 28, v[14:15]
	ds_add_f64 v20, v[12:13] offset:256
	s_andn2_b64 s[22:23], s[22:23], exec
	s_branch .LBB190_71
.LBB190_82:                             ;   in Loop: Header=BB190_70 Depth=1
	s_or_b64 exec, exec, s[16:17]
	s_waitcnt vmcnt(1)
	v_mul_f64 v[10:11], v[2:3], v[10:11]
	s_mov_b64 s[16:17], 0
	v_mov_b32_e32 v13, v18
	s_branch .LBB190_84
.LBB190_83:                             ;   in Loop: Header=BB190_84 Depth=2
	s_or_b64 exec, exec, s[20:21]
	s_xor_b64 s[20:21], s[22:23], -1
	s_and_b64 s[20:21], exec, s[20:21]
	s_or_b64 s[16:17], s[20:21], s[16:17]
	s_andn2_b64 exec, exec, s[16:17]
	s_cbranch_execz .LBB190_94
.LBB190_84:                             ;   Parent Loop BB190_70 Depth=1
                                        ; =>  This Inner Loop Header: Depth=2
	v_lshl_add_u32 v12, v13, 2, 0
	ds_read_b32 v14, v12
                                        ; implicit-def: $sgpr22_sgpr23
	s_waitcnt lgkmcnt(0)
	v_cmp_ne_u32_e32 vcc, v14, v17
	s_and_saveexec_b64 s[20:21], vcc
	s_xor_b64 s[20:21], exec, s[20:21]
	s_cbranch_execz .LBB190_92
; %bb.85:                               ;   in Loop: Header=BB190_84 Depth=2
	v_cmp_ne_u32_e32 vcc, s46, v14
                                        ; implicit-def: $sgpr22_sgpr23
	s_and_saveexec_b64 s[24:25], vcc
	s_xor_b64 s[24:25], exec, s[24:25]
; %bb.86:                               ;   in Loop: Header=BB190_84 Depth=2
	v_add_u32_e32 v12, 1, v13
	v_and_b32_e32 v13, 63, v12
	s_mov_b64 s[22:23], -1
                                        ; implicit-def: $vgpr12
; %bb.87:                               ;   in Loop: Header=BB190_84 Depth=2
	s_andn2_saveexec_b64 s[24:25], s[24:25]
	s_cbranch_execz .LBB190_91
; %bb.88:                               ;   in Loop: Header=BB190_84 Depth=2
	v_mov_b32_e32 v14, s46
	ds_cmpst_rtn_b32 v14, v12, v14, v17
	s_mov_b64 s[26:27], -1
	s_waitcnt lgkmcnt(0)
	v_cmp_eq_u32_e32 vcc, s46, v14
	s_and_saveexec_b64 s[28:29], vcc
	s_cbranch_execz .LBB190_90
; %bb.89:                               ;   in Loop: Header=BB190_84 Depth=2
	v_mad_u64_u32 v[20:21], s[26:27], v13, 28, v[12:13]
	ds_add_f64 v20, v[10:11] offset:264
	s_xor_b64 s[26:27], exec, -1
.LBB190_90:                             ;   in Loop: Header=BB190_84 Depth=2
	s_or_b64 exec, exec, s[28:29]
	s_andn2_b64 s[22:23], s[22:23], exec
	s_and_b64 s[26:27], s[26:27], exec
	s_or_b64 s[22:23], s[22:23], s[26:27]
.LBB190_91:                             ;   in Loop: Header=BB190_84 Depth=2
	s_or_b64 exec, exec, s[24:25]
	s_and_b64 s[22:23], s[22:23], exec
                                        ; implicit-def: $vgpr12
.LBB190_92:                             ;   in Loop: Header=BB190_84 Depth=2
	s_andn2_saveexec_b64 s[20:21], s[20:21]
	s_cbranch_execz .LBB190_83
; %bb.93:                               ;   in Loop: Header=BB190_84 Depth=2
	v_mad_u64_u32 v[20:21], s[24:25], v13, 28, v[12:13]
	ds_add_f64 v20, v[10:11] offset:264
	s_andn2_b64 s[22:23], s[22:23], exec
	s_branch .LBB190_83
.LBB190_94:                             ;   in Loop: Header=BB190_70 Depth=1
	s_or_b64 exec, exec, s[16:17]
	v_mul_f64 v[8:9], v[2:3], v[8:9]
	s_mov_b64 s[16:17], 0
	v_mov_b32_e32 v11, v18
	s_branch .LBB190_96
.LBB190_95:                             ;   in Loop: Header=BB190_96 Depth=2
	s_or_b64 exec, exec, s[20:21]
	s_xor_b64 s[20:21], s[22:23], -1
	s_and_b64 s[20:21], exec, s[20:21]
	s_or_b64 s[16:17], s[20:21], s[16:17]
	s_andn2_b64 exec, exec, s[16:17]
	s_cbranch_execz .LBB190_106
.LBB190_96:                             ;   Parent Loop BB190_70 Depth=1
                                        ; =>  This Inner Loop Header: Depth=2
	v_lshl_add_u32 v10, v11, 2, 0
	ds_read_b32 v12, v10
                                        ; implicit-def: $sgpr22_sgpr23
	s_waitcnt lgkmcnt(0)
	v_cmp_ne_u32_e32 vcc, v12, v17
	s_and_saveexec_b64 s[20:21], vcc
	s_xor_b64 s[20:21], exec, s[20:21]
	s_cbranch_execz .LBB190_104
; %bb.97:                               ;   in Loop: Header=BB190_96 Depth=2
	v_cmp_ne_u32_e32 vcc, s46, v12
                                        ; implicit-def: $sgpr22_sgpr23
	s_and_saveexec_b64 s[24:25], vcc
	s_xor_b64 s[24:25], exec, s[24:25]
; %bb.98:                               ;   in Loop: Header=BB190_96 Depth=2
	v_add_u32_e32 v10, 1, v11
	v_and_b32_e32 v11, 63, v10
	s_mov_b64 s[22:23], -1
                                        ; implicit-def: $vgpr10
; %bb.99:                               ;   in Loop: Header=BB190_96 Depth=2
	s_andn2_saveexec_b64 s[24:25], s[24:25]
	s_cbranch_execz .LBB190_103
; %bb.100:                              ;   in Loop: Header=BB190_96 Depth=2
	v_mov_b32_e32 v12, s46
	ds_cmpst_rtn_b32 v12, v10, v12, v17
	s_mov_b64 s[26:27], -1
	s_waitcnt lgkmcnt(0)
	v_cmp_eq_u32_e32 vcc, s46, v12
	s_and_saveexec_b64 s[28:29], vcc
	s_cbranch_execz .LBB190_102
; %bb.101:                              ;   in Loop: Header=BB190_96 Depth=2
	v_mad_u64_u32 v[12:13], s[26:27], v11, 28, v[10:11]
	ds_add_f64 v12, v[8:9] offset:272
	s_xor_b64 s[26:27], exec, -1
.LBB190_102:                            ;   in Loop: Header=BB190_96 Depth=2
	s_or_b64 exec, exec, s[28:29]
	s_andn2_b64 s[22:23], s[22:23], exec
	s_and_b64 s[26:27], s[26:27], exec
	s_or_b64 s[22:23], s[22:23], s[26:27]
.LBB190_103:                            ;   in Loop: Header=BB190_96 Depth=2
	s_or_b64 exec, exec, s[24:25]
	s_and_b64 s[22:23], s[22:23], exec
                                        ; implicit-def: $vgpr10
.LBB190_104:                            ;   in Loop: Header=BB190_96 Depth=2
	s_andn2_saveexec_b64 s[20:21], s[20:21]
	s_cbranch_execz .LBB190_95
; %bb.105:                              ;   in Loop: Header=BB190_96 Depth=2
	v_mad_u64_u32 v[12:13], s[24:25], v11, 28, v[10:11]
	ds_add_f64 v12, v[8:9] offset:272
	s_andn2_b64 s[22:23], s[22:23], exec
	s_branch .LBB190_95
.LBB190_106:                            ;   in Loop: Header=BB190_70 Depth=1
	s_or_b64 exec, exec, s[16:17]
	s_waitcnt vmcnt(0)
	v_mul_f64 v[6:7], v[2:3], v[6:7]
	s_mov_b64 s[16:17], 0
	s_branch .LBB190_108
.LBB190_107:                            ;   in Loop: Header=BB190_108 Depth=2
	s_or_b64 exec, exec, s[20:21]
	s_xor_b64 s[20:21], s[22:23], -1
	s_and_b64 s[20:21], exec, s[20:21]
	s_or_b64 s[16:17], s[20:21], s[16:17]
	s_andn2_b64 exec, exec, s[16:17]
	s_cbranch_execz .LBB190_69
.LBB190_108:                            ;   Parent Loop BB190_70 Depth=1
                                        ; =>  This Inner Loop Header: Depth=2
	v_lshl_add_u32 v8, v18, 2, 0
	ds_read_b32 v9, v8
                                        ; implicit-def: $sgpr22_sgpr23
	s_waitcnt lgkmcnt(0)
	v_cmp_ne_u32_e32 vcc, v9, v17
	s_and_saveexec_b64 s[20:21], vcc
	s_xor_b64 s[20:21], exec, s[20:21]
	s_cbranch_execz .LBB190_116
; %bb.109:                              ;   in Loop: Header=BB190_108 Depth=2
	v_cmp_ne_u32_e32 vcc, s46, v9
                                        ; implicit-def: $sgpr22_sgpr23
	s_and_saveexec_b64 s[24:25], vcc
	s_xor_b64 s[24:25], exec, s[24:25]
; %bb.110:                              ;   in Loop: Header=BB190_108 Depth=2
	v_add_u32_e32 v8, 1, v18
	v_and_b32_e32 v18, 63, v8
	s_mov_b64 s[22:23], -1
                                        ; implicit-def: $vgpr8
; %bb.111:                              ;   in Loop: Header=BB190_108 Depth=2
	s_andn2_saveexec_b64 s[24:25], s[24:25]
	s_cbranch_execz .LBB190_115
; %bb.112:                              ;   in Loop: Header=BB190_108 Depth=2
	v_mov_b32_e32 v9, s46
	ds_cmpst_rtn_b32 v9, v8, v9, v17
	s_mov_b64 s[26:27], -1
	s_waitcnt lgkmcnt(0)
	v_cmp_eq_u32_e32 vcc, s46, v9
	s_and_saveexec_b64 s[28:29], vcc
	s_cbranch_execz .LBB190_114
; %bb.113:                              ;   in Loop: Header=BB190_108 Depth=2
	v_mad_u64_u32 v[8:9], s[26:27], v18, 28, v[8:9]
	ds_add_f64 v8, v[6:7] offset:280
	s_xor_b64 s[26:27], exec, -1
.LBB190_114:                            ;   in Loop: Header=BB190_108 Depth=2
	s_or_b64 exec, exec, s[28:29]
	s_andn2_b64 s[22:23], s[22:23], exec
	s_and_b64 s[26:27], s[26:27], exec
	s_or_b64 s[22:23], s[22:23], s[26:27]
.LBB190_115:                            ;   in Loop: Header=BB190_108 Depth=2
	s_or_b64 exec, exec, s[24:25]
	s_and_b64 s[22:23], s[22:23], exec
                                        ; implicit-def: $vgpr8
.LBB190_116:                            ;   in Loop: Header=BB190_108 Depth=2
	s_andn2_saveexec_b64 s[20:21], s[20:21]
	s_cbranch_execz .LBB190_107
; %bb.117:                              ;   in Loop: Header=BB190_108 Depth=2
	v_mad_u64_u32 v[8:9], s[24:25], v18, 28, v[8:9]
	ds_add_f64 v8, v[6:7] offset:280
	s_andn2_b64 s[22:23], s[22:23], exec
	s_branch .LBB190_107
.LBB190_118:
	s_or_b64 exec, exec, s[12:13]
.LBB190_119:
	s_waitcnt lgkmcnt(0)
	s_barrier
	s_and_saveexec_b64 s[2:3], s[0:1]
	s_cbranch_execz .LBB190_122
; %bb.120:
	ds_read_b32 v1, v1
	s_waitcnt lgkmcnt(0)
	v_cmp_gt_i32_e32 vcc, s46, v1
	s_and_b64 exec, exec, vcc
	s_cbranch_execz .LBB190_122
; %bb.121:
	s_load_dwordx4 s[0:3], s[4:5], 0x78
	s_load_dwordx2 s[8:9], s[4:5], 0x88
	s_lshl_b64 s[4:5], s[6:7], 3
	v_mov_b32_e32 v10, 0
	s_waitcnt lgkmcnt(0)
	s_add_u32 s0, s0, s4
	s_addc_u32 s1, s1, s5
	s_load_dwordx2 s[0:1], s[0:1], 0x0
	s_waitcnt vmcnt(0)
	ds_read2_b32 v[2:3], v10 offset1:1
	ds_read2_b32 v[4:5], v10 offset0:2 offset1:3
	ds_read2_b32 v[6:7], v10 offset0:4 offset1:5
	;; [unrolled: 1-line block ×3, first 2 shown]
	s_waitcnt lgkmcnt(0)
	v_cmp_gt_i32_e32 vcc, v1, v2
	v_cndmask_b32_e64 v2, 0, 1, vcc
	s_sub_u32 s4, s0, s18
	s_subb_u32 s1, s1, 0
	v_mov_b32_e32 v11, s1
	v_add_co_u32_e32 v2, vcc, s4, v2
	v_addc_co_u32_e32 v11, vcc, 0, v11, vcc
	v_cmp_gt_i32_e32 vcc, v1, v3
	v_cndmask_b32_e64 v3, 0, 1, vcc
	v_add_co_u32_e32 v2, vcc, v2, v3
	v_addc_co_u32_e32 v3, vcc, 0, v11, vcc
	v_cmp_gt_i32_e32 vcc, v1, v4
	v_cndmask_b32_e64 v4, 0, 1, vcc
	;; [unrolled: 4-line block ×6, first 2 shown]
	v_add_co_u32_e32 v4, vcc, v2, v4
	v_addc_co_u32_e32 v5, vcc, 0, v3, vcc
	ds_read2_b32 v[2:3], v10 offset0:8 offset1:9
	v_cmp_gt_i32_e32 vcc, v1, v9
	v_cndmask_b32_e64 v6, 0, 1, vcc
	v_add_co_u32_e32 v11, vcc, v4, v6
	v_addc_co_u32_e32 v12, vcc, 0, v5, vcc
	s_waitcnt lgkmcnt(0)
	v_cmp_gt_i32_e32 vcc, v1, v2
	v_cndmask_b32_e64 v2, 0, 1, vcc
	v_add_co_u32_e32 v2, vcc, v11, v2
	v_addc_co_u32_e32 v11, vcc, 0, v12, vcc
	v_cmp_gt_i32_e32 vcc, v1, v3
	ds_read2_b32 v[4:5], v10 offset0:10 offset1:11
	ds_read2_b32 v[6:7], v10 offset0:12 offset1:13
	ds_read2_b32 v[8:9], v10 offset0:14 offset1:15
	v_cndmask_b32_e64 v3, 0, 1, vcc
	v_add_co_u32_e32 v2, vcc, v2, v3
	v_addc_co_u32_e32 v3, vcc, 0, v11, vcc
	s_waitcnt lgkmcnt(2)
	v_cmp_gt_i32_e32 vcc, v1, v4
	v_cndmask_b32_e64 v4, 0, 1, vcc
	v_add_co_u32_e32 v2, vcc, v2, v4
	v_addc_co_u32_e32 v3, vcc, 0, v3, vcc
	v_cmp_gt_i32_e32 vcc, v1, v5
	v_cndmask_b32_e64 v4, 0, 1, vcc
	v_add_co_u32_e32 v2, vcc, v2, v4
	v_addc_co_u32_e32 v3, vcc, 0, v3, vcc
	s_waitcnt lgkmcnt(1)
	v_cmp_gt_i32_e32 vcc, v1, v6
	v_cndmask_b32_e64 v4, 0, 1, vcc
	v_add_co_u32_e32 v2, vcc, v2, v4
	v_addc_co_u32_e32 v3, vcc, 0, v3, vcc
	v_cmp_gt_i32_e32 vcc, v1, v7
	v_cndmask_b32_e64 v4, 0, 1, vcc
	v_add_co_u32_e32 v2, vcc, v2, v4
	v_addc_co_u32_e32 v3, vcc, 0, v3, vcc
	s_waitcnt lgkmcnt(0)
	v_cmp_gt_i32_e32 vcc, v1, v8
	v_cndmask_b32_e64 v4, 0, 1, vcc
	v_add_co_u32_e32 v4, vcc, v2, v4
	v_addc_co_u32_e32 v5, vcc, 0, v3, vcc
	ds_read2_b32 v[2:3], v10 offset0:16 offset1:17
	v_cmp_gt_i32_e32 vcc, v1, v9
	v_cndmask_b32_e64 v6, 0, 1, vcc
	v_add_co_u32_e32 v11, vcc, v4, v6
	v_addc_co_u32_e32 v12, vcc, 0, v5, vcc
	s_waitcnt lgkmcnt(0)
	v_cmp_gt_i32_e32 vcc, v1, v2
	v_cndmask_b32_e64 v2, 0, 1, vcc
	v_add_co_u32_e32 v2, vcc, v11, v2
	v_addc_co_u32_e32 v11, vcc, 0, v12, vcc
	v_cmp_gt_i32_e32 vcc, v1, v3
	ds_read2_b32 v[4:5], v10 offset0:18 offset1:19
	ds_read2_b32 v[6:7], v10 offset0:20 offset1:21
	ds_read2_b32 v[8:9], v10 offset0:22 offset1:23
	v_cndmask_b32_e64 v3, 0, 1, vcc
	v_add_co_u32_e32 v2, vcc, v2, v3
	v_addc_co_u32_e32 v3, vcc, 0, v11, vcc
	s_waitcnt lgkmcnt(2)
	v_cmp_gt_i32_e32 vcc, v1, v4
	v_cndmask_b32_e64 v4, 0, 1, vcc
	v_add_co_u32_e32 v2, vcc, v2, v4
	v_addc_co_u32_e32 v3, vcc, 0, v3, vcc
	v_cmp_gt_i32_e32 vcc, v1, v5
	v_cndmask_b32_e64 v4, 0, 1, vcc
	v_add_co_u32_e32 v2, vcc, v2, v4
	v_addc_co_u32_e32 v3, vcc, 0, v3, vcc
	s_waitcnt lgkmcnt(1)
	v_cmp_gt_i32_e32 vcc, v1, v6
	v_cndmask_b32_e64 v4, 0, 1, vcc
	v_add_co_u32_e32 v2, vcc, v2, v4
	v_addc_co_u32_e32 v3, vcc, 0, v3, vcc
	v_cmp_gt_i32_e32 vcc, v1, v7
	v_cndmask_b32_e64 v4, 0, 1, vcc
	v_add_co_u32_e32 v2, vcc, v2, v4
	v_addc_co_u32_e32 v3, vcc, 0, v3, vcc
	s_waitcnt lgkmcnt(0)
	v_cmp_gt_i32_e32 vcc, v1, v8
	v_cndmask_b32_e64 v4, 0, 1, vcc
	;; [unrolled: 40-line block ×6, first 2 shown]
	v_add_co_u32_e32 v4, vcc, v2, v4
	v_addc_co_u32_e32 v5, vcc, 0, v3, vcc
	ds_read2_b32 v[2:3], v10 offset0:56 offset1:57
	v_cmp_gt_i32_e32 vcc, v1, v9
	v_cndmask_b32_e64 v6, 0, 1, vcc
	v_add_co_u32_e32 v11, vcc, v4, v6
	v_addc_co_u32_e32 v12, vcc, 0, v5, vcc
	s_waitcnt lgkmcnt(0)
	v_cmp_gt_i32_e32 vcc, v1, v2
	v_cndmask_b32_e64 v2, 0, 1, vcc
	v_add_co_u32_e32 v2, vcc, v11, v2
	ds_read2_b32 v[4:5], v10 offset0:58 offset1:59
	ds_read2_b32 v[6:7], v10 offset0:60 offset1:61
	ds_read2_b32 v[8:9], v10 offset0:62 offset1:63
	v_addc_co_u32_e32 v10, vcc, 0, v12, vcc
	v_cmp_gt_i32_e32 vcc, v1, v3
	v_cndmask_b32_e64 v3, 0, 1, vcc
	v_add_co_u32_e32 v2, vcc, v2, v3
	v_addc_co_u32_e32 v3, vcc, 0, v10, vcc
	s_waitcnt lgkmcnt(2)
	v_cmp_gt_i32_e32 vcc, v1, v4
	v_cndmask_b32_e64 v4, 0, 1, vcc
	v_add_co_u32_e32 v2, vcc, v2, v4
	v_addc_co_u32_e32 v3, vcc, 0, v3, vcc
	v_cmp_gt_i32_e32 vcc, v1, v5
	v_cndmask_b32_e64 v4, 0, 1, vcc
	v_add_co_u32_e32 v2, vcc, v2, v4
	v_addc_co_u32_e32 v3, vcc, 0, v3, vcc
	s_waitcnt lgkmcnt(1)
	v_cmp_gt_i32_e32 vcc, v1, v6
	v_cndmask_b32_e64 v4, 0, 1, vcc
	v_add_co_u32_e32 v2, vcc, v2, v4
	;; [unrolled: 9-line block ×3, first 2 shown]
	v_addc_co_u32_e32 v3, vcc, 0, v3, vcc
	v_cmp_gt_i32_e32 vcc, v1, v9
	v_cndmask_b32_e64 v4, 0, 1, vcc
	v_add_co_u32_e32 v2, vcc, v2, v4
	v_addc_co_u32_e32 v3, vcc, 0, v3, vcc
	v_lshlrev_b64 v[4:5], 2, v[2:3]
	v_mov_b32_e32 v6, s3
	v_add_co_u32_e32 v4, vcc, s2, v4
	s_add_i32 s0, 0, 0x100
	v_add_u32_e32 v1, s18, v1
	v_addc_co_u32_e32 v5, vcc, v6, v5, vcc
	s_cmp_eq_u32 s33, 0
	global_store_dword v[4:5], v1, off
	v_lshlrev_b32_e32 v5, 5, v0
	v_lshlrev_b32_e32 v4, 2, v0
	v_add_u32_e32 v6, s0, v5
	s_cselect_b32 s0, 1, 2
	s_cselect_b32 s1, 2, 1
	v_lshlrev_b64 v[8:9], 5, v[2:3]
	v_or_b32_e32 v2, s0, v4
	v_or_b32_e32 v3, s1, v4
	v_add_u32_e32 v0, 0, v5
	v_lshl_add_u32 v2, v2, 3, 0
	v_lshl_add_u32 v3, v3, 3, 0
	ds_read_b64 v[0:1], v0 offset:256
	ds_read_b64 v[4:5], v3 offset:256
	;; [unrolled: 1-line block ×4, first 2 shown]
	v_mov_b32_e32 v10, s9
	v_add_co_u32_e32 v8, vcc, s8, v8
	v_addc_co_u32_e32 v9, vcc, v10, v9, vcc
	s_waitcnt lgkmcnt(1)
	global_store_dwordx4 v[8:9], v[0:3], off
	s_waitcnt lgkmcnt(0)
	global_store_dwordx4 v[8:9], v[4:7], off offset:16
.LBB190_122:
	s_endpgm
	.section	.rodata,"a",@progbits
	.p2align	6, 0x0
	.amdhsa_kernel _ZN9rocsparseL30bsrgemm_fill_block_per_row_2x2ILj256ELj16ELj64ELj137ElidEEv20rocsparse_direction_T4_S2_PKS2_S4_NS_24const_host_device_scalarIT5_EEPKT3_S4_PKS6_SA_S4_SC_S7_SA_S4_SC_SA_PS2_PS6_21rocsparse_index_base_SF_SF_SF_bbb
		.amdhsa_group_segment_fixed_size 0
		.amdhsa_private_segment_fixed_size 0
		.amdhsa_kernarg_size 164
		.amdhsa_user_sgpr_count 6
		.amdhsa_user_sgpr_private_segment_buffer 1
		.amdhsa_user_sgpr_dispatch_ptr 0
		.amdhsa_user_sgpr_queue_ptr 0
		.amdhsa_user_sgpr_kernarg_segment_ptr 1
		.amdhsa_user_sgpr_dispatch_id 0
		.amdhsa_user_sgpr_flat_scratch_init 0
		.amdhsa_user_sgpr_kernarg_preload_length 0
		.amdhsa_user_sgpr_kernarg_preload_offset 0
		.amdhsa_user_sgpr_private_segment_size 0
		.amdhsa_uses_dynamic_stack 0
		.amdhsa_system_sgpr_private_segment_wavefront_offset 0
		.amdhsa_system_sgpr_workgroup_id_x 1
		.amdhsa_system_sgpr_workgroup_id_y 0
		.amdhsa_system_sgpr_workgroup_id_z 0
		.amdhsa_system_sgpr_workgroup_info 0
		.amdhsa_system_vgpr_workitem_id 0
		.amdhsa_next_free_vgpr 42
		.amdhsa_next_free_sgpr 50
		.amdhsa_accum_offset 44
		.amdhsa_reserve_vcc 1
		.amdhsa_reserve_flat_scratch 0
		.amdhsa_float_round_mode_32 0
		.amdhsa_float_round_mode_16_64 0
		.amdhsa_float_denorm_mode_32 3
		.amdhsa_float_denorm_mode_16_64 3
		.amdhsa_dx10_clamp 1
		.amdhsa_ieee_mode 1
		.amdhsa_fp16_overflow 0
		.amdhsa_tg_split 0
		.amdhsa_exception_fp_ieee_invalid_op 0
		.amdhsa_exception_fp_denorm_src 0
		.amdhsa_exception_fp_ieee_div_zero 0
		.amdhsa_exception_fp_ieee_overflow 0
		.amdhsa_exception_fp_ieee_underflow 0
		.amdhsa_exception_fp_ieee_inexact 0
		.amdhsa_exception_int_div_zero 0
	.end_amdhsa_kernel
	.section	.text._ZN9rocsparseL30bsrgemm_fill_block_per_row_2x2ILj256ELj16ELj64ELj137ElidEEv20rocsparse_direction_T4_S2_PKS2_S4_NS_24const_host_device_scalarIT5_EEPKT3_S4_PKS6_SA_S4_SC_S7_SA_S4_SC_SA_PS2_PS6_21rocsparse_index_base_SF_SF_SF_bbb,"axG",@progbits,_ZN9rocsparseL30bsrgemm_fill_block_per_row_2x2ILj256ELj16ELj64ELj137ElidEEv20rocsparse_direction_T4_S2_PKS2_S4_NS_24const_host_device_scalarIT5_EEPKT3_S4_PKS6_SA_S4_SC_S7_SA_S4_SC_SA_PS2_PS6_21rocsparse_index_base_SF_SF_SF_bbb,comdat
.Lfunc_end190:
	.size	_ZN9rocsparseL30bsrgemm_fill_block_per_row_2x2ILj256ELj16ELj64ELj137ElidEEv20rocsparse_direction_T4_S2_PKS2_S4_NS_24const_host_device_scalarIT5_EEPKT3_S4_PKS6_SA_S4_SC_S7_SA_S4_SC_SA_PS2_PS6_21rocsparse_index_base_SF_SF_SF_bbb, .Lfunc_end190-_ZN9rocsparseL30bsrgemm_fill_block_per_row_2x2ILj256ELj16ELj64ELj137ElidEEv20rocsparse_direction_T4_S2_PKS2_S4_NS_24const_host_device_scalarIT5_EEPKT3_S4_PKS6_SA_S4_SC_S7_SA_S4_SC_SA_PS2_PS6_21rocsparse_index_base_SF_SF_SF_bbb
                                        ; -- End function
	.section	.AMDGPU.csdata,"",@progbits
; Kernel info:
; codeLenInByte = 5036
; NumSgprs: 54
; NumVgprs: 42
; NumAgprs: 0
; TotalNumVgprs: 42
; ScratchSize: 0
; MemoryBound: 0
; FloatMode: 240
; IeeeMode: 1
; LDSByteSize: 0 bytes/workgroup (compile time only)
; SGPRBlocks: 6
; VGPRBlocks: 5
; NumSGPRsForWavesPerEU: 54
; NumVGPRsForWavesPerEU: 42
; AccumOffset: 44
; Occupancy: 8
; WaveLimiterHint : 1
; COMPUTE_PGM_RSRC2:SCRATCH_EN: 0
; COMPUTE_PGM_RSRC2:USER_SGPR: 6
; COMPUTE_PGM_RSRC2:TRAP_HANDLER: 0
; COMPUTE_PGM_RSRC2:TGID_X_EN: 1
; COMPUTE_PGM_RSRC2:TGID_Y_EN: 0
; COMPUTE_PGM_RSRC2:TGID_Z_EN: 0
; COMPUTE_PGM_RSRC2:TIDIG_COMP_CNT: 0
; COMPUTE_PGM_RSRC3_GFX90A:ACCUM_OFFSET: 10
; COMPUTE_PGM_RSRC3_GFX90A:TG_SPLIT: 0
	.section	.text._ZN9rocsparseL30bsrgemm_fill_block_per_row_2x2ILj256ELj16ELj128ELj137ElidEEv20rocsparse_direction_T4_S2_PKS2_S4_NS_24const_host_device_scalarIT5_EEPKT3_S4_PKS6_SA_S4_SC_S7_SA_S4_SC_SA_PS2_PS6_21rocsparse_index_base_SF_SF_SF_bbb,"axG",@progbits,_ZN9rocsparseL30bsrgemm_fill_block_per_row_2x2ILj256ELj16ELj128ELj137ElidEEv20rocsparse_direction_T4_S2_PKS2_S4_NS_24const_host_device_scalarIT5_EEPKT3_S4_PKS6_SA_S4_SC_S7_SA_S4_SC_SA_PS2_PS6_21rocsparse_index_base_SF_SF_SF_bbb,comdat
	.globl	_ZN9rocsparseL30bsrgemm_fill_block_per_row_2x2ILj256ELj16ELj128ELj137ElidEEv20rocsparse_direction_T4_S2_PKS2_S4_NS_24const_host_device_scalarIT5_EEPKT3_S4_PKS6_SA_S4_SC_S7_SA_S4_SC_SA_PS2_PS6_21rocsparse_index_base_SF_SF_SF_bbb ; -- Begin function _ZN9rocsparseL30bsrgemm_fill_block_per_row_2x2ILj256ELj16ELj128ELj137ElidEEv20rocsparse_direction_T4_S2_PKS2_S4_NS_24const_host_device_scalarIT5_EEPKT3_S4_PKS6_SA_S4_SC_S7_SA_S4_SC_SA_PS2_PS6_21rocsparse_index_base_SF_SF_SF_bbb
	.p2align	8
	.type	_ZN9rocsparseL30bsrgemm_fill_block_per_row_2x2ILj256ELj16ELj128ELj137ElidEEv20rocsparse_direction_T4_S2_PKS2_S4_NS_24const_host_device_scalarIT5_EEPKT3_S4_PKS6_SA_S4_SC_S7_SA_S4_SC_SA_PS2_PS6_21rocsparse_index_base_SF_SF_SF_bbb,@function
_ZN9rocsparseL30bsrgemm_fill_block_per_row_2x2ILj256ELj16ELj128ELj137ElidEEv20rocsparse_direction_T4_S2_PKS2_S4_NS_24const_host_device_scalarIT5_EEPKT3_S4_PKS6_SA_S4_SC_S7_SA_S4_SC_SA_PS2_PS6_21rocsparse_index_base_SF_SF_SF_bbb: ; @_ZN9rocsparseL30bsrgemm_fill_block_per_row_2x2ILj256ELj16ELj128ELj137ElidEEv20rocsparse_direction_T4_S2_PKS2_S4_NS_24const_host_device_scalarIT5_EEPKT3_S4_PKS6_SA_S4_SC_S7_SA_S4_SC_SA_PS2_PS6_21rocsparse_index_base_SF_SF_SF_bbb
; %bb.0:
	s_load_dword s7, s[4:5], 0xa0
	s_load_dwordx2 s[2:3], s[4:5], 0x20
	s_load_dwordx2 s[0:1], s[4:5], 0x58
	s_waitcnt lgkmcnt(0)
	s_and_b32 s10, 1, s7
	s_bitcmp1_b32 s7, 16
	s_cselect_b64 s[8:9], -1, 0
	s_cmp_eq_u32 s10, 1
	s_cselect_b64 s[34:35], -1, 0
	s_and_b64 s[10:11], s[34:35], exec
	s_cselect_b32 s11, s3, 0
	s_cselect_b32 s10, s2, 0
	s_xor_b64 s[12:13], s[34:35], -1
	s_or_b64 s[12:13], s[12:13], s[8:9]
	s_and_b64 vcc, exec, s[12:13]
	v_pk_mov_b32 v[4:5], s[10:11], s[10:11] op_sel:[0,1]
	s_cbranch_vccnz .LBB191_2
; %bb.1:
	v_pk_mov_b32 v[2:3], s[2:3], s[2:3] op_sel:[0,1]
	flat_load_dwordx2 v[4:5], v[2:3]
.LBB191_2:
	s_bitcmp1_b32 s7, 8
	s_cselect_b64 s[2:3], -1, 0
	s_and_b64 s[10:11], s[2:3], exec
	s_cselect_b32 s11, s1, 0
	s_cselect_b32 s10, s0, 0
	s_xor_b64 s[12:13], s[2:3], -1
	s_or_b64 s[8:9], s[12:13], s[8:9]
	s_and_b64 vcc, exec, s[8:9]
	v_pk_mov_b32 v[2:3], s[10:11], s[10:11] op_sel:[0,1]
	s_cbranch_vccnz .LBB191_4
; %bb.3:
	v_pk_mov_b32 v[2:3], s[0:1], s[0:1] op_sel:[0,1]
	flat_load_dwordx2 v[2:3], v[2:3]
.LBB191_4:
	s_load_dwordx4 s[28:31], s[4:5], 0x90
	s_load_dword s56, s[4:5], 0x8
	s_movk_i32 s0, 0x80
	v_cmp_gt_u32_e64 s[0:1], s0, v0
	v_lshl_add_u32 v1, v0, 2, 0
	s_and_saveexec_b64 s[8:9], s[0:1]
	s_cbranch_execz .LBB191_6
; %bb.5:
	s_waitcnt lgkmcnt(0)
	v_mov_b32_e32 v6, s56
	ds_write_b32 v1, v6
.LBB191_6:
	s_or_b64 exec, exec, s[8:9]
	s_load_dwordx4 s[24:27], s[4:5], 0x80
	s_load_dwordx8 s[8:15], s[4:5], 0x60
	s_load_dwordx4 s[36:39], s[4:5], 0x48
	s_load_dwordx4 s[40:43], s[4:5], 0x10
	s_load_dwordx8 s[16:23], s[4:5], 0x28
	s_movk_i32 s7, 0x200
	v_cmp_gt_u32_e32 vcc, s7, v0
	s_and_saveexec_b64 s[44:45], vcc
	s_cbranch_execz .LBB191_9
; %bb.7:
	v_mov_b32_e32 v6, 0
	v_lshl_add_u32 v7, v0, 3, 0
	v_add_u32_e32 v8, 0x200, v7
	v_or_b32_e32 v9, 0xffffff00, v0
	s_mov_b64 s[46:47], 0
	v_mov_b32_e32 v7, v6
.LBB191_8:                              ; =>This Inner Loop Header: Depth=1
	v_add_co_u32_e32 v9, vcc, 0x100, v9
	s_xor_b64 s[48:49], vcc, -1
	s_and_b64 s[48:49], exec, s[48:49]
	ds_write_b64 v8, v[6:7]
	s_or_b64 s[46:47], s[48:49], s[46:47]
	v_add_u32_e32 v8, 0x800, v8
	s_andn2_b64 exec, exec, s[46:47]
	s_cbranch_execnz .LBB191_8
.LBB191_9:
	s_or_b64 exec, exec, s[44:45]
	s_waitcnt lgkmcnt(0)
	s_cmp_lg_u64 s[42:43], 0
	s_barrier
	s_cbranch_scc0 .LBB191_11
; %bb.10:
	s_load_dword s7, s[40:41], 0x0
	s_waitcnt lgkmcnt(0)
	s_add_i32 s6, s7, s6
	s_mov_b32 s7, 0
	s_lshl_b64 s[6:7], s[6:7], 2
	s_add_u32 s6, s42, s6
	s_addc_u32 s7, s43, s7
	s_load_dword s6, s[6:7], 0x0
.LBB191_11:
	s_nop 0
	s_load_dword s33, s[4:5], 0x0
	s_andn2_b64 vcc, exec, s[34:35]
	s_waitcnt lgkmcnt(0)
	s_ashr_i32 s7, s6, 31
	s_cbranch_vccnz .LBB191_67
; %bb.12:
	s_lshl_b64 s[4:5], s[6:7], 3
	s_add_u32 s4, s16, s4
	s_addc_u32 s5, s17, s5
	s_load_dwordx4 s[44:47], s[4:5], 0x0
	v_lshrrev_b32_e32 v6, 4, v0
	v_subrev_co_u32_e32 v6, vcc, s28, v6
	v_subb_co_u32_e64 v7, s[16:17], 0, 0, vcc
	s_waitcnt lgkmcnt(0)
	s_sub_u32 s4, s46, s28
	v_mov_b32_e32 v8, s45
	v_add_co_u32_e32 v6, vcc, s44, v6
	s_subb_u32 s5, s47, 0
	v_addc_co_u32_e32 v7, vcc, v8, v7, vcc
	s_mov_b32 s40, 0
	v_cmp_gt_i64_e32 vcc, s[4:5], v[6:7]
	s_and_saveexec_b64 s[16:17], vcc
	s_cbranch_execz .LBB191_66
; %bb.13:
	v_and_b32_e32 v8, 15, v0
	v_subrev_co_u32_e32 v31, vcc, s29, v8
	s_cmp_eq_u32 s33, 0
	v_subb_co_u32_e64 v32, s[34:35], 0, 0, vcc
	s_mov_b32 s57, s29
	s_cselect_b32 s58, 1, 2
	s_cselect_b32 s59, 2, 1
	s_mov_b64 s[34:35], 0
	v_mov_b32_e32 v33, s19
	v_mov_b32_e32 v34, s23
	;; [unrolled: 1-line block ×3, first 2 shown]
	s_branch .LBB191_15
.LBB191_14:                             ;   in Loop: Header=BB191_15 Depth=1
	s_or_b64 exec, exec, s[40:41]
	v_add_co_u32_e32 v6, vcc, 16, v6
	v_addc_co_u32_e32 v7, vcc, 0, v7, vcc
	v_cmp_le_i64_e32 vcc, s[4:5], v[6:7]
	s_or_b64 s[34:35], vcc, s[34:35]
	s_andn2_b64 exec, exec, s[34:35]
	s_cbranch_execz .LBB191_66
.LBB191_15:                             ; =>This Loop Header: Depth=1
                                        ;     Child Loop BB191_18 Depth 2
                                        ;       Child Loop BB191_20 Depth 3
                                        ;       Child Loop BB191_32 Depth 3
	;; [unrolled: 1-line block ×4, first 2 shown]
	v_lshlrev_b64 v[12:13], 2, v[6:7]
	v_add_co_u32_e32 v8, vcc, s18, v12
	v_addc_co_u32_e32 v9, vcc, v33, v13, vcc
	global_load_dword v8, v[8:9], off
	s_waitcnt vmcnt(0)
	v_subrev_u32_e32 v8, s28, v8
	v_ashrrev_i32_e32 v9, 31, v8
	v_lshlrev_b64 v[8:9], 3, v[8:9]
	v_add_co_u32_e32 v8, vcc, s22, v8
	v_addc_co_u32_e32 v9, vcc, v34, v9, vcc
	global_load_dwordx4 v[14:17], v[8:9], off
	s_waitcnt vmcnt(0)
	v_subrev_co_u32_e32 v8, vcc, s57, v16
	v_subb_co_u32_e32 v9, vcc, v17, v35, vcc
	v_add_co_u32_e32 v10, vcc, v14, v31
	v_addc_co_u32_e32 v11, vcc, v15, v32, vcc
	v_cmp_lt_i64_e32 vcc, v[10:11], v[8:9]
	s_and_saveexec_b64 s[40:41], vcc
	s_cbranch_execz .LBB191_14
; %bb.16:                               ;   in Loop: Header=BB191_15 Depth=1
	v_lshlrev_b64 v[16:17], 5, v[6:7]
	v_or_b32_e32 v15, 0, v13
	v_or_b32_e32 v14, s58, v12
	;; [unrolled: 1-line block ×4, first 2 shown]
	v_mov_b32_e32 v18, s21
	v_add_co_u32_e32 v16, vcc, s20, v16
	v_addc_co_u32_e32 v17, vcc, v18, v17, vcc
	v_lshlrev_b64 v[12:13], 3, v[12:13]
	v_add_co_u32_e32 v12, vcc, s20, v12
	v_addc_co_u32_e32 v13, vcc, v18, v13, vcc
	v_lshlrev_b64 v[14:15], 3, v[14:15]
	v_add_co_u32_e32 v14, vcc, s20, v14
	v_addc_co_u32_e32 v15, vcc, v18, v15, vcc
	global_load_dwordx2 v[18:19], v[16:17], off offset:24
	global_load_dwordx2 v[20:21], v[12:13], off
	global_load_dwordx2 v[22:23], v[14:15], off
	;; [unrolled: 1-line block ×3, first 2 shown]
	s_mov_b64 s[42:43], 0
	s_waitcnt vmcnt(3)
	v_mul_f64 v[12:13], v[4:5], v[18:19]
	s_waitcnt vmcnt(2)
	v_mul_f64 v[14:15], v[4:5], v[20:21]
	;; [unrolled: 2-line block ×4, first 2 shown]
	s_branch .LBB191_18
.LBB191_17:                             ;   in Loop: Header=BB191_18 Depth=2
	s_or_b64 exec, exec, s[44:45]
	v_add_co_u32_e32 v10, vcc, 16, v10
	v_addc_co_u32_e32 v11, vcc, 0, v11, vcc
	v_cmp_ge_i64_e32 vcc, v[10:11], v[8:9]
	s_or_b64 s[42:43], vcc, s[42:43]
	s_andn2_b64 exec, exec, s[42:43]
	s_cbranch_execz .LBB191_14
.LBB191_18:                             ;   Parent Loop BB191_15 Depth=1
                                        ; =>  This Loop Header: Depth=2
                                        ;       Child Loop BB191_20 Depth 3
                                        ;       Child Loop BB191_32 Depth 3
	;; [unrolled: 1-line block ×4, first 2 shown]
	v_lshlrev_b64 v[20:21], 2, v[10:11]
	v_mov_b32_e32 v23, s37
	v_add_co_u32_e32 v22, vcc, s36, v20
	v_addc_co_u32_e32 v23, vcc, v23, v21, vcc
	v_lshlrev_b64 v[24:25], 5, v[10:11]
	global_load_dword v30, v[22:23], off
	v_or_b32_e32 v23, 0, v21
	v_or_b32_e32 v22, s58, v20
	;; [unrolled: 1-line block ×4, first 2 shown]
	v_mov_b32_e32 v36, s39
	v_add_co_u32_e32 v28, vcc, s38, v24
	v_addc_co_u32_e32 v29, vcc, v36, v25, vcc
	v_lshlrev_b64 v[20:21], 3, v[20:21]
	v_add_co_u32_e32 v20, vcc, s38, v20
	v_lshlrev_b64 v[22:23], 3, v[22:23]
	v_addc_co_u32_e32 v21, vcc, v36, v21, vcc
	global_load_dwordx2 v[24:25], v[28:29], off
	global_load_dwordx2 v[26:27], v[20:21], off
	v_add_co_u32_e32 v20, vcc, s38, v22
	v_addc_co_u32_e32 v21, vcc, v36, v23, vcc
	global_load_dwordx2 v[20:21], v[20:21], off
	s_nop 0
	global_load_dwordx2 v[22:23], v[28:29], off offset:24
	s_mov_b64 s[44:45], 0
	s_waitcnt vmcnt(4)
	v_subrev_u32_e32 v36, s29, v30
	v_lshl_add_u32 v30, v36, 3, v36
	v_and_b32_e32 v37, 0x7f, v30
	v_mov_b32_e32 v38, v37
	s_waitcnt vmcnt(2)
	v_mul_f64 v[28:29], v[16:17], v[26:27]
	v_fmac_f64_e32 v[28:29], v[18:19], v[24:25]
	s_branch .LBB191_20
.LBB191_19:                             ;   in Loop: Header=BB191_20 Depth=3
	s_or_b64 exec, exec, s[46:47]
	s_xor_b64 s[46:47], s[48:49], -1
	s_and_b64 s[46:47], exec, s[46:47]
	s_or_b64 s[44:45], s[46:47], s[44:45]
	s_andn2_b64 exec, exec, s[44:45]
	s_cbranch_execz .LBB191_30
.LBB191_20:                             ;   Parent Loop BB191_15 Depth=1
                                        ;     Parent Loop BB191_18 Depth=2
                                        ; =>    This Inner Loop Header: Depth=3
	v_lshl_add_u32 v30, v38, 2, 0
	ds_read_b32 v39, v30
                                        ; implicit-def: $sgpr48_sgpr49
	s_waitcnt lgkmcnt(0)
	v_cmp_ne_u32_e32 vcc, v39, v36
	s_and_saveexec_b64 s[46:47], vcc
	s_xor_b64 s[46:47], exec, s[46:47]
	s_cbranch_execz .LBB191_28
; %bb.21:                               ;   in Loop: Header=BB191_20 Depth=3
	v_cmp_ne_u32_e32 vcc, s56, v39
                                        ; implicit-def: $sgpr48_sgpr49
	s_and_saveexec_b64 s[50:51], vcc
	s_xor_b64 s[50:51], exec, s[50:51]
; %bb.22:                               ;   in Loop: Header=BB191_20 Depth=3
	v_add_u32_e32 v30, 1, v38
	v_and_b32_e32 v38, 0x7f, v30
	s_mov_b64 s[48:49], -1
                                        ; implicit-def: $vgpr30
; %bb.23:                               ;   in Loop: Header=BB191_20 Depth=3
	s_andn2_saveexec_b64 s[50:51], s[50:51]
	s_cbranch_execz .LBB191_27
; %bb.24:                               ;   in Loop: Header=BB191_20 Depth=3
	v_mov_b32_e32 v39, s56
	ds_cmpst_rtn_b32 v39, v30, v39, v36
	s_mov_b64 s[52:53], -1
	s_waitcnt lgkmcnt(0)
	v_cmp_eq_u32_e32 vcc, s56, v39
	s_and_saveexec_b64 s[54:55], vcc
	s_cbranch_execz .LBB191_26
; %bb.25:                               ;   in Loop: Header=BB191_20 Depth=3
	v_mad_u64_u32 v[40:41], s[52:53], v38, 28, v[30:31]
	ds_add_f64 v40, v[28:29] offset:512
	s_xor_b64 s[52:53], exec, -1
.LBB191_26:                             ;   in Loop: Header=BB191_20 Depth=3
	s_or_b64 exec, exec, s[54:55]
	s_andn2_b64 s[48:49], s[48:49], exec
	s_and_b64 s[52:53], s[52:53], exec
	s_or_b64 s[48:49], s[48:49], s[52:53]
.LBB191_27:                             ;   in Loop: Header=BB191_20 Depth=3
	s_or_b64 exec, exec, s[50:51]
	s_and_b64 s[48:49], s[48:49], exec
                                        ; implicit-def: $vgpr30
.LBB191_28:                             ;   in Loop: Header=BB191_20 Depth=3
	s_andn2_saveexec_b64 s[46:47], s[46:47]
	s_cbranch_execz .LBB191_19
; %bb.29:                               ;   in Loop: Header=BB191_20 Depth=3
	v_mad_u64_u32 v[40:41], s[50:51], v38, 28, v[30:31]
	ds_add_f64 v40, v[28:29] offset:512
	s_andn2_b64 s[48:49], s[48:49], exec
	s_branch .LBB191_19
.LBB191_30:                             ;   in Loop: Header=BB191_18 Depth=2
	s_or_b64 exec, exec, s[44:45]
	s_waitcnt vmcnt(0)
	v_mul_f64 v[28:29], v[16:17], v[22:23]
	v_fmac_f64_e32 v[28:29], v[18:19], v[20:21]
	s_mov_b64 s[44:45], 0
	v_mov_b32_e32 v38, v37
	s_branch .LBB191_32
.LBB191_31:                             ;   in Loop: Header=BB191_32 Depth=3
	s_or_b64 exec, exec, s[46:47]
	s_xor_b64 s[46:47], s[48:49], -1
	s_and_b64 s[46:47], exec, s[46:47]
	s_or_b64 s[44:45], s[46:47], s[44:45]
	s_andn2_b64 exec, exec, s[44:45]
	s_cbranch_execz .LBB191_42
.LBB191_32:                             ;   Parent Loop BB191_15 Depth=1
                                        ;     Parent Loop BB191_18 Depth=2
                                        ; =>    This Inner Loop Header: Depth=3
	v_lshl_add_u32 v30, v38, 2, 0
	ds_read_b32 v39, v30
                                        ; implicit-def: $sgpr48_sgpr49
	s_waitcnt lgkmcnt(0)
	v_cmp_ne_u32_e32 vcc, v39, v36
	s_and_saveexec_b64 s[46:47], vcc
	s_xor_b64 s[46:47], exec, s[46:47]
	s_cbranch_execz .LBB191_40
; %bb.33:                               ;   in Loop: Header=BB191_32 Depth=3
	v_cmp_ne_u32_e32 vcc, s56, v39
                                        ; implicit-def: $sgpr48_sgpr49
	s_and_saveexec_b64 s[50:51], vcc
	s_xor_b64 s[50:51], exec, s[50:51]
; %bb.34:                               ;   in Loop: Header=BB191_32 Depth=3
	v_add_u32_e32 v30, 1, v38
	v_and_b32_e32 v38, 0x7f, v30
	s_mov_b64 s[48:49], -1
                                        ; implicit-def: $vgpr30
; %bb.35:                               ;   in Loop: Header=BB191_32 Depth=3
	s_andn2_saveexec_b64 s[50:51], s[50:51]
	s_cbranch_execz .LBB191_39
; %bb.36:                               ;   in Loop: Header=BB191_32 Depth=3
	v_mov_b32_e32 v39, s56
	ds_cmpst_rtn_b32 v39, v30, v39, v36
	s_mov_b64 s[52:53], -1
	s_waitcnt lgkmcnt(0)
	v_cmp_eq_u32_e32 vcc, s56, v39
	s_and_saveexec_b64 s[54:55], vcc
	s_cbranch_execz .LBB191_38
; %bb.37:                               ;   in Loop: Header=BB191_32 Depth=3
	v_mad_u64_u32 v[40:41], s[52:53], v38, 28, v[30:31]
	ds_add_f64 v40, v[28:29] offset:520
	s_xor_b64 s[52:53], exec, -1
.LBB191_38:                             ;   in Loop: Header=BB191_32 Depth=3
	s_or_b64 exec, exec, s[54:55]
	s_andn2_b64 s[48:49], s[48:49], exec
	s_and_b64 s[52:53], s[52:53], exec
	s_or_b64 s[48:49], s[48:49], s[52:53]
.LBB191_39:                             ;   in Loop: Header=BB191_32 Depth=3
	s_or_b64 exec, exec, s[50:51]
	s_and_b64 s[48:49], s[48:49], exec
                                        ; implicit-def: $vgpr30
.LBB191_40:                             ;   in Loop: Header=BB191_32 Depth=3
	s_andn2_saveexec_b64 s[46:47], s[46:47]
	s_cbranch_execz .LBB191_31
; %bb.41:                               ;   in Loop: Header=BB191_32 Depth=3
	v_mad_u64_u32 v[40:41], s[50:51], v38, 28, v[30:31]
	ds_add_f64 v40, v[28:29] offset:520
	s_andn2_b64 s[48:49], s[48:49], exec
	s_branch .LBB191_31
.LBB191_42:                             ;   in Loop: Header=BB191_18 Depth=2
	s_or_b64 exec, exec, s[44:45]
	v_mul_f64 v[26:27], v[12:13], v[26:27]
	v_fmac_f64_e32 v[26:27], v[14:15], v[24:25]
	s_mov_b64 s[44:45], 0
	v_mov_b32_e32 v25, v37
	s_branch .LBB191_44
.LBB191_43:                             ;   in Loop: Header=BB191_44 Depth=3
	s_or_b64 exec, exec, s[46:47]
	s_xor_b64 s[46:47], s[48:49], -1
	s_and_b64 s[46:47], exec, s[46:47]
	s_or_b64 s[44:45], s[46:47], s[44:45]
	s_andn2_b64 exec, exec, s[44:45]
	s_cbranch_execz .LBB191_54
.LBB191_44:                             ;   Parent Loop BB191_15 Depth=1
                                        ;     Parent Loop BB191_18 Depth=2
                                        ; =>    This Inner Loop Header: Depth=3
	v_lshl_add_u32 v24, v25, 2, 0
	ds_read_b32 v28, v24
                                        ; implicit-def: $sgpr48_sgpr49
	s_waitcnt lgkmcnt(0)
	v_cmp_ne_u32_e32 vcc, v28, v36
	s_and_saveexec_b64 s[46:47], vcc
	s_xor_b64 s[46:47], exec, s[46:47]
	s_cbranch_execz .LBB191_52
; %bb.45:                               ;   in Loop: Header=BB191_44 Depth=3
	v_cmp_ne_u32_e32 vcc, s56, v28
                                        ; implicit-def: $sgpr48_sgpr49
	s_and_saveexec_b64 s[50:51], vcc
	s_xor_b64 s[50:51], exec, s[50:51]
; %bb.46:                               ;   in Loop: Header=BB191_44 Depth=3
	v_add_u32_e32 v24, 1, v25
	v_and_b32_e32 v25, 0x7f, v24
	s_mov_b64 s[48:49], -1
                                        ; implicit-def: $vgpr24
; %bb.47:                               ;   in Loop: Header=BB191_44 Depth=3
	s_andn2_saveexec_b64 s[50:51], s[50:51]
	s_cbranch_execz .LBB191_51
; %bb.48:                               ;   in Loop: Header=BB191_44 Depth=3
	v_mov_b32_e32 v28, s56
	ds_cmpst_rtn_b32 v28, v24, v28, v36
	s_mov_b64 s[52:53], -1
	s_waitcnt lgkmcnt(0)
	v_cmp_eq_u32_e32 vcc, s56, v28
	s_and_saveexec_b64 s[54:55], vcc
	s_cbranch_execz .LBB191_50
; %bb.49:                               ;   in Loop: Header=BB191_44 Depth=3
	v_mad_u64_u32 v[28:29], s[52:53], v25, 28, v[24:25]
	ds_add_f64 v28, v[26:27] offset:528
	s_xor_b64 s[52:53], exec, -1
.LBB191_50:                             ;   in Loop: Header=BB191_44 Depth=3
	s_or_b64 exec, exec, s[54:55]
	s_andn2_b64 s[48:49], s[48:49], exec
	s_and_b64 s[52:53], s[52:53], exec
	s_or_b64 s[48:49], s[48:49], s[52:53]
.LBB191_51:                             ;   in Loop: Header=BB191_44 Depth=3
	s_or_b64 exec, exec, s[50:51]
	s_and_b64 s[48:49], s[48:49], exec
                                        ; implicit-def: $vgpr24
.LBB191_52:                             ;   in Loop: Header=BB191_44 Depth=3
	s_andn2_saveexec_b64 s[46:47], s[46:47]
	s_cbranch_execz .LBB191_43
; %bb.53:                               ;   in Loop: Header=BB191_44 Depth=3
	v_mad_u64_u32 v[28:29], s[50:51], v25, 28, v[24:25]
	ds_add_f64 v28, v[26:27] offset:528
	s_andn2_b64 s[48:49], s[48:49], exec
	s_branch .LBB191_43
.LBB191_54:                             ;   in Loop: Header=BB191_18 Depth=2
	s_or_b64 exec, exec, s[44:45]
	v_mul_f64 v[22:23], v[12:13], v[22:23]
	v_fmac_f64_e32 v[22:23], v[14:15], v[20:21]
	s_mov_b64 s[44:45], 0
	s_branch .LBB191_56
.LBB191_55:                             ;   in Loop: Header=BB191_56 Depth=3
	s_or_b64 exec, exec, s[46:47]
	s_xor_b64 s[46:47], s[48:49], -1
	s_and_b64 s[46:47], exec, s[46:47]
	s_or_b64 s[44:45], s[46:47], s[44:45]
	s_andn2_b64 exec, exec, s[44:45]
	s_cbranch_execz .LBB191_17
.LBB191_56:                             ;   Parent Loop BB191_15 Depth=1
                                        ;     Parent Loop BB191_18 Depth=2
                                        ; =>    This Inner Loop Header: Depth=3
	v_lshl_add_u32 v20, v37, 2, 0
	ds_read_b32 v21, v20
                                        ; implicit-def: $sgpr48_sgpr49
	s_waitcnt lgkmcnt(0)
	v_cmp_ne_u32_e32 vcc, v21, v36
	s_and_saveexec_b64 s[46:47], vcc
	s_xor_b64 s[46:47], exec, s[46:47]
	s_cbranch_execz .LBB191_64
; %bb.57:                               ;   in Loop: Header=BB191_56 Depth=3
	v_cmp_ne_u32_e32 vcc, s56, v21
                                        ; implicit-def: $sgpr48_sgpr49
	s_and_saveexec_b64 s[50:51], vcc
	s_xor_b64 s[50:51], exec, s[50:51]
; %bb.58:                               ;   in Loop: Header=BB191_56 Depth=3
	v_add_u32_e32 v20, 1, v37
	v_and_b32_e32 v37, 0x7f, v20
	s_mov_b64 s[48:49], -1
                                        ; implicit-def: $vgpr20
; %bb.59:                               ;   in Loop: Header=BB191_56 Depth=3
	s_andn2_saveexec_b64 s[50:51], s[50:51]
	s_cbranch_execz .LBB191_63
; %bb.60:                               ;   in Loop: Header=BB191_56 Depth=3
	v_mov_b32_e32 v21, s56
	ds_cmpst_rtn_b32 v21, v20, v21, v36
	s_mov_b64 s[52:53], -1
	s_waitcnt lgkmcnt(0)
	v_cmp_eq_u32_e32 vcc, s56, v21
	s_and_saveexec_b64 s[54:55], vcc
	s_cbranch_execz .LBB191_62
; %bb.61:                               ;   in Loop: Header=BB191_56 Depth=3
	v_mad_u64_u32 v[20:21], s[52:53], v37, 28, v[20:21]
	ds_add_f64 v20, v[22:23] offset:536
	s_xor_b64 s[52:53], exec, -1
.LBB191_62:                             ;   in Loop: Header=BB191_56 Depth=3
	s_or_b64 exec, exec, s[54:55]
	s_andn2_b64 s[48:49], s[48:49], exec
	s_and_b64 s[52:53], s[52:53], exec
	s_or_b64 s[48:49], s[48:49], s[52:53]
.LBB191_63:                             ;   in Loop: Header=BB191_56 Depth=3
	s_or_b64 exec, exec, s[50:51]
	s_and_b64 s[48:49], s[48:49], exec
                                        ; implicit-def: $vgpr20
.LBB191_64:                             ;   in Loop: Header=BB191_56 Depth=3
	s_andn2_saveexec_b64 s[46:47], s[46:47]
	s_cbranch_execz .LBB191_55
; %bb.65:                               ;   in Loop: Header=BB191_56 Depth=3
	v_mad_u64_u32 v[20:21], s[50:51], v37, 28, v[20:21]
	ds_add_f64 v20, v[22:23] offset:536
	s_andn2_b64 s[48:49], s[48:49], exec
	s_branch .LBB191_55
.LBB191_66:
	s_or_b64 exec, exec, s[16:17]
.LBB191_67:
	s_andn2_b64 vcc, exec, s[2:3]
	s_waitcnt lgkmcnt(0)
	s_barrier
	s_cbranch_vccnz .LBB191_120
; %bb.68:
	s_lshl_b64 s[2:3], s[6:7], 3
	s_add_u32 s2, s8, s2
	s_addc_u32 s3, s9, s3
	s_load_dwordx4 s[16:19], s[2:3], 0x0
	s_waitcnt vmcnt(0)
	v_subrev_co_u32_e32 v4, vcc, s31, v0
	v_subb_co_u32_e64 v5, s[2:3], 0, 0, vcc
	s_waitcnt lgkmcnt(0)
	s_sub_u32 s2, s18, s31
	v_mov_b32_e32 v6, s17
	v_add_co_u32_e32 v4, vcc, s16, v4
	s_subb_u32 s3, s19, 0
	v_addc_co_u32_e32 v5, vcc, v6, v5, vcc
	v_cmp_gt_i64_e32 vcc, s[2:3], v[4:5]
	s_and_saveexec_b64 s[4:5], vcc
	s_cbranch_execz .LBB191_119
; %bb.69:
	s_cmp_eq_u32 s33, 0
	s_cselect_b32 s36, 1, 2
	s_cselect_b32 s37, 2, 1
	s_mov_b64 s[8:9], 0
	v_mov_b32_e32 v15, s13
	v_mov_b32_e32 v16, s11
	s_branch .LBB191_71
.LBB191_70:                             ;   in Loop: Header=BB191_71 Depth=1
	s_or_b64 exec, exec, s[16:17]
	v_add_co_u32_e32 v4, vcc, 0x100, v4
	v_addc_co_u32_e32 v5, vcc, 0, v5, vcc
	v_cmp_le_i64_e32 vcc, s[2:3], v[4:5]
	s_or_b64 s[8:9], vcc, s[8:9]
	s_andn2_b64 exec, exec, s[8:9]
	s_cbranch_execz .LBB191_119
.LBB191_71:                             ; =>This Loop Header: Depth=1
                                        ;     Child Loop BB191_73 Depth 2
                                        ;     Child Loop BB191_85 Depth 2
	;; [unrolled: 1-line block ×4, first 2 shown]
	v_lshlrev_b64 v[6:7], 2, v[4:5]
	v_lshlrev_b64 v[12:13], 5, v[4:5]
	v_or_b32_e32 v9, 0, v7
	v_or_b32_e32 v8, s36, v6
	v_add_co_u32_e32 v12, vcc, s12, v12
	v_addc_co_u32_e32 v13, vcc, v15, v13, vcc
	v_lshlrev_b64 v[8:9], 3, v[8:9]
	v_add_co_u32_e32 v20, vcc, s12, v8
	v_addc_co_u32_e32 v21, vcc, v15, v9, vcc
	v_or_b32_e32 v10, s37, v6
	v_add_co_u32_e32 v6, vcc, s10, v6
	v_or_b32_e32 v11, 0, v7
	v_addc_co_u32_e32 v7, vcc, v16, v7, vcc
	v_lshlrev_b64 v[8:9], 3, v[10:11]
	global_load_dword v14, v[6:7], off
	v_add_co_u32_e32 v22, vcc, s12, v8
	global_load_dwordx2 v[18:19], v[12:13], off
	v_addc_co_u32_e32 v23, vcc, v15, v9, vcc
	global_load_dwordx2 v[8:9], v[22:23], off
	global_load_dwordx2 v[10:11], v[20:21], off
	global_load_dwordx2 v[6:7], v[12:13], off offset:24
	s_mov_b64 s[16:17], 0
	s_waitcnt vmcnt(4)
	v_subrev_u32_e32 v17, s31, v14
	v_lshl_add_u32 v14, v17, 3, v17
	s_waitcnt vmcnt(3)
	v_mul_f64 v[12:13], v[2:3], v[18:19]
	v_and_b32_e32 v18, 0x7f, v14
	v_mov_b32_e32 v19, v18
	s_branch .LBB191_73
.LBB191_72:                             ;   in Loop: Header=BB191_73 Depth=2
	s_or_b64 exec, exec, s[18:19]
	s_xor_b64 s[18:19], s[20:21], -1
	s_and_b64 s[18:19], exec, s[18:19]
	s_or_b64 s[16:17], s[18:19], s[16:17]
	s_andn2_b64 exec, exec, s[16:17]
	s_cbranch_execz .LBB191_83
.LBB191_73:                             ;   Parent Loop BB191_71 Depth=1
                                        ; =>  This Inner Loop Header: Depth=2
	v_lshl_add_u32 v14, v19, 2, 0
	ds_read_b32 v20, v14
                                        ; implicit-def: $sgpr20_sgpr21
	s_waitcnt lgkmcnt(0)
	v_cmp_ne_u32_e32 vcc, v20, v17
	s_and_saveexec_b64 s[18:19], vcc
	s_xor_b64 s[18:19], exec, s[18:19]
	s_cbranch_execz .LBB191_81
; %bb.74:                               ;   in Loop: Header=BB191_73 Depth=2
	v_cmp_ne_u32_e32 vcc, s56, v20
                                        ; implicit-def: $sgpr20_sgpr21
	s_and_saveexec_b64 s[22:23], vcc
	s_xor_b64 s[22:23], exec, s[22:23]
; %bb.75:                               ;   in Loop: Header=BB191_73 Depth=2
	v_add_u32_e32 v14, 1, v19
	v_and_b32_e32 v19, 0x7f, v14
	s_mov_b64 s[20:21], -1
                                        ; implicit-def: $vgpr14
; %bb.76:                               ;   in Loop: Header=BB191_73 Depth=2
	s_andn2_saveexec_b64 s[22:23], s[22:23]
	s_cbranch_execz .LBB191_80
; %bb.77:                               ;   in Loop: Header=BB191_73 Depth=2
	v_mov_b32_e32 v20, s56
	ds_cmpst_rtn_b32 v20, v14, v20, v17
	s_mov_b64 s[28:29], -1
	s_waitcnt lgkmcnt(0)
	v_cmp_eq_u32_e32 vcc, s56, v20
	s_and_saveexec_b64 s[34:35], vcc
	s_cbranch_execz .LBB191_79
; %bb.78:                               ;   in Loop: Header=BB191_73 Depth=2
	v_mad_u64_u32 v[20:21], s[28:29], v19, 28, v[14:15]
	ds_add_f64 v20, v[12:13] offset:512
	s_xor_b64 s[28:29], exec, -1
.LBB191_79:                             ;   in Loop: Header=BB191_73 Depth=2
	s_or_b64 exec, exec, s[34:35]
	s_andn2_b64 s[20:21], s[20:21], exec
	s_and_b64 s[28:29], s[28:29], exec
	s_or_b64 s[20:21], s[20:21], s[28:29]
.LBB191_80:                             ;   in Loop: Header=BB191_73 Depth=2
	s_or_b64 exec, exec, s[22:23]
	s_and_b64 s[20:21], s[20:21], exec
                                        ; implicit-def: $vgpr14
.LBB191_81:                             ;   in Loop: Header=BB191_73 Depth=2
	s_andn2_saveexec_b64 s[18:19], s[18:19]
	s_cbranch_execz .LBB191_72
; %bb.82:                               ;   in Loop: Header=BB191_73 Depth=2
	v_mad_u64_u32 v[20:21], s[22:23], v19, 28, v[14:15]
	ds_add_f64 v20, v[12:13] offset:512
	s_andn2_b64 s[20:21], s[20:21], exec
	s_branch .LBB191_72
.LBB191_83:                             ;   in Loop: Header=BB191_71 Depth=1
	s_or_b64 exec, exec, s[16:17]
	s_waitcnt vmcnt(1)
	v_mul_f64 v[10:11], v[2:3], v[10:11]
	s_mov_b64 s[16:17], 0
	v_mov_b32_e32 v13, v18
	s_branch .LBB191_85
.LBB191_84:                             ;   in Loop: Header=BB191_85 Depth=2
	s_or_b64 exec, exec, s[18:19]
	s_xor_b64 s[18:19], s[20:21], -1
	s_and_b64 s[18:19], exec, s[18:19]
	s_or_b64 s[16:17], s[18:19], s[16:17]
	s_andn2_b64 exec, exec, s[16:17]
	s_cbranch_execz .LBB191_95
.LBB191_85:                             ;   Parent Loop BB191_71 Depth=1
                                        ; =>  This Inner Loop Header: Depth=2
	v_lshl_add_u32 v12, v13, 2, 0
	ds_read_b32 v14, v12
                                        ; implicit-def: $sgpr20_sgpr21
	s_waitcnt lgkmcnt(0)
	v_cmp_ne_u32_e32 vcc, v14, v17
	s_and_saveexec_b64 s[18:19], vcc
	s_xor_b64 s[18:19], exec, s[18:19]
	s_cbranch_execz .LBB191_93
; %bb.86:                               ;   in Loop: Header=BB191_85 Depth=2
	v_cmp_ne_u32_e32 vcc, s56, v14
                                        ; implicit-def: $sgpr20_sgpr21
	s_and_saveexec_b64 s[22:23], vcc
	s_xor_b64 s[22:23], exec, s[22:23]
; %bb.87:                               ;   in Loop: Header=BB191_85 Depth=2
	v_add_u32_e32 v12, 1, v13
	v_and_b32_e32 v13, 0x7f, v12
	s_mov_b64 s[20:21], -1
                                        ; implicit-def: $vgpr12
; %bb.88:                               ;   in Loop: Header=BB191_85 Depth=2
	s_andn2_saveexec_b64 s[22:23], s[22:23]
	s_cbranch_execz .LBB191_92
; %bb.89:                               ;   in Loop: Header=BB191_85 Depth=2
	v_mov_b32_e32 v14, s56
	ds_cmpst_rtn_b32 v14, v12, v14, v17
	s_mov_b64 s[28:29], -1
	s_waitcnt lgkmcnt(0)
	v_cmp_eq_u32_e32 vcc, s56, v14
	s_and_saveexec_b64 s[34:35], vcc
	s_cbranch_execz .LBB191_91
; %bb.90:                               ;   in Loop: Header=BB191_85 Depth=2
	v_mad_u64_u32 v[20:21], s[28:29], v13, 28, v[12:13]
	ds_add_f64 v20, v[10:11] offset:520
	s_xor_b64 s[28:29], exec, -1
.LBB191_91:                             ;   in Loop: Header=BB191_85 Depth=2
	s_or_b64 exec, exec, s[34:35]
	s_andn2_b64 s[20:21], s[20:21], exec
	s_and_b64 s[28:29], s[28:29], exec
	s_or_b64 s[20:21], s[20:21], s[28:29]
.LBB191_92:                             ;   in Loop: Header=BB191_85 Depth=2
	s_or_b64 exec, exec, s[22:23]
	s_and_b64 s[20:21], s[20:21], exec
                                        ; implicit-def: $vgpr12
.LBB191_93:                             ;   in Loop: Header=BB191_85 Depth=2
	s_andn2_saveexec_b64 s[18:19], s[18:19]
	s_cbranch_execz .LBB191_84
; %bb.94:                               ;   in Loop: Header=BB191_85 Depth=2
	v_mad_u64_u32 v[20:21], s[22:23], v13, 28, v[12:13]
	ds_add_f64 v20, v[10:11] offset:520
	s_andn2_b64 s[20:21], s[20:21], exec
	s_branch .LBB191_84
.LBB191_95:                             ;   in Loop: Header=BB191_71 Depth=1
	s_or_b64 exec, exec, s[16:17]
	v_mul_f64 v[8:9], v[2:3], v[8:9]
	s_mov_b64 s[16:17], 0
	v_mov_b32_e32 v11, v18
	s_branch .LBB191_97
.LBB191_96:                             ;   in Loop: Header=BB191_97 Depth=2
	s_or_b64 exec, exec, s[18:19]
	s_xor_b64 s[18:19], s[20:21], -1
	s_and_b64 s[18:19], exec, s[18:19]
	s_or_b64 s[16:17], s[18:19], s[16:17]
	s_andn2_b64 exec, exec, s[16:17]
	s_cbranch_execz .LBB191_107
.LBB191_97:                             ;   Parent Loop BB191_71 Depth=1
                                        ; =>  This Inner Loop Header: Depth=2
	v_lshl_add_u32 v10, v11, 2, 0
	ds_read_b32 v12, v10
                                        ; implicit-def: $sgpr20_sgpr21
	s_waitcnt lgkmcnt(0)
	v_cmp_ne_u32_e32 vcc, v12, v17
	s_and_saveexec_b64 s[18:19], vcc
	s_xor_b64 s[18:19], exec, s[18:19]
	s_cbranch_execz .LBB191_105
; %bb.98:                               ;   in Loop: Header=BB191_97 Depth=2
	v_cmp_ne_u32_e32 vcc, s56, v12
                                        ; implicit-def: $sgpr20_sgpr21
	s_and_saveexec_b64 s[22:23], vcc
	s_xor_b64 s[22:23], exec, s[22:23]
; %bb.99:                               ;   in Loop: Header=BB191_97 Depth=2
	v_add_u32_e32 v10, 1, v11
	v_and_b32_e32 v11, 0x7f, v10
	s_mov_b64 s[20:21], -1
                                        ; implicit-def: $vgpr10
; %bb.100:                              ;   in Loop: Header=BB191_97 Depth=2
	s_andn2_saveexec_b64 s[22:23], s[22:23]
	s_cbranch_execz .LBB191_104
; %bb.101:                              ;   in Loop: Header=BB191_97 Depth=2
	v_mov_b32_e32 v12, s56
	ds_cmpst_rtn_b32 v12, v10, v12, v17
	s_mov_b64 s[28:29], -1
	s_waitcnt lgkmcnt(0)
	v_cmp_eq_u32_e32 vcc, s56, v12
	s_and_saveexec_b64 s[34:35], vcc
	s_cbranch_execz .LBB191_103
; %bb.102:                              ;   in Loop: Header=BB191_97 Depth=2
	v_mad_u64_u32 v[12:13], s[28:29], v11, 28, v[10:11]
	ds_add_f64 v12, v[8:9] offset:528
	s_xor_b64 s[28:29], exec, -1
.LBB191_103:                            ;   in Loop: Header=BB191_97 Depth=2
	s_or_b64 exec, exec, s[34:35]
	s_andn2_b64 s[20:21], s[20:21], exec
	s_and_b64 s[28:29], s[28:29], exec
	s_or_b64 s[20:21], s[20:21], s[28:29]
.LBB191_104:                            ;   in Loop: Header=BB191_97 Depth=2
	s_or_b64 exec, exec, s[22:23]
	s_and_b64 s[20:21], s[20:21], exec
                                        ; implicit-def: $vgpr10
.LBB191_105:                            ;   in Loop: Header=BB191_97 Depth=2
	s_andn2_saveexec_b64 s[18:19], s[18:19]
	s_cbranch_execz .LBB191_96
; %bb.106:                              ;   in Loop: Header=BB191_97 Depth=2
	v_mad_u64_u32 v[12:13], s[22:23], v11, 28, v[10:11]
	ds_add_f64 v12, v[8:9] offset:528
	s_andn2_b64 s[20:21], s[20:21], exec
	s_branch .LBB191_96
.LBB191_107:                            ;   in Loop: Header=BB191_71 Depth=1
	s_or_b64 exec, exec, s[16:17]
	s_waitcnt vmcnt(0)
	v_mul_f64 v[6:7], v[2:3], v[6:7]
	s_mov_b64 s[16:17], 0
	s_branch .LBB191_109
.LBB191_108:                            ;   in Loop: Header=BB191_109 Depth=2
	s_or_b64 exec, exec, s[18:19]
	s_xor_b64 s[18:19], s[20:21], -1
	s_and_b64 s[18:19], exec, s[18:19]
	s_or_b64 s[16:17], s[18:19], s[16:17]
	s_andn2_b64 exec, exec, s[16:17]
	s_cbranch_execz .LBB191_70
.LBB191_109:                            ;   Parent Loop BB191_71 Depth=1
                                        ; =>  This Inner Loop Header: Depth=2
	v_lshl_add_u32 v8, v18, 2, 0
	ds_read_b32 v9, v8
                                        ; implicit-def: $sgpr20_sgpr21
	s_waitcnt lgkmcnt(0)
	v_cmp_ne_u32_e32 vcc, v9, v17
	s_and_saveexec_b64 s[18:19], vcc
	s_xor_b64 s[18:19], exec, s[18:19]
	s_cbranch_execz .LBB191_117
; %bb.110:                              ;   in Loop: Header=BB191_109 Depth=2
	v_cmp_ne_u32_e32 vcc, s56, v9
                                        ; implicit-def: $sgpr20_sgpr21
	s_and_saveexec_b64 s[22:23], vcc
	s_xor_b64 s[22:23], exec, s[22:23]
; %bb.111:                              ;   in Loop: Header=BB191_109 Depth=2
	v_add_u32_e32 v8, 1, v18
	v_and_b32_e32 v18, 0x7f, v8
	s_mov_b64 s[20:21], -1
                                        ; implicit-def: $vgpr8
; %bb.112:                              ;   in Loop: Header=BB191_109 Depth=2
	s_andn2_saveexec_b64 s[22:23], s[22:23]
	s_cbranch_execz .LBB191_116
; %bb.113:                              ;   in Loop: Header=BB191_109 Depth=2
	v_mov_b32_e32 v9, s56
	ds_cmpst_rtn_b32 v9, v8, v9, v17
	s_mov_b64 s[28:29], -1
	s_waitcnt lgkmcnt(0)
	v_cmp_eq_u32_e32 vcc, s56, v9
	s_and_saveexec_b64 s[34:35], vcc
	s_cbranch_execz .LBB191_115
; %bb.114:                              ;   in Loop: Header=BB191_109 Depth=2
	v_mad_u64_u32 v[8:9], s[28:29], v18, 28, v[8:9]
	ds_add_f64 v8, v[6:7] offset:536
	s_xor_b64 s[28:29], exec, -1
.LBB191_115:                            ;   in Loop: Header=BB191_109 Depth=2
	s_or_b64 exec, exec, s[34:35]
	s_andn2_b64 s[20:21], s[20:21], exec
	s_and_b64 s[28:29], s[28:29], exec
	s_or_b64 s[20:21], s[20:21], s[28:29]
.LBB191_116:                            ;   in Loop: Header=BB191_109 Depth=2
	s_or_b64 exec, exec, s[22:23]
	s_and_b64 s[20:21], s[20:21], exec
                                        ; implicit-def: $vgpr8
.LBB191_117:                            ;   in Loop: Header=BB191_109 Depth=2
	s_andn2_saveexec_b64 s[18:19], s[18:19]
	s_cbranch_execz .LBB191_108
; %bb.118:                              ;   in Loop: Header=BB191_109 Depth=2
	v_mad_u64_u32 v[8:9], s[22:23], v18, 28, v[8:9]
	ds_add_f64 v8, v[6:7] offset:536
	s_andn2_b64 s[20:21], s[20:21], exec
	s_branch .LBB191_108
.LBB191_119:
	s_or_b64 exec, exec, s[4:5]
.LBB191_120:
	s_waitcnt lgkmcnt(0)
	s_barrier
	s_and_saveexec_b64 s[2:3], s[0:1]
	s_cbranch_execz .LBB191_125
; %bb.121:
	ds_read_b32 v1, v1
	s_mov_b32 s0, 0
	s_waitcnt lgkmcnt(0)
	v_cmp_gt_i32_e32 vcc, s56, v1
	s_and_b64 exec, exec, vcc
	s_cbranch_execz .LBB191_125
; %bb.122:
	s_lshl_b64 s[2:3], s[6:7], 3
	s_add_u32 s2, s14, s2
	s_addc_u32 s3, s15, s3
	s_load_dwordx2 s[2:3], s[2:3], 0x0
	s_waitcnt lgkmcnt(0)
	s_sub_u32 s2, s2, s30
	s_subb_u32 s3, s3, 0
	s_waitcnt vmcnt(0)
	v_pk_mov_b32 v[2:3], s[2:3], s[2:3] op_sel:[0,1]
.LBB191_123:                            ; =>This Inner Loop Header: Depth=1
	s_add_i32 s1, s0, 0
	v_mov_b32_e32 v18, s1
	ds_read2_b32 v[4:5], v18 offset1:1
	ds_read2_b32 v[6:7], v18 offset0:2 offset1:3
	ds_read2_b32 v[8:9], v18 offset0:4 offset1:5
	;; [unrolled: 1-line block ×7, first 2 shown]
	s_waitcnt lgkmcnt(7)
	v_cmp_gt_i32_e32 vcc, v1, v4
	v_cndmask_b32_e64 v4, 0, 1, vcc
	v_cmp_gt_i32_e32 vcc, v1, v5
	v_cndmask_b32_e64 v5, 0, 1, vcc
	s_waitcnt lgkmcnt(6)
	v_cmp_gt_i32_e32 vcc, v1, v6
	v_cndmask_b32_e64 v6, 0, 1, vcc
	v_cmp_gt_i32_e32 vcc, v1, v7
	v_cndmask_b32_e64 v7, 0, 1, vcc
	;; [unrolled: 5-line block ×8, first 2 shown]
	v_add_co_u32_e32 v2, vcc, v2, v4
	v_addc_co_u32_e32 v3, vcc, 0, v3, vcc
	v_add_co_u32_e32 v2, vcc, v2, v5
	v_addc_co_u32_e32 v3, vcc, 0, v3, vcc
	;; [unrolled: 2-line block ×15, first 2 shown]
	s_add_i32 s0, s0, 64
	v_add_co_u32_e32 v2, vcc, v2, v19
	s_cmpk_lg_i32 s0, 0x200
	v_addc_co_u32_e32 v3, vcc, 0, v3, vcc
	s_cbranch_scc1 .LBB191_123
; %bb.124:
	v_lshlrev_b64 v[4:5], 2, v[2:3]
	v_mov_b32_e32 v6, s25
	v_add_co_u32_e32 v4, vcc, s24, v4
	s_add_i32 s0, 0, 0x200
	v_add_u32_e32 v1, s30, v1
	v_addc_co_u32_e32 v5, vcc, v6, v5, vcc
	s_cmp_eq_u32 s33, 0
	global_store_dword v[4:5], v1, off
	v_lshlrev_b32_e32 v5, 5, v0
	v_lshlrev_b32_e32 v4, 2, v0
	v_add_u32_e32 v6, s0, v5
	s_cselect_b32 s0, 1, 2
	s_cselect_b32 s1, 2, 1
	v_lshlrev_b64 v[8:9], 5, v[2:3]
	v_or_b32_e32 v2, s0, v4
	v_or_b32_e32 v3, s1, v4
	v_add_u32_e32 v0, 0, v5
	v_lshl_add_u32 v2, v2, 3, 0
	v_lshl_add_u32 v3, v3, 3, 0
	ds_read_b64 v[0:1], v0 offset:512
	ds_read_b64 v[4:5], v3 offset:512
	;; [unrolled: 1-line block ×4, first 2 shown]
	v_mov_b32_e32 v10, s27
	v_add_co_u32_e32 v8, vcc, s26, v8
	v_addc_co_u32_e32 v9, vcc, v10, v9, vcc
	s_waitcnt lgkmcnt(1)
	global_store_dwordx4 v[8:9], v[0:3], off
	s_waitcnt lgkmcnt(0)
	global_store_dwordx4 v[8:9], v[4:7], off offset:16
.LBB191_125:
	s_endpgm
	.section	.rodata,"a",@progbits
	.p2align	6, 0x0
	.amdhsa_kernel _ZN9rocsparseL30bsrgemm_fill_block_per_row_2x2ILj256ELj16ELj128ELj137ElidEEv20rocsparse_direction_T4_S2_PKS2_S4_NS_24const_host_device_scalarIT5_EEPKT3_S4_PKS6_SA_S4_SC_S7_SA_S4_SC_SA_PS2_PS6_21rocsparse_index_base_SF_SF_SF_bbb
		.amdhsa_group_segment_fixed_size 0
		.amdhsa_private_segment_fixed_size 0
		.amdhsa_kernarg_size 164
		.amdhsa_user_sgpr_count 6
		.amdhsa_user_sgpr_private_segment_buffer 1
		.amdhsa_user_sgpr_dispatch_ptr 0
		.amdhsa_user_sgpr_queue_ptr 0
		.amdhsa_user_sgpr_kernarg_segment_ptr 1
		.amdhsa_user_sgpr_dispatch_id 0
		.amdhsa_user_sgpr_flat_scratch_init 0
		.amdhsa_user_sgpr_kernarg_preload_length 0
		.amdhsa_user_sgpr_kernarg_preload_offset 0
		.amdhsa_user_sgpr_private_segment_size 0
		.amdhsa_uses_dynamic_stack 0
		.amdhsa_system_sgpr_private_segment_wavefront_offset 0
		.amdhsa_system_sgpr_workgroup_id_x 1
		.amdhsa_system_sgpr_workgroup_id_y 0
		.amdhsa_system_sgpr_workgroup_id_z 0
		.amdhsa_system_sgpr_workgroup_info 0
		.amdhsa_system_vgpr_workitem_id 0
		.amdhsa_next_free_vgpr 42
		.amdhsa_next_free_sgpr 60
		.amdhsa_accum_offset 44
		.amdhsa_reserve_vcc 1
		.amdhsa_reserve_flat_scratch 0
		.amdhsa_float_round_mode_32 0
		.amdhsa_float_round_mode_16_64 0
		.amdhsa_float_denorm_mode_32 3
		.amdhsa_float_denorm_mode_16_64 3
		.amdhsa_dx10_clamp 1
		.amdhsa_ieee_mode 1
		.amdhsa_fp16_overflow 0
		.amdhsa_tg_split 0
		.amdhsa_exception_fp_ieee_invalid_op 0
		.amdhsa_exception_fp_denorm_src 0
		.amdhsa_exception_fp_ieee_div_zero 0
		.amdhsa_exception_fp_ieee_overflow 0
		.amdhsa_exception_fp_ieee_underflow 0
		.amdhsa_exception_fp_ieee_inexact 0
		.amdhsa_exception_int_div_zero 0
	.end_amdhsa_kernel
	.section	.text._ZN9rocsparseL30bsrgemm_fill_block_per_row_2x2ILj256ELj16ELj128ELj137ElidEEv20rocsparse_direction_T4_S2_PKS2_S4_NS_24const_host_device_scalarIT5_EEPKT3_S4_PKS6_SA_S4_SC_S7_SA_S4_SC_SA_PS2_PS6_21rocsparse_index_base_SF_SF_SF_bbb,"axG",@progbits,_ZN9rocsparseL30bsrgemm_fill_block_per_row_2x2ILj256ELj16ELj128ELj137ElidEEv20rocsparse_direction_T4_S2_PKS2_S4_NS_24const_host_device_scalarIT5_EEPKT3_S4_PKS6_SA_S4_SC_S7_SA_S4_SC_SA_PS2_PS6_21rocsparse_index_base_SF_SF_SF_bbb,comdat
.Lfunc_end191:
	.size	_ZN9rocsparseL30bsrgemm_fill_block_per_row_2x2ILj256ELj16ELj128ELj137ElidEEv20rocsparse_direction_T4_S2_PKS2_S4_NS_24const_host_device_scalarIT5_EEPKT3_S4_PKS6_SA_S4_SC_S7_SA_S4_SC_SA_PS2_PS6_21rocsparse_index_base_SF_SF_SF_bbb, .Lfunc_end191-_ZN9rocsparseL30bsrgemm_fill_block_per_row_2x2ILj256ELj16ELj128ELj137ElidEEv20rocsparse_direction_T4_S2_PKS2_S4_NS_24const_host_device_scalarIT5_EEPKT3_S4_PKS6_SA_S4_SC_S7_SA_S4_SC_SA_PS2_PS6_21rocsparse_index_base_SF_SF_SF_bbb
                                        ; -- End function
	.section	.AMDGPU.csdata,"",@progbits
; Kernel info:
; codeLenInByte = 3876
; NumSgprs: 64
; NumVgprs: 42
; NumAgprs: 0
; TotalNumVgprs: 42
; ScratchSize: 0
; MemoryBound: 0
; FloatMode: 240
; IeeeMode: 1
; LDSByteSize: 0 bytes/workgroup (compile time only)
; SGPRBlocks: 7
; VGPRBlocks: 5
; NumSGPRsForWavesPerEU: 64
; NumVGPRsForWavesPerEU: 42
; AccumOffset: 44
; Occupancy: 8
; WaveLimiterHint : 1
; COMPUTE_PGM_RSRC2:SCRATCH_EN: 0
; COMPUTE_PGM_RSRC2:USER_SGPR: 6
; COMPUTE_PGM_RSRC2:TRAP_HANDLER: 0
; COMPUTE_PGM_RSRC2:TGID_X_EN: 1
; COMPUTE_PGM_RSRC2:TGID_Y_EN: 0
; COMPUTE_PGM_RSRC2:TGID_Z_EN: 0
; COMPUTE_PGM_RSRC2:TIDIG_COMP_CNT: 0
; COMPUTE_PGM_RSRC3_GFX90A:ACCUM_OFFSET: 10
; COMPUTE_PGM_RSRC3_GFX90A:TG_SPLIT: 0
	.section	.text._ZN9rocsparseL30bsrgemm_fill_block_per_row_2x2ILj256ELj16ELj256ELj137ElidEEv20rocsparse_direction_T4_S2_PKS2_S4_NS_24const_host_device_scalarIT5_EEPKT3_S4_PKS6_SA_S4_SC_S7_SA_S4_SC_SA_PS2_PS6_21rocsparse_index_base_SF_SF_SF_bbb,"axG",@progbits,_ZN9rocsparseL30bsrgemm_fill_block_per_row_2x2ILj256ELj16ELj256ELj137ElidEEv20rocsparse_direction_T4_S2_PKS2_S4_NS_24const_host_device_scalarIT5_EEPKT3_S4_PKS6_SA_S4_SC_S7_SA_S4_SC_SA_PS2_PS6_21rocsparse_index_base_SF_SF_SF_bbb,comdat
	.globl	_ZN9rocsparseL30bsrgemm_fill_block_per_row_2x2ILj256ELj16ELj256ELj137ElidEEv20rocsparse_direction_T4_S2_PKS2_S4_NS_24const_host_device_scalarIT5_EEPKT3_S4_PKS6_SA_S4_SC_S7_SA_S4_SC_SA_PS2_PS6_21rocsparse_index_base_SF_SF_SF_bbb ; -- Begin function _ZN9rocsparseL30bsrgemm_fill_block_per_row_2x2ILj256ELj16ELj256ELj137ElidEEv20rocsparse_direction_T4_S2_PKS2_S4_NS_24const_host_device_scalarIT5_EEPKT3_S4_PKS6_SA_S4_SC_S7_SA_S4_SC_SA_PS2_PS6_21rocsparse_index_base_SF_SF_SF_bbb
	.p2align	8
	.type	_ZN9rocsparseL30bsrgemm_fill_block_per_row_2x2ILj256ELj16ELj256ELj137ElidEEv20rocsparse_direction_T4_S2_PKS2_S4_NS_24const_host_device_scalarIT5_EEPKT3_S4_PKS6_SA_S4_SC_S7_SA_S4_SC_SA_PS2_PS6_21rocsparse_index_base_SF_SF_SF_bbb,@function
_ZN9rocsparseL30bsrgemm_fill_block_per_row_2x2ILj256ELj16ELj256ELj137ElidEEv20rocsparse_direction_T4_S2_PKS2_S4_NS_24const_host_device_scalarIT5_EEPKT3_S4_PKS6_SA_S4_SC_S7_SA_S4_SC_SA_PS2_PS6_21rocsparse_index_base_SF_SF_SF_bbb: ; @_ZN9rocsparseL30bsrgemm_fill_block_per_row_2x2ILj256ELj16ELj256ELj137ElidEEv20rocsparse_direction_T4_S2_PKS2_S4_NS_24const_host_device_scalarIT5_EEPKT3_S4_PKS6_SA_S4_SC_S7_SA_S4_SC_SA_PS2_PS6_21rocsparse_index_base_SF_SF_SF_bbb
; %bb.0:
	s_load_dword s7, s[4:5], 0xa0
	s_load_dwordx2 s[2:3], s[4:5], 0x20
	s_load_dwordx2 s[0:1], s[4:5], 0x58
	s_waitcnt lgkmcnt(0)
	s_and_b32 s10, 1, s7
	s_bitcmp1_b32 s7, 16
	s_cselect_b64 s[8:9], -1, 0
	s_cmp_eq_u32 s10, 1
	s_cselect_b64 s[34:35], -1, 0
	s_and_b64 s[10:11], s[34:35], exec
	s_cselect_b32 s11, s3, 0
	s_cselect_b32 s10, s2, 0
	s_xor_b64 s[12:13], s[34:35], -1
	s_or_b64 s[12:13], s[12:13], s[8:9]
	s_and_b64 vcc, exec, s[12:13]
	v_pk_mov_b32 v[4:5], s[10:11], s[10:11] op_sel:[0,1]
	s_cbranch_vccnz .LBB192_2
; %bb.1:
	v_pk_mov_b32 v[2:3], s[2:3], s[2:3] op_sel:[0,1]
	flat_load_dwordx2 v[4:5], v[2:3]
.LBB192_2:
	s_bitcmp1_b32 s7, 8
	s_load_dwordx4 s[28:31], s[4:5], 0x90
	s_cselect_b64 s[2:3], -1, 0
	s_and_b64 s[10:11], s[2:3], exec
	s_cselect_b32 s11, s1, 0
	s_cselect_b32 s10, s0, 0
	s_xor_b64 s[12:13], s[2:3], -1
	s_or_b64 s[8:9], s[12:13], s[8:9]
	s_and_b64 vcc, exec, s[8:9]
	v_pk_mov_b32 v[2:3], s[10:11], s[10:11] op_sel:[0,1]
	s_cbranch_vccnz .LBB192_4
; %bb.3:
	v_pk_mov_b32 v[2:3], s[0:1], s[0:1] op_sel:[0,1]
	flat_load_dwordx2 v[2:3], v[2:3]
.LBB192_4:
	s_load_dwordx4 s[24:27], s[4:5], 0x80
	s_load_dwordx8 s[8:15], s[4:5], 0x60
	s_load_dwordx4 s[36:39], s[4:5], 0x48
	s_load_dwordx8 s[16:23], s[4:5], 0x28
	s_load_dwordx4 s[40:43], s[4:5], 0x10
	s_load_dword s56, s[4:5], 0x8
	s_movk_i32 s0, 0x100
	v_cmp_gt_u32_e64 s[0:1], s0, v0
	v_lshl_add_u32 v1, v0, 2, 0
	s_and_saveexec_b64 s[44:45], s[0:1]
	s_cbranch_execz .LBB192_6
; %bb.5:
	s_waitcnt lgkmcnt(0)
	v_mov_b32_e32 v6, s56
	ds_write_b32 v1, v6
.LBB192_6:
	s_or_b64 exec, exec, s[44:45]
	v_mov_b32_e32 v6, 0
	v_lshl_add_u32 v7, v0, 3, 0
	v_add_u32_e32 v8, 0x400, v7
	v_or_b32_e32 v9, 0xffffff00, v0
	s_mov_b64 s[44:45], 0
	v_mov_b32_e32 v7, v6
	s_movk_i32 s7, 0x2ff
.LBB192_7:                              ; =>This Inner Loop Header: Depth=1
	v_add_u32_e32 v9, 0x100, v9
	v_cmp_lt_u32_e32 vcc, s7, v9
	ds_write_b64 v8, v[6:7]
	s_or_b64 s[44:45], vcc, s[44:45]
	v_add_u32_e32 v8, 0x800, v8
	s_andn2_b64 exec, exec, s[44:45]
	s_cbranch_execnz .LBB192_7
; %bb.8:
	s_or_b64 exec, exec, s[44:45]
	s_waitcnt lgkmcnt(0)
	s_cmp_lg_u64 s[42:43], 0
	s_barrier
	s_cbranch_scc0 .LBB192_10
; %bb.9:
	s_load_dword s7, s[40:41], 0x0
	s_waitcnt lgkmcnt(0)
	s_add_i32 s6, s7, s6
	s_mov_b32 s7, 0
	s_lshl_b64 s[6:7], s[6:7], 2
	s_add_u32 s6, s42, s6
	s_addc_u32 s7, s43, s7
	s_load_dword s6, s[6:7], 0x0
.LBB192_10:
	s_nop 0
	s_load_dword s33, s[4:5], 0x0
	s_andn2_b64 vcc, exec, s[34:35]
	s_waitcnt lgkmcnt(0)
	s_ashr_i32 s7, s6, 31
	s_cbranch_vccnz .LBB192_66
; %bb.11:
	s_lshl_b64 s[4:5], s[6:7], 3
	s_add_u32 s4, s16, s4
	s_addc_u32 s5, s17, s5
	s_load_dwordx4 s[44:47], s[4:5], 0x0
	v_lshrrev_b32_e32 v6, 4, v0
	v_subrev_co_u32_e32 v6, vcc, s28, v6
	v_subb_co_u32_e64 v7, s[16:17], 0, 0, vcc
	s_waitcnt lgkmcnt(0)
	s_sub_u32 s4, s46, s28
	v_mov_b32_e32 v8, s45
	v_add_co_u32_e32 v6, vcc, s44, v6
	s_subb_u32 s5, s47, 0
	v_addc_co_u32_e32 v7, vcc, v8, v7, vcc
	s_mov_b32 s40, 0
	v_cmp_gt_i64_e32 vcc, s[4:5], v[6:7]
	s_and_saveexec_b64 s[16:17], vcc
	s_cbranch_execz .LBB192_65
; %bb.12:
	v_and_b32_e32 v8, 15, v0
	v_subrev_co_u32_e32 v31, vcc, s29, v8
	s_cmp_eq_u32 s33, 0
	v_subb_co_u32_e64 v32, s[34:35], 0, 0, vcc
	s_mov_b32 s57, s29
	s_cselect_b32 s58, 1, 2
	s_cselect_b32 s59, 2, 1
	s_mov_b64 s[34:35], 0
	v_mov_b32_e32 v33, s19
	v_mov_b32_e32 v34, s23
	;; [unrolled: 1-line block ×3, first 2 shown]
	s_movk_i32 s19, 0x89
	s_branch .LBB192_14
.LBB192_13:                             ;   in Loop: Header=BB192_14 Depth=1
	s_or_b64 exec, exec, s[40:41]
	v_add_co_u32_e32 v6, vcc, 16, v6
	v_addc_co_u32_e32 v7, vcc, 0, v7, vcc
	v_cmp_le_i64_e32 vcc, s[4:5], v[6:7]
	s_or_b64 s[34:35], vcc, s[34:35]
	s_andn2_b64 exec, exec, s[34:35]
	s_cbranch_execz .LBB192_65
.LBB192_14:                             ; =>This Loop Header: Depth=1
                                        ;     Child Loop BB192_17 Depth 2
                                        ;       Child Loop BB192_19 Depth 3
                                        ;       Child Loop BB192_31 Depth 3
                                        ;       Child Loop BB192_43 Depth 3
                                        ;       Child Loop BB192_55 Depth 3
	v_lshlrev_b64 v[12:13], 2, v[6:7]
	v_add_co_u32_e32 v8, vcc, s18, v12
	v_addc_co_u32_e32 v9, vcc, v33, v13, vcc
	global_load_dword v8, v[8:9], off
	s_waitcnt vmcnt(0)
	v_subrev_u32_e32 v8, s28, v8
	v_ashrrev_i32_e32 v9, 31, v8
	v_lshlrev_b64 v[8:9], 3, v[8:9]
	v_add_co_u32_e32 v8, vcc, s22, v8
	v_addc_co_u32_e32 v9, vcc, v34, v9, vcc
	global_load_dwordx4 v[14:17], v[8:9], off
	s_waitcnt vmcnt(0)
	v_subrev_co_u32_e32 v8, vcc, s57, v16
	v_subb_co_u32_e32 v9, vcc, v17, v35, vcc
	v_add_co_u32_e32 v10, vcc, v14, v31
	v_addc_co_u32_e32 v11, vcc, v15, v32, vcc
	v_cmp_lt_i64_e32 vcc, v[10:11], v[8:9]
	s_and_saveexec_b64 s[40:41], vcc
	s_cbranch_execz .LBB192_13
; %bb.15:                               ;   in Loop: Header=BB192_14 Depth=1
	v_lshlrev_b64 v[16:17], 5, v[6:7]
	v_or_b32_e32 v15, 0, v13
	v_or_b32_e32 v14, s58, v12
	;; [unrolled: 1-line block ×4, first 2 shown]
	v_mov_b32_e32 v18, s21
	v_add_co_u32_e32 v16, vcc, s20, v16
	v_addc_co_u32_e32 v17, vcc, v18, v17, vcc
	v_lshlrev_b64 v[12:13], 3, v[12:13]
	v_add_co_u32_e32 v12, vcc, s20, v12
	v_addc_co_u32_e32 v13, vcc, v18, v13, vcc
	v_lshlrev_b64 v[14:15], 3, v[14:15]
	v_add_co_u32_e32 v14, vcc, s20, v14
	v_addc_co_u32_e32 v15, vcc, v18, v15, vcc
	global_load_dwordx2 v[18:19], v[16:17], off offset:24
	global_load_dwordx2 v[20:21], v[12:13], off
	global_load_dwordx2 v[22:23], v[14:15], off
	;; [unrolled: 1-line block ×3, first 2 shown]
	s_mov_b64 s[42:43], 0
	s_waitcnt vmcnt(3)
	v_mul_f64 v[12:13], v[4:5], v[18:19]
	s_waitcnt vmcnt(2)
	v_mul_f64 v[14:15], v[4:5], v[20:21]
	s_waitcnt vmcnt(1)
	v_mul_f64 v[16:17], v[4:5], v[22:23]
	s_waitcnt vmcnt(0)
	v_mul_f64 v[18:19], v[4:5], v[24:25]
	s_branch .LBB192_17
.LBB192_16:                             ;   in Loop: Header=BB192_17 Depth=2
	s_or_b64 exec, exec, s[44:45]
	v_add_co_u32_e32 v10, vcc, 16, v10
	v_addc_co_u32_e32 v11, vcc, 0, v11, vcc
	v_cmp_ge_i64_e32 vcc, v[10:11], v[8:9]
	s_or_b64 s[42:43], vcc, s[42:43]
	s_andn2_b64 exec, exec, s[42:43]
	s_cbranch_execz .LBB192_13
.LBB192_17:                             ;   Parent Loop BB192_14 Depth=1
                                        ; =>  This Loop Header: Depth=2
                                        ;       Child Loop BB192_19 Depth 3
                                        ;       Child Loop BB192_31 Depth 3
	;; [unrolled: 1-line block ×4, first 2 shown]
	v_lshlrev_b64 v[20:21], 2, v[10:11]
	v_mov_b32_e32 v23, s37
	v_add_co_u32_e32 v22, vcc, s36, v20
	v_addc_co_u32_e32 v23, vcc, v23, v21, vcc
	v_lshlrev_b64 v[24:25], 5, v[10:11]
	global_load_dword v30, v[22:23], off
	v_or_b32_e32 v23, 0, v21
	v_or_b32_e32 v22, s58, v20
	;; [unrolled: 1-line block ×4, first 2 shown]
	v_mov_b32_e32 v36, s39
	v_add_co_u32_e32 v28, vcc, s38, v24
	v_addc_co_u32_e32 v29, vcc, v36, v25, vcc
	v_lshlrev_b64 v[20:21], 3, v[20:21]
	v_add_co_u32_e32 v20, vcc, s38, v20
	v_lshlrev_b64 v[22:23], 3, v[22:23]
	v_addc_co_u32_e32 v21, vcc, v36, v21, vcc
	global_load_dwordx2 v[24:25], v[28:29], off
	global_load_dwordx2 v[26:27], v[20:21], off
	v_add_co_u32_e32 v20, vcc, s38, v22
	v_addc_co_u32_e32 v21, vcc, v36, v23, vcc
	global_load_dwordx2 v[20:21], v[20:21], off
	s_nop 0
	global_load_dwordx2 v[22:23], v[28:29], off offset:24
	s_mov_b64 s[44:45], 0
	s_waitcnt vmcnt(4)
	v_subrev_u32_e32 v36, s29, v30
	v_mul_lo_u32 v30, v36, s19
	v_and_b32_e32 v37, 0xff, v30
	v_mov_b32_e32 v38, v37
	s_waitcnt vmcnt(2)
	v_mul_f64 v[28:29], v[16:17], v[26:27]
	v_fmac_f64_e32 v[28:29], v[18:19], v[24:25]
	s_branch .LBB192_19
.LBB192_18:                             ;   in Loop: Header=BB192_19 Depth=3
	s_or_b64 exec, exec, s[46:47]
	s_xor_b64 s[46:47], s[48:49], -1
	s_and_b64 s[46:47], exec, s[46:47]
	s_or_b64 s[44:45], s[46:47], s[44:45]
	s_andn2_b64 exec, exec, s[44:45]
	s_cbranch_execz .LBB192_29
.LBB192_19:                             ;   Parent Loop BB192_14 Depth=1
                                        ;     Parent Loop BB192_17 Depth=2
                                        ; =>    This Inner Loop Header: Depth=3
	v_lshl_add_u32 v30, v38, 2, 0
	ds_read_b32 v39, v30
                                        ; implicit-def: $sgpr48_sgpr49
	s_waitcnt lgkmcnt(0)
	v_cmp_ne_u32_e32 vcc, v39, v36
	s_and_saveexec_b64 s[46:47], vcc
	s_xor_b64 s[46:47], exec, s[46:47]
	s_cbranch_execz .LBB192_27
; %bb.20:                               ;   in Loop: Header=BB192_19 Depth=3
	v_cmp_ne_u32_e32 vcc, s56, v39
                                        ; implicit-def: $sgpr48_sgpr49
	s_and_saveexec_b64 s[50:51], vcc
	s_xor_b64 s[50:51], exec, s[50:51]
; %bb.21:                               ;   in Loop: Header=BB192_19 Depth=3
	v_add_u32_e32 v30, 1, v38
	v_and_b32_e32 v38, 0xff, v30
	s_mov_b64 s[48:49], -1
                                        ; implicit-def: $vgpr30
; %bb.22:                               ;   in Loop: Header=BB192_19 Depth=3
	s_andn2_saveexec_b64 s[50:51], s[50:51]
	s_cbranch_execz .LBB192_26
; %bb.23:                               ;   in Loop: Header=BB192_19 Depth=3
	v_mov_b32_e32 v39, s56
	ds_cmpst_rtn_b32 v39, v30, v39, v36
	s_mov_b64 s[52:53], -1
	s_waitcnt lgkmcnt(0)
	v_cmp_eq_u32_e32 vcc, s56, v39
	s_and_saveexec_b64 s[54:55], vcc
	s_cbranch_execz .LBB192_25
; %bb.24:                               ;   in Loop: Header=BB192_19 Depth=3
	v_mad_u64_u32 v[40:41], s[52:53], v38, 28, v[30:31]
	ds_add_f64 v40, v[28:29] offset:1024
	s_xor_b64 s[52:53], exec, -1
.LBB192_25:                             ;   in Loop: Header=BB192_19 Depth=3
	s_or_b64 exec, exec, s[54:55]
	s_andn2_b64 s[48:49], s[48:49], exec
	s_and_b64 s[52:53], s[52:53], exec
	s_or_b64 s[48:49], s[48:49], s[52:53]
.LBB192_26:                             ;   in Loop: Header=BB192_19 Depth=3
	s_or_b64 exec, exec, s[50:51]
	s_and_b64 s[48:49], s[48:49], exec
                                        ; implicit-def: $vgpr30
.LBB192_27:                             ;   in Loop: Header=BB192_19 Depth=3
	s_andn2_saveexec_b64 s[46:47], s[46:47]
	s_cbranch_execz .LBB192_18
; %bb.28:                               ;   in Loop: Header=BB192_19 Depth=3
	v_mad_u64_u32 v[40:41], s[50:51], v38, 28, v[30:31]
	ds_add_f64 v40, v[28:29] offset:1024
	s_andn2_b64 s[48:49], s[48:49], exec
	s_branch .LBB192_18
.LBB192_29:                             ;   in Loop: Header=BB192_17 Depth=2
	s_or_b64 exec, exec, s[44:45]
	s_waitcnt vmcnt(0)
	v_mul_f64 v[28:29], v[16:17], v[22:23]
	v_fmac_f64_e32 v[28:29], v[18:19], v[20:21]
	s_mov_b64 s[44:45], 0
	v_mov_b32_e32 v38, v37
	s_branch .LBB192_31
.LBB192_30:                             ;   in Loop: Header=BB192_31 Depth=3
	s_or_b64 exec, exec, s[46:47]
	s_xor_b64 s[46:47], s[48:49], -1
	s_and_b64 s[46:47], exec, s[46:47]
	s_or_b64 s[44:45], s[46:47], s[44:45]
	s_andn2_b64 exec, exec, s[44:45]
	s_cbranch_execz .LBB192_41
.LBB192_31:                             ;   Parent Loop BB192_14 Depth=1
                                        ;     Parent Loop BB192_17 Depth=2
                                        ; =>    This Inner Loop Header: Depth=3
	v_lshl_add_u32 v30, v38, 2, 0
	ds_read_b32 v39, v30
                                        ; implicit-def: $sgpr48_sgpr49
	s_waitcnt lgkmcnt(0)
	v_cmp_ne_u32_e32 vcc, v39, v36
	s_and_saveexec_b64 s[46:47], vcc
	s_xor_b64 s[46:47], exec, s[46:47]
	s_cbranch_execz .LBB192_39
; %bb.32:                               ;   in Loop: Header=BB192_31 Depth=3
	v_cmp_ne_u32_e32 vcc, s56, v39
                                        ; implicit-def: $sgpr48_sgpr49
	s_and_saveexec_b64 s[50:51], vcc
	s_xor_b64 s[50:51], exec, s[50:51]
; %bb.33:                               ;   in Loop: Header=BB192_31 Depth=3
	v_add_u32_e32 v30, 1, v38
	v_and_b32_e32 v38, 0xff, v30
	s_mov_b64 s[48:49], -1
                                        ; implicit-def: $vgpr30
; %bb.34:                               ;   in Loop: Header=BB192_31 Depth=3
	s_andn2_saveexec_b64 s[50:51], s[50:51]
	s_cbranch_execz .LBB192_38
; %bb.35:                               ;   in Loop: Header=BB192_31 Depth=3
	v_mov_b32_e32 v39, s56
	ds_cmpst_rtn_b32 v39, v30, v39, v36
	s_mov_b64 s[52:53], -1
	s_waitcnt lgkmcnt(0)
	v_cmp_eq_u32_e32 vcc, s56, v39
	s_and_saveexec_b64 s[54:55], vcc
	s_cbranch_execz .LBB192_37
; %bb.36:                               ;   in Loop: Header=BB192_31 Depth=3
	v_mad_u64_u32 v[40:41], s[52:53], v38, 28, v[30:31]
	ds_add_f64 v40, v[28:29] offset:1032
	s_xor_b64 s[52:53], exec, -1
.LBB192_37:                             ;   in Loop: Header=BB192_31 Depth=3
	s_or_b64 exec, exec, s[54:55]
	s_andn2_b64 s[48:49], s[48:49], exec
	s_and_b64 s[52:53], s[52:53], exec
	s_or_b64 s[48:49], s[48:49], s[52:53]
.LBB192_38:                             ;   in Loop: Header=BB192_31 Depth=3
	s_or_b64 exec, exec, s[50:51]
	s_and_b64 s[48:49], s[48:49], exec
                                        ; implicit-def: $vgpr30
.LBB192_39:                             ;   in Loop: Header=BB192_31 Depth=3
	s_andn2_saveexec_b64 s[46:47], s[46:47]
	s_cbranch_execz .LBB192_30
; %bb.40:                               ;   in Loop: Header=BB192_31 Depth=3
	v_mad_u64_u32 v[40:41], s[50:51], v38, 28, v[30:31]
	ds_add_f64 v40, v[28:29] offset:1032
	s_andn2_b64 s[48:49], s[48:49], exec
	s_branch .LBB192_30
.LBB192_41:                             ;   in Loop: Header=BB192_17 Depth=2
	s_or_b64 exec, exec, s[44:45]
	v_mul_f64 v[26:27], v[12:13], v[26:27]
	v_fmac_f64_e32 v[26:27], v[14:15], v[24:25]
	s_mov_b64 s[44:45], 0
	v_mov_b32_e32 v25, v37
	s_branch .LBB192_43
.LBB192_42:                             ;   in Loop: Header=BB192_43 Depth=3
	s_or_b64 exec, exec, s[46:47]
	s_xor_b64 s[46:47], s[48:49], -1
	s_and_b64 s[46:47], exec, s[46:47]
	s_or_b64 s[44:45], s[46:47], s[44:45]
	s_andn2_b64 exec, exec, s[44:45]
	s_cbranch_execz .LBB192_53
.LBB192_43:                             ;   Parent Loop BB192_14 Depth=1
                                        ;     Parent Loop BB192_17 Depth=2
                                        ; =>    This Inner Loop Header: Depth=3
	v_lshl_add_u32 v24, v25, 2, 0
	ds_read_b32 v28, v24
                                        ; implicit-def: $sgpr48_sgpr49
	s_waitcnt lgkmcnt(0)
	v_cmp_ne_u32_e32 vcc, v28, v36
	s_and_saveexec_b64 s[46:47], vcc
	s_xor_b64 s[46:47], exec, s[46:47]
	s_cbranch_execz .LBB192_51
; %bb.44:                               ;   in Loop: Header=BB192_43 Depth=3
	v_cmp_ne_u32_e32 vcc, s56, v28
                                        ; implicit-def: $sgpr48_sgpr49
	s_and_saveexec_b64 s[50:51], vcc
	s_xor_b64 s[50:51], exec, s[50:51]
; %bb.45:                               ;   in Loop: Header=BB192_43 Depth=3
	v_add_u32_e32 v24, 1, v25
	v_and_b32_e32 v25, 0xff, v24
	s_mov_b64 s[48:49], -1
                                        ; implicit-def: $vgpr24
; %bb.46:                               ;   in Loop: Header=BB192_43 Depth=3
	s_andn2_saveexec_b64 s[50:51], s[50:51]
	s_cbranch_execz .LBB192_50
; %bb.47:                               ;   in Loop: Header=BB192_43 Depth=3
	v_mov_b32_e32 v28, s56
	ds_cmpst_rtn_b32 v28, v24, v28, v36
	s_mov_b64 s[52:53], -1
	s_waitcnt lgkmcnt(0)
	v_cmp_eq_u32_e32 vcc, s56, v28
	s_and_saveexec_b64 s[54:55], vcc
	s_cbranch_execz .LBB192_49
; %bb.48:                               ;   in Loop: Header=BB192_43 Depth=3
	v_mad_u64_u32 v[28:29], s[52:53], v25, 28, v[24:25]
	ds_add_f64 v28, v[26:27] offset:1040
	s_xor_b64 s[52:53], exec, -1
.LBB192_49:                             ;   in Loop: Header=BB192_43 Depth=3
	s_or_b64 exec, exec, s[54:55]
	s_andn2_b64 s[48:49], s[48:49], exec
	s_and_b64 s[52:53], s[52:53], exec
	s_or_b64 s[48:49], s[48:49], s[52:53]
.LBB192_50:                             ;   in Loop: Header=BB192_43 Depth=3
	s_or_b64 exec, exec, s[50:51]
	s_and_b64 s[48:49], s[48:49], exec
                                        ; implicit-def: $vgpr24
.LBB192_51:                             ;   in Loop: Header=BB192_43 Depth=3
	s_andn2_saveexec_b64 s[46:47], s[46:47]
	s_cbranch_execz .LBB192_42
; %bb.52:                               ;   in Loop: Header=BB192_43 Depth=3
	v_mad_u64_u32 v[28:29], s[50:51], v25, 28, v[24:25]
	ds_add_f64 v28, v[26:27] offset:1040
	s_andn2_b64 s[48:49], s[48:49], exec
	s_branch .LBB192_42
.LBB192_53:                             ;   in Loop: Header=BB192_17 Depth=2
	s_or_b64 exec, exec, s[44:45]
	v_mul_f64 v[22:23], v[12:13], v[22:23]
	v_fmac_f64_e32 v[22:23], v[14:15], v[20:21]
	s_mov_b64 s[44:45], 0
	s_branch .LBB192_55
.LBB192_54:                             ;   in Loop: Header=BB192_55 Depth=3
	s_or_b64 exec, exec, s[46:47]
	s_xor_b64 s[46:47], s[48:49], -1
	s_and_b64 s[46:47], exec, s[46:47]
	s_or_b64 s[44:45], s[46:47], s[44:45]
	s_andn2_b64 exec, exec, s[44:45]
	s_cbranch_execz .LBB192_16
.LBB192_55:                             ;   Parent Loop BB192_14 Depth=1
                                        ;     Parent Loop BB192_17 Depth=2
                                        ; =>    This Inner Loop Header: Depth=3
	v_lshl_add_u32 v20, v37, 2, 0
	ds_read_b32 v21, v20
                                        ; implicit-def: $sgpr48_sgpr49
	s_waitcnt lgkmcnt(0)
	v_cmp_ne_u32_e32 vcc, v21, v36
	s_and_saveexec_b64 s[46:47], vcc
	s_xor_b64 s[46:47], exec, s[46:47]
	s_cbranch_execz .LBB192_63
; %bb.56:                               ;   in Loop: Header=BB192_55 Depth=3
	v_cmp_ne_u32_e32 vcc, s56, v21
                                        ; implicit-def: $sgpr48_sgpr49
	s_and_saveexec_b64 s[50:51], vcc
	s_xor_b64 s[50:51], exec, s[50:51]
; %bb.57:                               ;   in Loop: Header=BB192_55 Depth=3
	v_add_u32_e32 v20, 1, v37
	v_and_b32_e32 v37, 0xff, v20
	s_mov_b64 s[48:49], -1
                                        ; implicit-def: $vgpr20
; %bb.58:                               ;   in Loop: Header=BB192_55 Depth=3
	s_andn2_saveexec_b64 s[50:51], s[50:51]
	s_cbranch_execz .LBB192_62
; %bb.59:                               ;   in Loop: Header=BB192_55 Depth=3
	v_mov_b32_e32 v21, s56
	ds_cmpst_rtn_b32 v21, v20, v21, v36
	s_mov_b64 s[52:53], -1
	s_waitcnt lgkmcnt(0)
	v_cmp_eq_u32_e32 vcc, s56, v21
	s_and_saveexec_b64 s[54:55], vcc
	s_cbranch_execz .LBB192_61
; %bb.60:                               ;   in Loop: Header=BB192_55 Depth=3
	v_mad_u64_u32 v[20:21], s[52:53], v37, 28, v[20:21]
	ds_add_f64 v20, v[22:23] offset:1048
	s_xor_b64 s[52:53], exec, -1
.LBB192_61:                             ;   in Loop: Header=BB192_55 Depth=3
	s_or_b64 exec, exec, s[54:55]
	s_andn2_b64 s[48:49], s[48:49], exec
	s_and_b64 s[52:53], s[52:53], exec
	s_or_b64 s[48:49], s[48:49], s[52:53]
.LBB192_62:                             ;   in Loop: Header=BB192_55 Depth=3
	s_or_b64 exec, exec, s[50:51]
	s_and_b64 s[48:49], s[48:49], exec
                                        ; implicit-def: $vgpr20
.LBB192_63:                             ;   in Loop: Header=BB192_55 Depth=3
	s_andn2_saveexec_b64 s[46:47], s[46:47]
	s_cbranch_execz .LBB192_54
; %bb.64:                               ;   in Loop: Header=BB192_55 Depth=3
	v_mad_u64_u32 v[20:21], s[50:51], v37, 28, v[20:21]
	ds_add_f64 v20, v[22:23] offset:1048
	s_andn2_b64 s[48:49], s[48:49], exec
	s_branch .LBB192_54
.LBB192_65:
	s_or_b64 exec, exec, s[16:17]
.LBB192_66:
	s_andn2_b64 vcc, exec, s[2:3]
	s_waitcnt lgkmcnt(0)
	s_barrier
	s_cbranch_vccnz .LBB192_119
; %bb.67:
	s_lshl_b64 s[2:3], s[6:7], 3
	s_add_u32 s2, s8, s2
	s_addc_u32 s3, s9, s3
	s_load_dwordx4 s[16:19], s[2:3], 0x0
	s_waitcnt vmcnt(0)
	v_subrev_co_u32_e32 v4, vcc, s31, v0
	v_subb_co_u32_e64 v5, s[2:3], 0, 0, vcc
	s_waitcnt lgkmcnt(0)
	s_sub_u32 s2, s18, s31
	v_mov_b32_e32 v6, s17
	v_add_co_u32_e32 v4, vcc, s16, v4
	s_subb_u32 s3, s19, 0
	v_addc_co_u32_e32 v5, vcc, v6, v5, vcc
	v_cmp_gt_i64_e32 vcc, s[2:3], v[4:5]
	s_and_saveexec_b64 s[4:5], vcc
	s_cbranch_execz .LBB192_118
; %bb.68:
	s_cmp_eq_u32 s33, 0
	s_cselect_b32 s36, 1, 2
	s_cselect_b32 s37, 2, 1
	s_mov_b64 s[8:9], 0
	v_mov_b32_e32 v15, s13
	v_mov_b32_e32 v16, s11
	s_movk_i32 s11, 0x89
	s_branch .LBB192_70
.LBB192_69:                             ;   in Loop: Header=BB192_70 Depth=1
	s_or_b64 exec, exec, s[16:17]
	v_add_co_u32_e32 v4, vcc, 0x100, v4
	v_addc_co_u32_e32 v5, vcc, 0, v5, vcc
	v_cmp_le_i64_e32 vcc, s[2:3], v[4:5]
	s_or_b64 s[8:9], vcc, s[8:9]
	s_andn2_b64 exec, exec, s[8:9]
	s_cbranch_execz .LBB192_118
.LBB192_70:                             ; =>This Loop Header: Depth=1
                                        ;     Child Loop BB192_72 Depth 2
                                        ;     Child Loop BB192_84 Depth 2
                                        ;     Child Loop BB192_96 Depth 2
                                        ;     Child Loop BB192_108 Depth 2
	v_lshlrev_b64 v[6:7], 2, v[4:5]
	v_lshlrev_b64 v[12:13], 5, v[4:5]
	v_or_b32_e32 v9, 0, v7
	v_or_b32_e32 v8, s36, v6
	v_add_co_u32_e32 v12, vcc, s12, v12
	v_addc_co_u32_e32 v13, vcc, v15, v13, vcc
	v_lshlrev_b64 v[8:9], 3, v[8:9]
	v_add_co_u32_e32 v20, vcc, s12, v8
	v_addc_co_u32_e32 v21, vcc, v15, v9, vcc
	v_or_b32_e32 v10, s37, v6
	v_add_co_u32_e32 v6, vcc, s10, v6
	v_or_b32_e32 v11, 0, v7
	v_addc_co_u32_e32 v7, vcc, v16, v7, vcc
	v_lshlrev_b64 v[8:9], 3, v[10:11]
	global_load_dword v14, v[6:7], off
	v_add_co_u32_e32 v22, vcc, s12, v8
	global_load_dwordx2 v[18:19], v[12:13], off
	v_addc_co_u32_e32 v23, vcc, v15, v9, vcc
	global_load_dwordx2 v[8:9], v[22:23], off
	global_load_dwordx2 v[10:11], v[20:21], off
	global_load_dwordx2 v[6:7], v[12:13], off offset:24
	s_mov_b64 s[16:17], 0
	s_waitcnt vmcnt(4)
	v_subrev_u32_e32 v17, s31, v14
	v_mul_lo_u32 v14, v17, s11
	s_waitcnt vmcnt(3)
	v_mul_f64 v[12:13], v[2:3], v[18:19]
	v_and_b32_e32 v18, 0xff, v14
	v_mov_b32_e32 v19, v18
	s_branch .LBB192_72
.LBB192_71:                             ;   in Loop: Header=BB192_72 Depth=2
	s_or_b64 exec, exec, s[18:19]
	s_xor_b64 s[18:19], s[20:21], -1
	s_and_b64 s[18:19], exec, s[18:19]
	s_or_b64 s[16:17], s[18:19], s[16:17]
	s_andn2_b64 exec, exec, s[16:17]
	s_cbranch_execz .LBB192_82
.LBB192_72:                             ;   Parent Loop BB192_70 Depth=1
                                        ; =>  This Inner Loop Header: Depth=2
	v_lshl_add_u32 v14, v19, 2, 0
	ds_read_b32 v20, v14
                                        ; implicit-def: $sgpr20_sgpr21
	s_waitcnt lgkmcnt(0)
	v_cmp_ne_u32_e32 vcc, v20, v17
	s_and_saveexec_b64 s[18:19], vcc
	s_xor_b64 s[18:19], exec, s[18:19]
	s_cbranch_execz .LBB192_80
; %bb.73:                               ;   in Loop: Header=BB192_72 Depth=2
	v_cmp_ne_u32_e32 vcc, s56, v20
                                        ; implicit-def: $sgpr20_sgpr21
	s_and_saveexec_b64 s[22:23], vcc
	s_xor_b64 s[22:23], exec, s[22:23]
; %bb.74:                               ;   in Loop: Header=BB192_72 Depth=2
	v_add_u32_e32 v14, 1, v19
	v_and_b32_e32 v19, 0xff, v14
	s_mov_b64 s[20:21], -1
                                        ; implicit-def: $vgpr14
; %bb.75:                               ;   in Loop: Header=BB192_72 Depth=2
	s_andn2_saveexec_b64 s[22:23], s[22:23]
	s_cbranch_execz .LBB192_79
; %bb.76:                               ;   in Loop: Header=BB192_72 Depth=2
	v_mov_b32_e32 v20, s56
	ds_cmpst_rtn_b32 v20, v14, v20, v17
	s_mov_b64 s[28:29], -1
	s_waitcnt lgkmcnt(0)
	v_cmp_eq_u32_e32 vcc, s56, v20
	s_and_saveexec_b64 s[34:35], vcc
	s_cbranch_execz .LBB192_78
; %bb.77:                               ;   in Loop: Header=BB192_72 Depth=2
	v_mad_u64_u32 v[20:21], s[28:29], v19, 28, v[14:15]
	ds_add_f64 v20, v[12:13] offset:1024
	s_xor_b64 s[28:29], exec, -1
.LBB192_78:                             ;   in Loop: Header=BB192_72 Depth=2
	s_or_b64 exec, exec, s[34:35]
	s_andn2_b64 s[20:21], s[20:21], exec
	s_and_b64 s[28:29], s[28:29], exec
	s_or_b64 s[20:21], s[20:21], s[28:29]
.LBB192_79:                             ;   in Loop: Header=BB192_72 Depth=2
	s_or_b64 exec, exec, s[22:23]
	s_and_b64 s[20:21], s[20:21], exec
                                        ; implicit-def: $vgpr14
.LBB192_80:                             ;   in Loop: Header=BB192_72 Depth=2
	s_andn2_saveexec_b64 s[18:19], s[18:19]
	s_cbranch_execz .LBB192_71
; %bb.81:                               ;   in Loop: Header=BB192_72 Depth=2
	v_mad_u64_u32 v[20:21], s[22:23], v19, 28, v[14:15]
	ds_add_f64 v20, v[12:13] offset:1024
	s_andn2_b64 s[20:21], s[20:21], exec
	s_branch .LBB192_71
.LBB192_82:                             ;   in Loop: Header=BB192_70 Depth=1
	s_or_b64 exec, exec, s[16:17]
	s_waitcnt vmcnt(1)
	v_mul_f64 v[10:11], v[2:3], v[10:11]
	s_mov_b64 s[16:17], 0
	v_mov_b32_e32 v13, v18
	s_branch .LBB192_84
.LBB192_83:                             ;   in Loop: Header=BB192_84 Depth=2
	s_or_b64 exec, exec, s[18:19]
	s_xor_b64 s[18:19], s[20:21], -1
	s_and_b64 s[18:19], exec, s[18:19]
	s_or_b64 s[16:17], s[18:19], s[16:17]
	s_andn2_b64 exec, exec, s[16:17]
	s_cbranch_execz .LBB192_94
.LBB192_84:                             ;   Parent Loop BB192_70 Depth=1
                                        ; =>  This Inner Loop Header: Depth=2
	v_lshl_add_u32 v12, v13, 2, 0
	ds_read_b32 v14, v12
                                        ; implicit-def: $sgpr20_sgpr21
	s_waitcnt lgkmcnt(0)
	v_cmp_ne_u32_e32 vcc, v14, v17
	s_and_saveexec_b64 s[18:19], vcc
	s_xor_b64 s[18:19], exec, s[18:19]
	s_cbranch_execz .LBB192_92
; %bb.85:                               ;   in Loop: Header=BB192_84 Depth=2
	v_cmp_ne_u32_e32 vcc, s56, v14
                                        ; implicit-def: $sgpr20_sgpr21
	s_and_saveexec_b64 s[22:23], vcc
	s_xor_b64 s[22:23], exec, s[22:23]
; %bb.86:                               ;   in Loop: Header=BB192_84 Depth=2
	v_add_u32_e32 v12, 1, v13
	v_and_b32_e32 v13, 0xff, v12
	s_mov_b64 s[20:21], -1
                                        ; implicit-def: $vgpr12
; %bb.87:                               ;   in Loop: Header=BB192_84 Depth=2
	s_andn2_saveexec_b64 s[22:23], s[22:23]
	s_cbranch_execz .LBB192_91
; %bb.88:                               ;   in Loop: Header=BB192_84 Depth=2
	v_mov_b32_e32 v14, s56
	ds_cmpst_rtn_b32 v14, v12, v14, v17
	s_mov_b64 s[28:29], -1
	s_waitcnt lgkmcnt(0)
	v_cmp_eq_u32_e32 vcc, s56, v14
	s_and_saveexec_b64 s[34:35], vcc
	s_cbranch_execz .LBB192_90
; %bb.89:                               ;   in Loop: Header=BB192_84 Depth=2
	v_mad_u64_u32 v[20:21], s[28:29], v13, 28, v[12:13]
	ds_add_f64 v20, v[10:11] offset:1032
	s_xor_b64 s[28:29], exec, -1
.LBB192_90:                             ;   in Loop: Header=BB192_84 Depth=2
	s_or_b64 exec, exec, s[34:35]
	s_andn2_b64 s[20:21], s[20:21], exec
	s_and_b64 s[28:29], s[28:29], exec
	s_or_b64 s[20:21], s[20:21], s[28:29]
.LBB192_91:                             ;   in Loop: Header=BB192_84 Depth=2
	s_or_b64 exec, exec, s[22:23]
	s_and_b64 s[20:21], s[20:21], exec
                                        ; implicit-def: $vgpr12
.LBB192_92:                             ;   in Loop: Header=BB192_84 Depth=2
	s_andn2_saveexec_b64 s[18:19], s[18:19]
	s_cbranch_execz .LBB192_83
; %bb.93:                               ;   in Loop: Header=BB192_84 Depth=2
	v_mad_u64_u32 v[20:21], s[22:23], v13, 28, v[12:13]
	ds_add_f64 v20, v[10:11] offset:1032
	s_andn2_b64 s[20:21], s[20:21], exec
	s_branch .LBB192_83
.LBB192_94:                             ;   in Loop: Header=BB192_70 Depth=1
	s_or_b64 exec, exec, s[16:17]
	v_mul_f64 v[8:9], v[2:3], v[8:9]
	s_mov_b64 s[16:17], 0
	v_mov_b32_e32 v11, v18
	s_branch .LBB192_96
.LBB192_95:                             ;   in Loop: Header=BB192_96 Depth=2
	s_or_b64 exec, exec, s[18:19]
	s_xor_b64 s[18:19], s[20:21], -1
	s_and_b64 s[18:19], exec, s[18:19]
	s_or_b64 s[16:17], s[18:19], s[16:17]
	s_andn2_b64 exec, exec, s[16:17]
	s_cbranch_execz .LBB192_106
.LBB192_96:                             ;   Parent Loop BB192_70 Depth=1
                                        ; =>  This Inner Loop Header: Depth=2
	v_lshl_add_u32 v10, v11, 2, 0
	ds_read_b32 v12, v10
                                        ; implicit-def: $sgpr20_sgpr21
	s_waitcnt lgkmcnt(0)
	v_cmp_ne_u32_e32 vcc, v12, v17
	s_and_saveexec_b64 s[18:19], vcc
	s_xor_b64 s[18:19], exec, s[18:19]
	s_cbranch_execz .LBB192_104
; %bb.97:                               ;   in Loop: Header=BB192_96 Depth=2
	v_cmp_ne_u32_e32 vcc, s56, v12
                                        ; implicit-def: $sgpr20_sgpr21
	s_and_saveexec_b64 s[22:23], vcc
	s_xor_b64 s[22:23], exec, s[22:23]
; %bb.98:                               ;   in Loop: Header=BB192_96 Depth=2
	v_add_u32_e32 v10, 1, v11
	v_and_b32_e32 v11, 0xff, v10
	s_mov_b64 s[20:21], -1
                                        ; implicit-def: $vgpr10
; %bb.99:                               ;   in Loop: Header=BB192_96 Depth=2
	s_andn2_saveexec_b64 s[22:23], s[22:23]
	s_cbranch_execz .LBB192_103
; %bb.100:                              ;   in Loop: Header=BB192_96 Depth=2
	v_mov_b32_e32 v12, s56
	ds_cmpst_rtn_b32 v12, v10, v12, v17
	s_mov_b64 s[28:29], -1
	s_waitcnt lgkmcnt(0)
	v_cmp_eq_u32_e32 vcc, s56, v12
	s_and_saveexec_b64 s[34:35], vcc
	s_cbranch_execz .LBB192_102
; %bb.101:                              ;   in Loop: Header=BB192_96 Depth=2
	v_mad_u64_u32 v[12:13], s[28:29], v11, 28, v[10:11]
	ds_add_f64 v12, v[8:9] offset:1040
	s_xor_b64 s[28:29], exec, -1
.LBB192_102:                            ;   in Loop: Header=BB192_96 Depth=2
	s_or_b64 exec, exec, s[34:35]
	s_andn2_b64 s[20:21], s[20:21], exec
	s_and_b64 s[28:29], s[28:29], exec
	s_or_b64 s[20:21], s[20:21], s[28:29]
.LBB192_103:                            ;   in Loop: Header=BB192_96 Depth=2
	s_or_b64 exec, exec, s[22:23]
	s_and_b64 s[20:21], s[20:21], exec
                                        ; implicit-def: $vgpr10
.LBB192_104:                            ;   in Loop: Header=BB192_96 Depth=2
	s_andn2_saveexec_b64 s[18:19], s[18:19]
	s_cbranch_execz .LBB192_95
; %bb.105:                              ;   in Loop: Header=BB192_96 Depth=2
	v_mad_u64_u32 v[12:13], s[22:23], v11, 28, v[10:11]
	ds_add_f64 v12, v[8:9] offset:1040
	s_andn2_b64 s[20:21], s[20:21], exec
	s_branch .LBB192_95
.LBB192_106:                            ;   in Loop: Header=BB192_70 Depth=1
	s_or_b64 exec, exec, s[16:17]
	s_waitcnt vmcnt(0)
	v_mul_f64 v[6:7], v[2:3], v[6:7]
	s_mov_b64 s[16:17], 0
	s_branch .LBB192_108
.LBB192_107:                            ;   in Loop: Header=BB192_108 Depth=2
	s_or_b64 exec, exec, s[18:19]
	s_xor_b64 s[18:19], s[20:21], -1
	s_and_b64 s[18:19], exec, s[18:19]
	s_or_b64 s[16:17], s[18:19], s[16:17]
	s_andn2_b64 exec, exec, s[16:17]
	s_cbranch_execz .LBB192_69
.LBB192_108:                            ;   Parent Loop BB192_70 Depth=1
                                        ; =>  This Inner Loop Header: Depth=2
	v_lshl_add_u32 v8, v18, 2, 0
	ds_read_b32 v9, v8
                                        ; implicit-def: $sgpr20_sgpr21
	s_waitcnt lgkmcnt(0)
	v_cmp_ne_u32_e32 vcc, v9, v17
	s_and_saveexec_b64 s[18:19], vcc
	s_xor_b64 s[18:19], exec, s[18:19]
	s_cbranch_execz .LBB192_116
; %bb.109:                              ;   in Loop: Header=BB192_108 Depth=2
	v_cmp_ne_u32_e32 vcc, s56, v9
                                        ; implicit-def: $sgpr20_sgpr21
	s_and_saveexec_b64 s[22:23], vcc
	s_xor_b64 s[22:23], exec, s[22:23]
; %bb.110:                              ;   in Loop: Header=BB192_108 Depth=2
	v_add_u32_e32 v8, 1, v18
	v_and_b32_e32 v18, 0xff, v8
	s_mov_b64 s[20:21], -1
                                        ; implicit-def: $vgpr8
; %bb.111:                              ;   in Loop: Header=BB192_108 Depth=2
	s_andn2_saveexec_b64 s[22:23], s[22:23]
	s_cbranch_execz .LBB192_115
; %bb.112:                              ;   in Loop: Header=BB192_108 Depth=2
	v_mov_b32_e32 v9, s56
	ds_cmpst_rtn_b32 v9, v8, v9, v17
	s_mov_b64 s[28:29], -1
	s_waitcnt lgkmcnt(0)
	v_cmp_eq_u32_e32 vcc, s56, v9
	s_and_saveexec_b64 s[34:35], vcc
	s_cbranch_execz .LBB192_114
; %bb.113:                              ;   in Loop: Header=BB192_108 Depth=2
	v_mad_u64_u32 v[8:9], s[28:29], v18, 28, v[8:9]
	ds_add_f64 v8, v[6:7] offset:1048
	s_xor_b64 s[28:29], exec, -1
.LBB192_114:                            ;   in Loop: Header=BB192_108 Depth=2
	s_or_b64 exec, exec, s[34:35]
	s_andn2_b64 s[20:21], s[20:21], exec
	s_and_b64 s[28:29], s[28:29], exec
	s_or_b64 s[20:21], s[20:21], s[28:29]
.LBB192_115:                            ;   in Loop: Header=BB192_108 Depth=2
	s_or_b64 exec, exec, s[22:23]
	s_and_b64 s[20:21], s[20:21], exec
                                        ; implicit-def: $vgpr8
.LBB192_116:                            ;   in Loop: Header=BB192_108 Depth=2
	s_andn2_saveexec_b64 s[18:19], s[18:19]
	s_cbranch_execz .LBB192_107
; %bb.117:                              ;   in Loop: Header=BB192_108 Depth=2
	v_mad_u64_u32 v[8:9], s[22:23], v18, 28, v[8:9]
	ds_add_f64 v8, v[6:7] offset:1048
	s_andn2_b64 s[20:21], s[20:21], exec
	s_branch .LBB192_107
.LBB192_118:
	s_or_b64 exec, exec, s[4:5]
.LBB192_119:
	s_waitcnt lgkmcnt(0)
	s_barrier
	s_and_saveexec_b64 s[2:3], s[0:1]
	s_cbranch_execz .LBB192_124
; %bb.120:
	ds_read_b32 v1, v1
	s_mov_b32 s0, 0
	s_waitcnt lgkmcnt(0)
	v_cmp_gt_i32_e32 vcc, s56, v1
	s_and_b64 exec, exec, vcc
	s_cbranch_execz .LBB192_124
; %bb.121:
	s_lshl_b64 s[2:3], s[6:7], 3
	s_add_u32 s2, s14, s2
	s_addc_u32 s3, s15, s3
	s_load_dwordx2 s[2:3], s[2:3], 0x0
	s_waitcnt lgkmcnt(0)
	s_sub_u32 s2, s2, s30
	s_subb_u32 s3, s3, 0
	s_waitcnt vmcnt(0)
	v_pk_mov_b32 v[2:3], s[2:3], s[2:3] op_sel:[0,1]
.LBB192_122:                            ; =>This Inner Loop Header: Depth=1
	s_add_i32 s1, s0, 0
	v_mov_b32_e32 v18, s1
	ds_read2_b32 v[4:5], v18 offset1:1
	ds_read2_b32 v[6:7], v18 offset0:2 offset1:3
	ds_read2_b32 v[8:9], v18 offset0:4 offset1:5
	;; [unrolled: 1-line block ×7, first 2 shown]
	s_waitcnt lgkmcnt(7)
	v_cmp_gt_i32_e32 vcc, v1, v4
	v_cndmask_b32_e64 v4, 0, 1, vcc
	v_cmp_gt_i32_e32 vcc, v1, v5
	v_cndmask_b32_e64 v5, 0, 1, vcc
	s_waitcnt lgkmcnt(6)
	v_cmp_gt_i32_e32 vcc, v1, v6
	v_cndmask_b32_e64 v6, 0, 1, vcc
	v_cmp_gt_i32_e32 vcc, v1, v7
	v_cndmask_b32_e64 v7, 0, 1, vcc
	;; [unrolled: 5-line block ×8, first 2 shown]
	v_add_co_u32_e32 v2, vcc, v2, v4
	v_addc_co_u32_e32 v3, vcc, 0, v3, vcc
	v_add_co_u32_e32 v2, vcc, v2, v5
	v_addc_co_u32_e32 v3, vcc, 0, v3, vcc
	;; [unrolled: 2-line block ×15, first 2 shown]
	s_add_i32 s0, s0, 64
	v_add_co_u32_e32 v2, vcc, v2, v19
	s_cmpk_lg_i32 s0, 0x400
	v_addc_co_u32_e32 v3, vcc, 0, v3, vcc
	s_cbranch_scc1 .LBB192_122
; %bb.123:
	v_lshlrev_b64 v[4:5], 2, v[2:3]
	v_mov_b32_e32 v6, s25
	v_add_co_u32_e32 v4, vcc, s24, v4
	s_add_i32 s0, 0, 0x400
	v_add_u32_e32 v1, s30, v1
	v_addc_co_u32_e32 v5, vcc, v6, v5, vcc
	s_cmp_eq_u32 s33, 0
	global_store_dword v[4:5], v1, off
	v_lshlrev_b32_e32 v5, 5, v0
	v_lshlrev_b32_e32 v4, 2, v0
	v_add_u32_e32 v6, s0, v5
	s_cselect_b32 s0, 1, 2
	s_cselect_b32 s1, 2, 1
	v_lshlrev_b64 v[8:9], 5, v[2:3]
	v_or_b32_e32 v2, s0, v4
	v_or_b32_e32 v3, s1, v4
	v_add_u32_e32 v0, 0, v5
	v_lshl_add_u32 v2, v2, 3, 0
	v_lshl_add_u32 v3, v3, 3, 0
	ds_read_b64 v[0:1], v0 offset:1024
	ds_read_b64 v[4:5], v3 offset:1024
	ds_read_b64 v[2:3], v2 offset:1024
	ds_read_b64 v[6:7], v6 offset:24
	v_mov_b32_e32 v10, s27
	v_add_co_u32_e32 v8, vcc, s26, v8
	v_addc_co_u32_e32 v9, vcc, v10, v9, vcc
	s_waitcnt lgkmcnt(1)
	global_store_dwordx4 v[8:9], v[0:3], off
	s_waitcnt lgkmcnt(0)
	global_store_dwordx4 v[8:9], v[4:7], off offset:16
.LBB192_124:
	s_endpgm
	.section	.rodata,"a",@progbits
	.p2align	6, 0x0
	.amdhsa_kernel _ZN9rocsparseL30bsrgemm_fill_block_per_row_2x2ILj256ELj16ELj256ELj137ElidEEv20rocsparse_direction_T4_S2_PKS2_S4_NS_24const_host_device_scalarIT5_EEPKT3_S4_PKS6_SA_S4_SC_S7_SA_S4_SC_SA_PS2_PS6_21rocsparse_index_base_SF_SF_SF_bbb
		.amdhsa_group_segment_fixed_size 0
		.amdhsa_private_segment_fixed_size 0
		.amdhsa_kernarg_size 164
		.amdhsa_user_sgpr_count 6
		.amdhsa_user_sgpr_private_segment_buffer 1
		.amdhsa_user_sgpr_dispatch_ptr 0
		.amdhsa_user_sgpr_queue_ptr 0
		.amdhsa_user_sgpr_kernarg_segment_ptr 1
		.amdhsa_user_sgpr_dispatch_id 0
		.amdhsa_user_sgpr_flat_scratch_init 0
		.amdhsa_user_sgpr_kernarg_preload_length 0
		.amdhsa_user_sgpr_kernarg_preload_offset 0
		.amdhsa_user_sgpr_private_segment_size 0
		.amdhsa_uses_dynamic_stack 0
		.amdhsa_system_sgpr_private_segment_wavefront_offset 0
		.amdhsa_system_sgpr_workgroup_id_x 1
		.amdhsa_system_sgpr_workgroup_id_y 0
		.amdhsa_system_sgpr_workgroup_id_z 0
		.amdhsa_system_sgpr_workgroup_info 0
		.amdhsa_system_vgpr_workitem_id 0
		.amdhsa_next_free_vgpr 42
		.amdhsa_next_free_sgpr 60
		.amdhsa_accum_offset 44
		.amdhsa_reserve_vcc 1
		.amdhsa_reserve_flat_scratch 0
		.amdhsa_float_round_mode_32 0
		.amdhsa_float_round_mode_16_64 0
		.amdhsa_float_denorm_mode_32 3
		.amdhsa_float_denorm_mode_16_64 3
		.amdhsa_dx10_clamp 1
		.amdhsa_ieee_mode 1
		.amdhsa_fp16_overflow 0
		.amdhsa_tg_split 0
		.amdhsa_exception_fp_ieee_invalid_op 0
		.amdhsa_exception_fp_denorm_src 0
		.amdhsa_exception_fp_ieee_div_zero 0
		.amdhsa_exception_fp_ieee_overflow 0
		.amdhsa_exception_fp_ieee_underflow 0
		.amdhsa_exception_fp_ieee_inexact 0
		.amdhsa_exception_int_div_zero 0
	.end_amdhsa_kernel
	.section	.text._ZN9rocsparseL30bsrgemm_fill_block_per_row_2x2ILj256ELj16ELj256ELj137ElidEEv20rocsparse_direction_T4_S2_PKS2_S4_NS_24const_host_device_scalarIT5_EEPKT3_S4_PKS6_SA_S4_SC_S7_SA_S4_SC_SA_PS2_PS6_21rocsparse_index_base_SF_SF_SF_bbb,"axG",@progbits,_ZN9rocsparseL30bsrgemm_fill_block_per_row_2x2ILj256ELj16ELj256ELj137ElidEEv20rocsparse_direction_T4_S2_PKS2_S4_NS_24const_host_device_scalarIT5_EEPKT3_S4_PKS6_SA_S4_SC_S7_SA_S4_SC_SA_PS2_PS6_21rocsparse_index_base_SF_SF_SF_bbb,comdat
.Lfunc_end192:
	.size	_ZN9rocsparseL30bsrgemm_fill_block_per_row_2x2ILj256ELj16ELj256ELj137ElidEEv20rocsparse_direction_T4_S2_PKS2_S4_NS_24const_host_device_scalarIT5_EEPKT3_S4_PKS6_SA_S4_SC_S7_SA_S4_SC_SA_PS2_PS6_21rocsparse_index_base_SF_SF_SF_bbb, .Lfunc_end192-_ZN9rocsparseL30bsrgemm_fill_block_per_row_2x2ILj256ELj16ELj256ELj137ElidEEv20rocsparse_direction_T4_S2_PKS2_S4_NS_24const_host_device_scalarIT5_EEPKT3_S4_PKS6_SA_S4_SC_S7_SA_S4_SC_SA_PS2_PS6_21rocsparse_index_base_SF_SF_SF_bbb
                                        ; -- End function
	.section	.AMDGPU.csdata,"",@progbits
; Kernel info:
; codeLenInByte = 3868
; NumSgprs: 64
; NumVgprs: 42
; NumAgprs: 0
; TotalNumVgprs: 42
; ScratchSize: 0
; MemoryBound: 0
; FloatMode: 240
; IeeeMode: 1
; LDSByteSize: 0 bytes/workgroup (compile time only)
; SGPRBlocks: 7
; VGPRBlocks: 5
; NumSGPRsForWavesPerEU: 64
; NumVGPRsForWavesPerEU: 42
; AccumOffset: 44
; Occupancy: 8
; WaveLimiterHint : 1
; COMPUTE_PGM_RSRC2:SCRATCH_EN: 0
; COMPUTE_PGM_RSRC2:USER_SGPR: 6
; COMPUTE_PGM_RSRC2:TRAP_HANDLER: 0
; COMPUTE_PGM_RSRC2:TGID_X_EN: 1
; COMPUTE_PGM_RSRC2:TGID_Y_EN: 0
; COMPUTE_PGM_RSRC2:TGID_Z_EN: 0
; COMPUTE_PGM_RSRC2:TIDIG_COMP_CNT: 0
; COMPUTE_PGM_RSRC3_GFX90A:ACCUM_OFFSET: 10
; COMPUTE_PGM_RSRC3_GFX90A:TG_SPLIT: 0
	.section	.text._ZN9rocsparseL30bsrgemm_fill_block_per_row_2x2ILj256ELj16ELj512ELj137ElidEEv20rocsparse_direction_T4_S2_PKS2_S4_NS_24const_host_device_scalarIT5_EEPKT3_S4_PKS6_SA_S4_SC_S7_SA_S4_SC_SA_PS2_PS6_21rocsparse_index_base_SF_SF_SF_bbb,"axG",@progbits,_ZN9rocsparseL30bsrgemm_fill_block_per_row_2x2ILj256ELj16ELj512ELj137ElidEEv20rocsparse_direction_T4_S2_PKS2_S4_NS_24const_host_device_scalarIT5_EEPKT3_S4_PKS6_SA_S4_SC_S7_SA_S4_SC_SA_PS2_PS6_21rocsparse_index_base_SF_SF_SF_bbb,comdat
	.globl	_ZN9rocsparseL30bsrgemm_fill_block_per_row_2x2ILj256ELj16ELj512ELj137ElidEEv20rocsparse_direction_T4_S2_PKS2_S4_NS_24const_host_device_scalarIT5_EEPKT3_S4_PKS6_SA_S4_SC_S7_SA_S4_SC_SA_PS2_PS6_21rocsparse_index_base_SF_SF_SF_bbb ; -- Begin function _ZN9rocsparseL30bsrgemm_fill_block_per_row_2x2ILj256ELj16ELj512ELj137ElidEEv20rocsparse_direction_T4_S2_PKS2_S4_NS_24const_host_device_scalarIT5_EEPKT3_S4_PKS6_SA_S4_SC_S7_SA_S4_SC_SA_PS2_PS6_21rocsparse_index_base_SF_SF_SF_bbb
	.p2align	8
	.type	_ZN9rocsparseL30bsrgemm_fill_block_per_row_2x2ILj256ELj16ELj512ELj137ElidEEv20rocsparse_direction_T4_S2_PKS2_S4_NS_24const_host_device_scalarIT5_EEPKT3_S4_PKS6_SA_S4_SC_S7_SA_S4_SC_SA_PS2_PS6_21rocsparse_index_base_SF_SF_SF_bbb,@function
_ZN9rocsparseL30bsrgemm_fill_block_per_row_2x2ILj256ELj16ELj512ELj137ElidEEv20rocsparse_direction_T4_S2_PKS2_S4_NS_24const_host_device_scalarIT5_EEPKT3_S4_PKS6_SA_S4_SC_S7_SA_S4_SC_SA_PS2_PS6_21rocsparse_index_base_SF_SF_SF_bbb: ; @_ZN9rocsparseL30bsrgemm_fill_block_per_row_2x2ILj256ELj16ELj512ELj137ElidEEv20rocsparse_direction_T4_S2_PKS2_S4_NS_24const_host_device_scalarIT5_EEPKT3_S4_PKS6_SA_S4_SC_S7_SA_S4_SC_SA_PS2_PS6_21rocsparse_index_base_SF_SF_SF_bbb
; %bb.0:
	s_load_dword s7, s[4:5], 0xa0
	s_load_dwordx2 s[2:3], s[4:5], 0x20
	s_load_dwordx2 s[0:1], s[4:5], 0x58
	s_waitcnt lgkmcnt(0)
	s_and_b32 s10, 1, s7
	s_bitcmp1_b32 s7, 16
	s_cselect_b64 s[8:9], -1, 0
	s_cmp_eq_u32 s10, 1
	s_cselect_b64 s[34:35], -1, 0
	s_and_b64 s[10:11], s[34:35], exec
	s_cselect_b32 s11, s3, 0
	s_cselect_b32 s10, s2, 0
	s_xor_b64 s[12:13], s[34:35], -1
	s_or_b64 s[12:13], s[12:13], s[8:9]
	s_and_b64 vcc, exec, s[12:13]
	v_pk_mov_b32 v[4:5], s[10:11], s[10:11] op_sel:[0,1]
	s_cbranch_vccnz .LBB193_2
; %bb.1:
	v_pk_mov_b32 v[2:3], s[2:3], s[2:3] op_sel:[0,1]
	flat_load_dwordx2 v[4:5], v[2:3]
.LBB193_2:
	s_bitcmp1_b32 s7, 8
	s_load_dwordx4 s[24:27], s[4:5], 0x90
	s_cselect_b64 s[2:3], -1, 0
	s_and_b64 s[10:11], s[2:3], exec
	s_cselect_b32 s11, s1, 0
	s_cselect_b32 s10, s0, 0
	s_xor_b64 s[12:13], s[2:3], -1
	s_or_b64 s[8:9], s[12:13], s[8:9]
	s_and_b64 vcc, exec, s[8:9]
	v_pk_mov_b32 v[2:3], s[10:11], s[10:11] op_sel:[0,1]
	s_cbranch_vccnz .LBB193_4
; %bb.3:
	v_pk_mov_b32 v[2:3], s[0:1], s[0:1] op_sel:[0,1]
	flat_load_dwordx2 v[2:3], v[2:3]
.LBB193_4:
	s_load_dwordx4 s[28:31], s[4:5], 0x80
	s_load_dwordx8 s[8:15], s[4:5], 0x60
	s_load_dwordx4 s[36:39], s[4:5], 0x48
	s_load_dwordx8 s[16:23], s[4:5], 0x28
	s_load_dwordx4 s[40:43], s[4:5], 0x10
	s_load_dword s33, s[4:5], 0x8
	s_movk_i32 s0, 0x200
	v_cmp_gt_u32_e64 s[0:1], s0, v0
	s_and_saveexec_b64 s[44:45], s[0:1]
	s_cbranch_execz .LBB193_11
; %bb.5:
	s_mov_b32 s7, 0
	v_lshl_add_u32 v1, v0, 2, 0
	s_mov_b64 s[46:47], 0
	s_branch .LBB193_7
.LBB193_6:                              ;   in Loop: Header=BB193_7 Depth=1
	s_or_b64 exec, exec, s[50:51]
	s_add_i32 s7, s7, 2
	v_cmp_eq_u32_e64 s[48:49], 2, s7
	s_or_b64 s[46:47], s[48:49], s[46:47]
	v_add_u32_e32 v1, 0x800, v1
	s_andn2_b64 exec, exec, s[46:47]
	s_cbranch_execz .LBB193_11
.LBB193_7:                              ; =>This Inner Loop Header: Depth=1
	s_or_b32 s48, s7, 1
	v_cmp_le_u32_e64 s[48:49], s48, 1
	v_cmp_le_u32_e64 s[52:53], s7, 1
	s_and_saveexec_b64 s[50:51], s[52:53]
	s_cbranch_execz .LBB193_9
; %bb.8:                                ;   in Loop: Header=BB193_7 Depth=1
	s_waitcnt lgkmcnt(0)
	v_mov_b32_e32 v6, s33
	ds_write_b32 v1, v6
.LBB193_9:                              ;   in Loop: Header=BB193_7 Depth=1
	s_or_b64 exec, exec, s[50:51]
	s_and_saveexec_b64 s[50:51], s[48:49]
	s_cbranch_execz .LBB193_6
; %bb.10:                               ;   in Loop: Header=BB193_7 Depth=1
	s_waitcnt lgkmcnt(0)
	v_mov_b32_e32 v6, s33
	ds_write_b32 v1, v6 offset:1024
	s_branch .LBB193_6
.LBB193_11:
	s_or_b64 exec, exec, s[44:45]
	v_mov_b32_e32 v6, 0
	v_lshl_add_u32 v1, v0, 3, 0
	v_add_u32_e32 v1, 0x800, v1
	v_or_b32_e32 v8, 0xffffff00, v0
	s_mov_b64 s[44:45], 0
	v_mov_b32_e32 v7, v6
	s_movk_i32 s7, 0x6ff
.LBB193_12:                             ; =>This Inner Loop Header: Depth=1
	v_add_u32_e32 v8, 0x100, v8
	v_cmp_lt_u32_e32 vcc, s7, v8
	ds_write_b64 v1, v[6:7]
	s_or_b64 s[44:45], vcc, s[44:45]
	v_add_u32_e32 v1, 0x800, v1
	s_andn2_b64 exec, exec, s[44:45]
	s_cbranch_execnz .LBB193_12
; %bb.13:
	s_or_b64 exec, exec, s[44:45]
	s_waitcnt lgkmcnt(0)
	s_cmp_lg_u64 s[42:43], 0
	s_barrier
	s_cbranch_scc0 .LBB193_15
; %bb.14:
	s_load_dword s7, s[40:41], 0x0
	s_waitcnt lgkmcnt(0)
	s_add_i32 s6, s7, s6
	s_mov_b32 s7, 0
	s_lshl_b64 s[6:7], s[6:7], 2
	s_add_u32 s6, s42, s6
	s_addc_u32 s7, s43, s7
	s_load_dword s6, s[6:7], 0x0
.LBB193_15:
	s_nop 0
	s_load_dword s56, s[4:5], 0x0
	s_andn2_b64 vcc, exec, s[34:35]
	s_waitcnt lgkmcnt(0)
	s_ashr_i32 s7, s6, 31
	s_cbranch_vccnz .LBB193_71
; %bb.16:
	s_lshl_b64 s[4:5], s[6:7], 3
	s_add_u32 s4, s16, s4
	s_addc_u32 s5, s17, s5
	s_load_dwordx4 s[44:47], s[4:5], 0x0
	v_lshrrev_b32_e32 v1, 4, v0
	v_subrev_co_u32_e32 v1, vcc, s24, v1
	v_subb_co_u32_e64 v7, s[16:17], 0, 0, vcc
	s_waitcnt lgkmcnt(0)
	s_sub_u32 s4, s46, s24
	v_mov_b32_e32 v8, s45
	v_add_co_u32_e32 v6, vcc, s44, v1
	s_subb_u32 s5, s47, 0
	v_addc_co_u32_e32 v7, vcc, v8, v7, vcc
	s_mov_b32 s40, 0
	v_cmp_gt_i64_e32 vcc, s[4:5], v[6:7]
	s_and_saveexec_b64 s[16:17], vcc
	s_cbranch_execz .LBB193_70
; %bb.17:
	v_and_b32_e32 v1, 15, v0
	v_subrev_co_u32_e32 v1, vcc, s25, v1
	s_cmp_eq_u32 s56, 0
	v_subb_co_u32_e64 v31, s[34:35], 0, 0, vcc
	s_mov_b32 s57, s25
	s_cselect_b32 s58, 1, 2
	s_cselect_b32 s59, 2, 1
	s_mov_b64 s[34:35], 0
	v_mov_b32_e32 v32, s19
	v_mov_b32_e32 v33, s23
	;; [unrolled: 1-line block ×3, first 2 shown]
	s_movk_i32 s19, 0x89
	s_branch .LBB193_19
.LBB193_18:                             ;   in Loop: Header=BB193_19 Depth=1
	s_or_b64 exec, exec, s[40:41]
	v_add_co_u32_e32 v6, vcc, 16, v6
	v_addc_co_u32_e32 v7, vcc, 0, v7, vcc
	v_cmp_le_i64_e32 vcc, s[4:5], v[6:7]
	s_or_b64 s[34:35], vcc, s[34:35]
	s_andn2_b64 exec, exec, s[34:35]
	s_cbranch_execz .LBB193_70
.LBB193_19:                             ; =>This Loop Header: Depth=1
                                        ;     Child Loop BB193_22 Depth 2
                                        ;       Child Loop BB193_24 Depth 3
                                        ;       Child Loop BB193_36 Depth 3
	;; [unrolled: 1-line block ×4, first 2 shown]
	v_lshlrev_b64 v[12:13], 2, v[6:7]
	v_add_co_u32_e32 v8, vcc, s18, v12
	v_addc_co_u32_e32 v9, vcc, v32, v13, vcc
	global_load_dword v8, v[8:9], off
	s_waitcnt vmcnt(0)
	v_subrev_u32_e32 v8, s24, v8
	v_ashrrev_i32_e32 v9, 31, v8
	v_lshlrev_b64 v[8:9], 3, v[8:9]
	v_add_co_u32_e32 v8, vcc, s22, v8
	v_addc_co_u32_e32 v9, vcc, v33, v9, vcc
	global_load_dwordx4 v[14:17], v[8:9], off
	s_waitcnt vmcnt(0)
	v_subrev_co_u32_e32 v8, vcc, s57, v16
	v_subb_co_u32_e32 v9, vcc, v17, v34, vcc
	v_add_co_u32_e32 v10, vcc, v14, v1
	v_addc_co_u32_e32 v11, vcc, v15, v31, vcc
	v_cmp_lt_i64_e32 vcc, v[10:11], v[8:9]
	s_and_saveexec_b64 s[40:41], vcc
	s_cbranch_execz .LBB193_18
; %bb.20:                               ;   in Loop: Header=BB193_19 Depth=1
	v_lshlrev_b64 v[16:17], 5, v[6:7]
	v_or_b32_e32 v15, 0, v13
	v_or_b32_e32 v14, s58, v12
	;; [unrolled: 1-line block ×4, first 2 shown]
	v_mov_b32_e32 v18, s21
	v_add_co_u32_e32 v16, vcc, s20, v16
	v_addc_co_u32_e32 v17, vcc, v18, v17, vcc
	v_lshlrev_b64 v[12:13], 3, v[12:13]
	v_add_co_u32_e32 v12, vcc, s20, v12
	v_addc_co_u32_e32 v13, vcc, v18, v13, vcc
	v_lshlrev_b64 v[14:15], 3, v[14:15]
	v_add_co_u32_e32 v14, vcc, s20, v14
	v_addc_co_u32_e32 v15, vcc, v18, v15, vcc
	global_load_dwordx2 v[18:19], v[16:17], off offset:24
	global_load_dwordx2 v[20:21], v[12:13], off
	global_load_dwordx2 v[22:23], v[14:15], off
	;; [unrolled: 1-line block ×3, first 2 shown]
	s_mov_b64 s[42:43], 0
	s_waitcnt vmcnt(3)
	v_mul_f64 v[12:13], v[4:5], v[18:19]
	s_waitcnt vmcnt(2)
	v_mul_f64 v[14:15], v[4:5], v[20:21]
	s_waitcnt vmcnt(1)
	v_mul_f64 v[16:17], v[4:5], v[22:23]
	s_waitcnt vmcnt(0)
	v_mul_f64 v[18:19], v[4:5], v[24:25]
	s_branch .LBB193_22
.LBB193_21:                             ;   in Loop: Header=BB193_22 Depth=2
	s_or_b64 exec, exec, s[44:45]
	v_add_co_u32_e32 v10, vcc, 16, v10
	v_addc_co_u32_e32 v11, vcc, 0, v11, vcc
	v_cmp_ge_i64_e32 vcc, v[10:11], v[8:9]
	s_or_b64 s[42:43], vcc, s[42:43]
	s_andn2_b64 exec, exec, s[42:43]
	s_cbranch_execz .LBB193_18
.LBB193_22:                             ;   Parent Loop BB193_19 Depth=1
                                        ; =>  This Loop Header: Depth=2
                                        ;       Child Loop BB193_24 Depth 3
                                        ;       Child Loop BB193_36 Depth 3
	;; [unrolled: 1-line block ×4, first 2 shown]
	v_lshlrev_b64 v[20:21], 2, v[10:11]
	v_mov_b32_e32 v23, s37
	v_add_co_u32_e32 v22, vcc, s36, v20
	v_addc_co_u32_e32 v23, vcc, v23, v21, vcc
	v_lshlrev_b64 v[24:25], 5, v[10:11]
	global_load_dword v30, v[22:23], off
	v_or_b32_e32 v23, 0, v21
	v_or_b32_e32 v22, s58, v20
	;; [unrolled: 1-line block ×4, first 2 shown]
	v_mov_b32_e32 v35, s39
	v_add_co_u32_e32 v28, vcc, s38, v24
	v_addc_co_u32_e32 v29, vcc, v35, v25, vcc
	v_lshlrev_b64 v[20:21], 3, v[20:21]
	v_add_co_u32_e32 v20, vcc, s38, v20
	v_lshlrev_b64 v[22:23], 3, v[22:23]
	v_addc_co_u32_e32 v21, vcc, v35, v21, vcc
	global_load_dwordx2 v[24:25], v[28:29], off
	global_load_dwordx2 v[26:27], v[20:21], off
	v_add_co_u32_e32 v20, vcc, s38, v22
	v_addc_co_u32_e32 v21, vcc, v35, v23, vcc
	global_load_dwordx2 v[20:21], v[20:21], off
	s_nop 0
	global_load_dwordx2 v[22:23], v[28:29], off offset:24
	s_mov_b64 s[44:45], 0
	s_waitcnt vmcnt(4)
	v_subrev_u32_e32 v35, s25, v30
	v_mul_lo_u32 v30, v35, s19
	v_and_b32_e32 v36, 0x1ff, v30
	v_mov_b32_e32 v37, v36
	s_waitcnt vmcnt(2)
	v_mul_f64 v[28:29], v[16:17], v[26:27]
	v_fmac_f64_e32 v[28:29], v[18:19], v[24:25]
	s_branch .LBB193_24
.LBB193_23:                             ;   in Loop: Header=BB193_24 Depth=3
	s_or_b64 exec, exec, s[46:47]
	s_xor_b64 s[46:47], s[48:49], -1
	s_and_b64 s[46:47], exec, s[46:47]
	s_or_b64 s[44:45], s[46:47], s[44:45]
	s_andn2_b64 exec, exec, s[44:45]
	s_cbranch_execz .LBB193_34
.LBB193_24:                             ;   Parent Loop BB193_19 Depth=1
                                        ;     Parent Loop BB193_22 Depth=2
                                        ; =>    This Inner Loop Header: Depth=3
	v_lshl_add_u32 v30, v37, 2, 0
	ds_read_b32 v38, v30
                                        ; implicit-def: $sgpr48_sgpr49
	s_waitcnt lgkmcnt(0)
	v_cmp_ne_u32_e32 vcc, v38, v35
	s_and_saveexec_b64 s[46:47], vcc
	s_xor_b64 s[46:47], exec, s[46:47]
	s_cbranch_execz .LBB193_32
; %bb.25:                               ;   in Loop: Header=BB193_24 Depth=3
	v_cmp_ne_u32_e32 vcc, s33, v38
                                        ; implicit-def: $sgpr48_sgpr49
	s_and_saveexec_b64 s[50:51], vcc
	s_xor_b64 s[50:51], exec, s[50:51]
; %bb.26:                               ;   in Loop: Header=BB193_24 Depth=3
	v_add_u32_e32 v30, 1, v37
	v_and_b32_e32 v37, 0x1ff, v30
	s_mov_b64 s[48:49], -1
                                        ; implicit-def: $vgpr30
; %bb.27:                               ;   in Loop: Header=BB193_24 Depth=3
	s_andn2_saveexec_b64 s[50:51], s[50:51]
	s_cbranch_execz .LBB193_31
; %bb.28:                               ;   in Loop: Header=BB193_24 Depth=3
	v_mov_b32_e32 v38, s33
	ds_cmpst_rtn_b32 v38, v30, v38, v35
	s_mov_b64 s[52:53], -1
	s_waitcnt lgkmcnt(0)
	v_cmp_eq_u32_e32 vcc, s33, v38
	s_and_saveexec_b64 s[54:55], vcc
	s_cbranch_execz .LBB193_30
; %bb.29:                               ;   in Loop: Header=BB193_24 Depth=3
	v_mad_u64_u32 v[38:39], s[52:53], v37, 28, v[30:31]
	ds_add_f64 v38, v[28:29] offset:2048
	s_xor_b64 s[52:53], exec, -1
.LBB193_30:                             ;   in Loop: Header=BB193_24 Depth=3
	s_or_b64 exec, exec, s[54:55]
	s_andn2_b64 s[48:49], s[48:49], exec
	s_and_b64 s[52:53], s[52:53], exec
	s_or_b64 s[48:49], s[48:49], s[52:53]
.LBB193_31:                             ;   in Loop: Header=BB193_24 Depth=3
	s_or_b64 exec, exec, s[50:51]
	s_and_b64 s[48:49], s[48:49], exec
                                        ; implicit-def: $vgpr30
.LBB193_32:                             ;   in Loop: Header=BB193_24 Depth=3
	s_andn2_saveexec_b64 s[46:47], s[46:47]
	s_cbranch_execz .LBB193_23
; %bb.33:                               ;   in Loop: Header=BB193_24 Depth=3
	v_mad_u64_u32 v[38:39], s[50:51], v37, 28, v[30:31]
	ds_add_f64 v38, v[28:29] offset:2048
	s_andn2_b64 s[48:49], s[48:49], exec
	s_branch .LBB193_23
.LBB193_34:                             ;   in Loop: Header=BB193_22 Depth=2
	s_or_b64 exec, exec, s[44:45]
	s_waitcnt vmcnt(0)
	v_mul_f64 v[28:29], v[16:17], v[22:23]
	v_fmac_f64_e32 v[28:29], v[18:19], v[20:21]
	s_mov_b64 s[44:45], 0
	v_mov_b32_e32 v37, v36
	s_branch .LBB193_36
.LBB193_35:                             ;   in Loop: Header=BB193_36 Depth=3
	s_or_b64 exec, exec, s[46:47]
	s_xor_b64 s[46:47], s[48:49], -1
	s_and_b64 s[46:47], exec, s[46:47]
	s_or_b64 s[44:45], s[46:47], s[44:45]
	s_andn2_b64 exec, exec, s[44:45]
	s_cbranch_execz .LBB193_46
.LBB193_36:                             ;   Parent Loop BB193_19 Depth=1
                                        ;     Parent Loop BB193_22 Depth=2
                                        ; =>    This Inner Loop Header: Depth=3
	v_lshl_add_u32 v30, v37, 2, 0
	ds_read_b32 v38, v30
                                        ; implicit-def: $sgpr48_sgpr49
	s_waitcnt lgkmcnt(0)
	v_cmp_ne_u32_e32 vcc, v38, v35
	s_and_saveexec_b64 s[46:47], vcc
	s_xor_b64 s[46:47], exec, s[46:47]
	s_cbranch_execz .LBB193_44
; %bb.37:                               ;   in Loop: Header=BB193_36 Depth=3
	v_cmp_ne_u32_e32 vcc, s33, v38
                                        ; implicit-def: $sgpr48_sgpr49
	s_and_saveexec_b64 s[50:51], vcc
	s_xor_b64 s[50:51], exec, s[50:51]
; %bb.38:                               ;   in Loop: Header=BB193_36 Depth=3
	v_add_u32_e32 v30, 1, v37
	v_and_b32_e32 v37, 0x1ff, v30
	s_mov_b64 s[48:49], -1
                                        ; implicit-def: $vgpr30
; %bb.39:                               ;   in Loop: Header=BB193_36 Depth=3
	s_andn2_saveexec_b64 s[50:51], s[50:51]
	s_cbranch_execz .LBB193_43
; %bb.40:                               ;   in Loop: Header=BB193_36 Depth=3
	v_mov_b32_e32 v38, s33
	ds_cmpst_rtn_b32 v38, v30, v38, v35
	s_mov_b64 s[52:53], -1
	s_waitcnt lgkmcnt(0)
	v_cmp_eq_u32_e32 vcc, s33, v38
	s_and_saveexec_b64 s[54:55], vcc
	s_cbranch_execz .LBB193_42
; %bb.41:                               ;   in Loop: Header=BB193_36 Depth=3
	v_mad_u64_u32 v[38:39], s[52:53], v37, 28, v[30:31]
	ds_add_f64 v38, v[28:29] offset:2056
	s_xor_b64 s[52:53], exec, -1
.LBB193_42:                             ;   in Loop: Header=BB193_36 Depth=3
	s_or_b64 exec, exec, s[54:55]
	s_andn2_b64 s[48:49], s[48:49], exec
	s_and_b64 s[52:53], s[52:53], exec
	s_or_b64 s[48:49], s[48:49], s[52:53]
.LBB193_43:                             ;   in Loop: Header=BB193_36 Depth=3
	s_or_b64 exec, exec, s[50:51]
	s_and_b64 s[48:49], s[48:49], exec
                                        ; implicit-def: $vgpr30
.LBB193_44:                             ;   in Loop: Header=BB193_36 Depth=3
	s_andn2_saveexec_b64 s[46:47], s[46:47]
	s_cbranch_execz .LBB193_35
; %bb.45:                               ;   in Loop: Header=BB193_36 Depth=3
	v_mad_u64_u32 v[38:39], s[50:51], v37, 28, v[30:31]
	ds_add_f64 v38, v[28:29] offset:2056
	s_andn2_b64 s[48:49], s[48:49], exec
	s_branch .LBB193_35
.LBB193_46:                             ;   in Loop: Header=BB193_22 Depth=2
	s_or_b64 exec, exec, s[44:45]
	v_mul_f64 v[26:27], v[12:13], v[26:27]
	v_fmac_f64_e32 v[26:27], v[14:15], v[24:25]
	s_mov_b64 s[44:45], 0
	v_mov_b32_e32 v25, v36
	s_branch .LBB193_48
.LBB193_47:                             ;   in Loop: Header=BB193_48 Depth=3
	s_or_b64 exec, exec, s[46:47]
	s_xor_b64 s[46:47], s[48:49], -1
	s_and_b64 s[46:47], exec, s[46:47]
	s_or_b64 s[44:45], s[46:47], s[44:45]
	s_andn2_b64 exec, exec, s[44:45]
	s_cbranch_execz .LBB193_58
.LBB193_48:                             ;   Parent Loop BB193_19 Depth=1
                                        ;     Parent Loop BB193_22 Depth=2
                                        ; =>    This Inner Loop Header: Depth=3
	v_lshl_add_u32 v24, v25, 2, 0
	ds_read_b32 v28, v24
                                        ; implicit-def: $sgpr48_sgpr49
	s_waitcnt lgkmcnt(0)
	v_cmp_ne_u32_e32 vcc, v28, v35
	s_and_saveexec_b64 s[46:47], vcc
	s_xor_b64 s[46:47], exec, s[46:47]
	s_cbranch_execz .LBB193_56
; %bb.49:                               ;   in Loop: Header=BB193_48 Depth=3
	v_cmp_ne_u32_e32 vcc, s33, v28
                                        ; implicit-def: $sgpr48_sgpr49
	s_and_saveexec_b64 s[50:51], vcc
	s_xor_b64 s[50:51], exec, s[50:51]
; %bb.50:                               ;   in Loop: Header=BB193_48 Depth=3
	v_add_u32_e32 v24, 1, v25
	v_and_b32_e32 v25, 0x1ff, v24
	s_mov_b64 s[48:49], -1
                                        ; implicit-def: $vgpr24
; %bb.51:                               ;   in Loop: Header=BB193_48 Depth=3
	s_andn2_saveexec_b64 s[50:51], s[50:51]
	s_cbranch_execz .LBB193_55
; %bb.52:                               ;   in Loop: Header=BB193_48 Depth=3
	v_mov_b32_e32 v28, s33
	ds_cmpst_rtn_b32 v28, v24, v28, v35
	s_mov_b64 s[52:53], -1
	s_waitcnt lgkmcnt(0)
	v_cmp_eq_u32_e32 vcc, s33, v28
	s_and_saveexec_b64 s[54:55], vcc
	s_cbranch_execz .LBB193_54
; %bb.53:                               ;   in Loop: Header=BB193_48 Depth=3
	v_mad_u64_u32 v[28:29], s[52:53], v25, 28, v[24:25]
	ds_add_f64 v28, v[26:27] offset:2064
	s_xor_b64 s[52:53], exec, -1
.LBB193_54:                             ;   in Loop: Header=BB193_48 Depth=3
	s_or_b64 exec, exec, s[54:55]
	s_andn2_b64 s[48:49], s[48:49], exec
	s_and_b64 s[52:53], s[52:53], exec
	s_or_b64 s[48:49], s[48:49], s[52:53]
.LBB193_55:                             ;   in Loop: Header=BB193_48 Depth=3
	s_or_b64 exec, exec, s[50:51]
	s_and_b64 s[48:49], s[48:49], exec
                                        ; implicit-def: $vgpr24
.LBB193_56:                             ;   in Loop: Header=BB193_48 Depth=3
	s_andn2_saveexec_b64 s[46:47], s[46:47]
	s_cbranch_execz .LBB193_47
; %bb.57:                               ;   in Loop: Header=BB193_48 Depth=3
	v_mad_u64_u32 v[28:29], s[50:51], v25, 28, v[24:25]
	ds_add_f64 v28, v[26:27] offset:2064
	s_andn2_b64 s[48:49], s[48:49], exec
	s_branch .LBB193_47
.LBB193_58:                             ;   in Loop: Header=BB193_22 Depth=2
	s_or_b64 exec, exec, s[44:45]
	v_mul_f64 v[22:23], v[12:13], v[22:23]
	v_fmac_f64_e32 v[22:23], v[14:15], v[20:21]
	s_mov_b64 s[44:45], 0
	s_branch .LBB193_60
.LBB193_59:                             ;   in Loop: Header=BB193_60 Depth=3
	s_or_b64 exec, exec, s[46:47]
	s_xor_b64 s[46:47], s[48:49], -1
	s_and_b64 s[46:47], exec, s[46:47]
	s_or_b64 s[44:45], s[46:47], s[44:45]
	s_andn2_b64 exec, exec, s[44:45]
	s_cbranch_execz .LBB193_21
.LBB193_60:                             ;   Parent Loop BB193_19 Depth=1
                                        ;     Parent Loop BB193_22 Depth=2
                                        ; =>    This Inner Loop Header: Depth=3
	v_lshl_add_u32 v20, v36, 2, 0
	ds_read_b32 v21, v20
                                        ; implicit-def: $sgpr48_sgpr49
	s_waitcnt lgkmcnt(0)
	v_cmp_ne_u32_e32 vcc, v21, v35
	s_and_saveexec_b64 s[46:47], vcc
	s_xor_b64 s[46:47], exec, s[46:47]
	s_cbranch_execz .LBB193_68
; %bb.61:                               ;   in Loop: Header=BB193_60 Depth=3
	v_cmp_ne_u32_e32 vcc, s33, v21
                                        ; implicit-def: $sgpr48_sgpr49
	s_and_saveexec_b64 s[50:51], vcc
	s_xor_b64 s[50:51], exec, s[50:51]
; %bb.62:                               ;   in Loop: Header=BB193_60 Depth=3
	v_add_u32_e32 v20, 1, v36
	v_and_b32_e32 v36, 0x1ff, v20
	s_mov_b64 s[48:49], -1
                                        ; implicit-def: $vgpr20
; %bb.63:                               ;   in Loop: Header=BB193_60 Depth=3
	s_andn2_saveexec_b64 s[50:51], s[50:51]
	s_cbranch_execz .LBB193_67
; %bb.64:                               ;   in Loop: Header=BB193_60 Depth=3
	v_mov_b32_e32 v21, s33
	ds_cmpst_rtn_b32 v21, v20, v21, v35
	s_mov_b64 s[52:53], -1
	s_waitcnt lgkmcnt(0)
	v_cmp_eq_u32_e32 vcc, s33, v21
	s_and_saveexec_b64 s[54:55], vcc
	s_cbranch_execz .LBB193_66
; %bb.65:                               ;   in Loop: Header=BB193_60 Depth=3
	v_mad_u64_u32 v[20:21], s[52:53], v36, 28, v[20:21]
	ds_add_f64 v20, v[22:23] offset:2072
	s_xor_b64 s[52:53], exec, -1
.LBB193_66:                             ;   in Loop: Header=BB193_60 Depth=3
	s_or_b64 exec, exec, s[54:55]
	s_andn2_b64 s[48:49], s[48:49], exec
	s_and_b64 s[52:53], s[52:53], exec
	s_or_b64 s[48:49], s[48:49], s[52:53]
.LBB193_67:                             ;   in Loop: Header=BB193_60 Depth=3
	s_or_b64 exec, exec, s[50:51]
	s_and_b64 s[48:49], s[48:49], exec
                                        ; implicit-def: $vgpr20
.LBB193_68:                             ;   in Loop: Header=BB193_60 Depth=3
	s_andn2_saveexec_b64 s[46:47], s[46:47]
	s_cbranch_execz .LBB193_59
; %bb.69:                               ;   in Loop: Header=BB193_60 Depth=3
	v_mad_u64_u32 v[20:21], s[50:51], v36, 28, v[20:21]
	ds_add_f64 v20, v[22:23] offset:2072
	s_andn2_b64 s[48:49], s[48:49], exec
	s_branch .LBB193_59
.LBB193_70:
	s_or_b64 exec, exec, s[16:17]
.LBB193_71:
	s_andn2_b64 vcc, exec, s[2:3]
	s_waitcnt lgkmcnt(0)
	s_barrier
	s_cbranch_vccnz .LBB193_124
; %bb.72:
	s_lshl_b64 s[2:3], s[6:7], 3
	s_add_u32 s2, s8, s2
	s_addc_u32 s3, s9, s3
	s_load_dwordx4 s[16:19], s[2:3], 0x0
	v_subrev_co_u32_e32 v1, vcc, s27, v0
	s_waitcnt vmcnt(0)
	v_subb_co_u32_e64 v5, s[2:3], 0, 0, vcc
	s_waitcnt lgkmcnt(0)
	s_sub_u32 s2, s18, s27
	v_mov_b32_e32 v6, s17
	v_add_co_u32_e32 v4, vcc, s16, v1
	s_subb_u32 s3, s19, 0
	v_addc_co_u32_e32 v5, vcc, v6, v5, vcc
	v_cmp_gt_i64_e32 vcc, s[2:3], v[4:5]
	s_and_saveexec_b64 s[4:5], vcc
	s_cbranch_execz .LBB193_123
; %bb.73:
	s_cmp_eq_u32 s56, 0
	s_cselect_b32 s36, 1, 2
	s_cselect_b32 s37, 2, 1
	s_mov_b64 s[8:9], 0
	v_mov_b32_e32 v1, s13
	v_mov_b32_e32 v15, s11
	s_movk_i32 s11, 0x89
	s_branch .LBB193_75
.LBB193_74:                             ;   in Loop: Header=BB193_75 Depth=1
	s_or_b64 exec, exec, s[16:17]
	v_add_co_u32_e32 v4, vcc, 0x100, v4
	v_addc_co_u32_e32 v5, vcc, 0, v5, vcc
	v_cmp_le_i64_e32 vcc, s[2:3], v[4:5]
	s_or_b64 s[8:9], vcc, s[8:9]
	s_andn2_b64 exec, exec, s[8:9]
	s_cbranch_execz .LBB193_123
.LBB193_75:                             ; =>This Loop Header: Depth=1
                                        ;     Child Loop BB193_77 Depth 2
                                        ;     Child Loop BB193_89 Depth 2
	;; [unrolled: 1-line block ×4, first 2 shown]
	v_lshlrev_b64 v[6:7], 2, v[4:5]
	v_lshlrev_b64 v[12:13], 5, v[4:5]
	v_or_b32_e32 v9, 0, v7
	v_or_b32_e32 v8, s36, v6
	v_add_co_u32_e32 v12, vcc, s12, v12
	v_addc_co_u32_e32 v13, vcc, v1, v13, vcc
	v_lshlrev_b64 v[8:9], 3, v[8:9]
	v_add_co_u32_e32 v18, vcc, s12, v8
	v_addc_co_u32_e32 v19, vcc, v1, v9, vcc
	v_or_b32_e32 v10, s37, v6
	v_add_co_u32_e32 v6, vcc, s10, v6
	v_or_b32_e32 v11, 0, v7
	v_addc_co_u32_e32 v7, vcc, v15, v7, vcc
	global_load_dwordx2 v[16:17], v[12:13], off
	v_lshlrev_b64 v[8:9], 3, v[10:11]
	global_load_dword v14, v[6:7], off
	v_add_co_u32_e32 v20, vcc, s12, v8
	v_addc_co_u32_e32 v21, vcc, v1, v9, vcc
	global_load_dwordx2 v[8:9], v[20:21], off
	global_load_dwordx2 v[10:11], v[18:19], off
	global_load_dwordx2 v[6:7], v[12:13], off offset:24
	s_mov_b64 s[16:17], 0
	s_waitcnt vmcnt(4)
	v_mul_f64 v[12:13], v[2:3], v[16:17]
	s_waitcnt vmcnt(3)
	v_subrev_u32_e32 v16, s27, v14
	v_mul_lo_u32 v14, v16, s11
	v_and_b32_e32 v17, 0x1ff, v14
	v_mov_b32_e32 v18, v17
	s_branch .LBB193_77
.LBB193_76:                             ;   in Loop: Header=BB193_77 Depth=2
	s_or_b64 exec, exec, s[18:19]
	s_xor_b64 s[18:19], s[20:21], -1
	s_and_b64 s[18:19], exec, s[18:19]
	s_or_b64 s[16:17], s[18:19], s[16:17]
	s_andn2_b64 exec, exec, s[16:17]
	s_cbranch_execz .LBB193_87
.LBB193_77:                             ;   Parent Loop BB193_75 Depth=1
                                        ; =>  This Inner Loop Header: Depth=2
	v_lshl_add_u32 v14, v18, 2, 0
	ds_read_b32 v19, v14
                                        ; implicit-def: $sgpr20_sgpr21
	s_waitcnt lgkmcnt(0)
	v_cmp_ne_u32_e32 vcc, v19, v16
	s_and_saveexec_b64 s[18:19], vcc
	s_xor_b64 s[18:19], exec, s[18:19]
	s_cbranch_execz .LBB193_85
; %bb.78:                               ;   in Loop: Header=BB193_77 Depth=2
	v_cmp_ne_u32_e32 vcc, s33, v19
                                        ; implicit-def: $sgpr20_sgpr21
	s_and_saveexec_b64 s[22:23], vcc
	s_xor_b64 s[22:23], exec, s[22:23]
; %bb.79:                               ;   in Loop: Header=BB193_77 Depth=2
	v_add_u32_e32 v14, 1, v18
	v_and_b32_e32 v18, 0x1ff, v14
	s_mov_b64 s[20:21], -1
                                        ; implicit-def: $vgpr14
; %bb.80:                               ;   in Loop: Header=BB193_77 Depth=2
	s_andn2_saveexec_b64 s[22:23], s[22:23]
	s_cbranch_execz .LBB193_84
; %bb.81:                               ;   in Loop: Header=BB193_77 Depth=2
	v_mov_b32_e32 v19, s33
	ds_cmpst_rtn_b32 v19, v14, v19, v16
	s_mov_b64 s[24:25], -1
	s_waitcnt lgkmcnt(0)
	v_cmp_eq_u32_e32 vcc, s33, v19
	s_and_saveexec_b64 s[34:35], vcc
	s_cbranch_execz .LBB193_83
; %bb.82:                               ;   in Loop: Header=BB193_77 Depth=2
	v_mad_u64_u32 v[20:21], s[24:25], v18, 28, v[14:15]
	ds_add_f64 v20, v[12:13] offset:2048
	s_xor_b64 s[24:25], exec, -1
.LBB193_83:                             ;   in Loop: Header=BB193_77 Depth=2
	s_or_b64 exec, exec, s[34:35]
	s_andn2_b64 s[20:21], s[20:21], exec
	s_and_b64 s[24:25], s[24:25], exec
	s_or_b64 s[20:21], s[20:21], s[24:25]
.LBB193_84:                             ;   in Loop: Header=BB193_77 Depth=2
	s_or_b64 exec, exec, s[22:23]
	s_and_b64 s[20:21], s[20:21], exec
                                        ; implicit-def: $vgpr14
.LBB193_85:                             ;   in Loop: Header=BB193_77 Depth=2
	s_andn2_saveexec_b64 s[18:19], s[18:19]
	s_cbranch_execz .LBB193_76
; %bb.86:                               ;   in Loop: Header=BB193_77 Depth=2
	v_mad_u64_u32 v[20:21], s[22:23], v18, 28, v[14:15]
	ds_add_f64 v20, v[12:13] offset:2048
	s_andn2_b64 s[20:21], s[20:21], exec
	s_branch .LBB193_76
.LBB193_87:                             ;   in Loop: Header=BB193_75 Depth=1
	s_or_b64 exec, exec, s[16:17]
	s_waitcnt vmcnt(1)
	v_mul_f64 v[10:11], v[2:3], v[10:11]
	s_mov_b64 s[16:17], 0
	v_mov_b32_e32 v13, v17
	s_branch .LBB193_89
.LBB193_88:                             ;   in Loop: Header=BB193_89 Depth=2
	s_or_b64 exec, exec, s[18:19]
	s_xor_b64 s[18:19], s[20:21], -1
	s_and_b64 s[18:19], exec, s[18:19]
	s_or_b64 s[16:17], s[18:19], s[16:17]
	s_andn2_b64 exec, exec, s[16:17]
	s_cbranch_execz .LBB193_99
.LBB193_89:                             ;   Parent Loop BB193_75 Depth=1
                                        ; =>  This Inner Loop Header: Depth=2
	v_lshl_add_u32 v12, v13, 2, 0
	ds_read_b32 v14, v12
                                        ; implicit-def: $sgpr20_sgpr21
	s_waitcnt lgkmcnt(0)
	v_cmp_ne_u32_e32 vcc, v14, v16
	s_and_saveexec_b64 s[18:19], vcc
	s_xor_b64 s[18:19], exec, s[18:19]
	s_cbranch_execz .LBB193_97
; %bb.90:                               ;   in Loop: Header=BB193_89 Depth=2
	v_cmp_ne_u32_e32 vcc, s33, v14
                                        ; implicit-def: $sgpr20_sgpr21
	s_and_saveexec_b64 s[22:23], vcc
	s_xor_b64 s[22:23], exec, s[22:23]
; %bb.91:                               ;   in Loop: Header=BB193_89 Depth=2
	v_add_u32_e32 v12, 1, v13
	v_and_b32_e32 v13, 0x1ff, v12
	s_mov_b64 s[20:21], -1
                                        ; implicit-def: $vgpr12
; %bb.92:                               ;   in Loop: Header=BB193_89 Depth=2
	s_andn2_saveexec_b64 s[22:23], s[22:23]
	s_cbranch_execz .LBB193_96
; %bb.93:                               ;   in Loop: Header=BB193_89 Depth=2
	v_mov_b32_e32 v14, s33
	ds_cmpst_rtn_b32 v14, v12, v14, v16
	s_mov_b64 s[24:25], -1
	s_waitcnt lgkmcnt(0)
	v_cmp_eq_u32_e32 vcc, s33, v14
	s_and_saveexec_b64 s[34:35], vcc
	s_cbranch_execz .LBB193_95
; %bb.94:                               ;   in Loop: Header=BB193_89 Depth=2
	v_mad_u64_u32 v[18:19], s[24:25], v13, 28, v[12:13]
	ds_add_f64 v18, v[10:11] offset:2056
	s_xor_b64 s[24:25], exec, -1
.LBB193_95:                             ;   in Loop: Header=BB193_89 Depth=2
	s_or_b64 exec, exec, s[34:35]
	s_andn2_b64 s[20:21], s[20:21], exec
	s_and_b64 s[24:25], s[24:25], exec
	s_or_b64 s[20:21], s[20:21], s[24:25]
.LBB193_96:                             ;   in Loop: Header=BB193_89 Depth=2
	s_or_b64 exec, exec, s[22:23]
	s_and_b64 s[20:21], s[20:21], exec
                                        ; implicit-def: $vgpr12
.LBB193_97:                             ;   in Loop: Header=BB193_89 Depth=2
	s_andn2_saveexec_b64 s[18:19], s[18:19]
	s_cbranch_execz .LBB193_88
; %bb.98:                               ;   in Loop: Header=BB193_89 Depth=2
	v_mad_u64_u32 v[18:19], s[22:23], v13, 28, v[12:13]
	ds_add_f64 v18, v[10:11] offset:2056
	s_andn2_b64 s[20:21], s[20:21], exec
	s_branch .LBB193_88
.LBB193_99:                             ;   in Loop: Header=BB193_75 Depth=1
	s_or_b64 exec, exec, s[16:17]
	v_mul_f64 v[8:9], v[2:3], v[8:9]
	s_mov_b64 s[16:17], 0
	v_mov_b32_e32 v11, v17
	s_branch .LBB193_101
.LBB193_100:                            ;   in Loop: Header=BB193_101 Depth=2
	s_or_b64 exec, exec, s[18:19]
	s_xor_b64 s[18:19], s[20:21], -1
	s_and_b64 s[18:19], exec, s[18:19]
	s_or_b64 s[16:17], s[18:19], s[16:17]
	s_andn2_b64 exec, exec, s[16:17]
	s_cbranch_execz .LBB193_111
.LBB193_101:                            ;   Parent Loop BB193_75 Depth=1
                                        ; =>  This Inner Loop Header: Depth=2
	v_lshl_add_u32 v10, v11, 2, 0
	ds_read_b32 v12, v10
                                        ; implicit-def: $sgpr20_sgpr21
	s_waitcnt lgkmcnt(0)
	v_cmp_ne_u32_e32 vcc, v12, v16
	s_and_saveexec_b64 s[18:19], vcc
	s_xor_b64 s[18:19], exec, s[18:19]
	s_cbranch_execz .LBB193_109
; %bb.102:                              ;   in Loop: Header=BB193_101 Depth=2
	v_cmp_ne_u32_e32 vcc, s33, v12
                                        ; implicit-def: $sgpr20_sgpr21
	s_and_saveexec_b64 s[22:23], vcc
	s_xor_b64 s[22:23], exec, s[22:23]
; %bb.103:                              ;   in Loop: Header=BB193_101 Depth=2
	v_add_u32_e32 v10, 1, v11
	v_and_b32_e32 v11, 0x1ff, v10
	s_mov_b64 s[20:21], -1
                                        ; implicit-def: $vgpr10
; %bb.104:                              ;   in Loop: Header=BB193_101 Depth=2
	s_andn2_saveexec_b64 s[22:23], s[22:23]
	s_cbranch_execz .LBB193_108
; %bb.105:                              ;   in Loop: Header=BB193_101 Depth=2
	v_mov_b32_e32 v12, s33
	ds_cmpst_rtn_b32 v12, v10, v12, v16
	s_mov_b64 s[24:25], -1
	s_waitcnt lgkmcnt(0)
	v_cmp_eq_u32_e32 vcc, s33, v12
	s_and_saveexec_b64 s[34:35], vcc
	s_cbranch_execz .LBB193_107
; %bb.106:                              ;   in Loop: Header=BB193_101 Depth=2
	v_mad_u64_u32 v[12:13], s[24:25], v11, 28, v[10:11]
	ds_add_f64 v12, v[8:9] offset:2064
	s_xor_b64 s[24:25], exec, -1
.LBB193_107:                            ;   in Loop: Header=BB193_101 Depth=2
	s_or_b64 exec, exec, s[34:35]
	s_andn2_b64 s[20:21], s[20:21], exec
	s_and_b64 s[24:25], s[24:25], exec
	s_or_b64 s[20:21], s[20:21], s[24:25]
.LBB193_108:                            ;   in Loop: Header=BB193_101 Depth=2
	s_or_b64 exec, exec, s[22:23]
	s_and_b64 s[20:21], s[20:21], exec
                                        ; implicit-def: $vgpr10
.LBB193_109:                            ;   in Loop: Header=BB193_101 Depth=2
	s_andn2_saveexec_b64 s[18:19], s[18:19]
	s_cbranch_execz .LBB193_100
; %bb.110:                              ;   in Loop: Header=BB193_101 Depth=2
	v_mad_u64_u32 v[12:13], s[22:23], v11, 28, v[10:11]
	ds_add_f64 v12, v[8:9] offset:2064
	s_andn2_b64 s[20:21], s[20:21], exec
	s_branch .LBB193_100
.LBB193_111:                            ;   in Loop: Header=BB193_75 Depth=1
	s_or_b64 exec, exec, s[16:17]
	s_waitcnt vmcnt(0)
	v_mul_f64 v[6:7], v[2:3], v[6:7]
	s_mov_b64 s[16:17], 0
	s_branch .LBB193_113
.LBB193_112:                            ;   in Loop: Header=BB193_113 Depth=2
	s_or_b64 exec, exec, s[18:19]
	s_xor_b64 s[18:19], s[20:21], -1
	s_and_b64 s[18:19], exec, s[18:19]
	s_or_b64 s[16:17], s[18:19], s[16:17]
	s_andn2_b64 exec, exec, s[16:17]
	s_cbranch_execz .LBB193_74
.LBB193_113:                            ;   Parent Loop BB193_75 Depth=1
                                        ; =>  This Inner Loop Header: Depth=2
	v_lshl_add_u32 v8, v17, 2, 0
	ds_read_b32 v9, v8
                                        ; implicit-def: $sgpr20_sgpr21
	s_waitcnt lgkmcnt(0)
	v_cmp_ne_u32_e32 vcc, v9, v16
	s_and_saveexec_b64 s[18:19], vcc
	s_xor_b64 s[18:19], exec, s[18:19]
	s_cbranch_execz .LBB193_121
; %bb.114:                              ;   in Loop: Header=BB193_113 Depth=2
	v_cmp_ne_u32_e32 vcc, s33, v9
                                        ; implicit-def: $sgpr20_sgpr21
	s_and_saveexec_b64 s[22:23], vcc
	s_xor_b64 s[22:23], exec, s[22:23]
; %bb.115:                              ;   in Loop: Header=BB193_113 Depth=2
	v_add_u32_e32 v8, 1, v17
	v_and_b32_e32 v17, 0x1ff, v8
	s_mov_b64 s[20:21], -1
                                        ; implicit-def: $vgpr8
; %bb.116:                              ;   in Loop: Header=BB193_113 Depth=2
	s_andn2_saveexec_b64 s[22:23], s[22:23]
	s_cbranch_execz .LBB193_120
; %bb.117:                              ;   in Loop: Header=BB193_113 Depth=2
	v_mov_b32_e32 v9, s33
	ds_cmpst_rtn_b32 v9, v8, v9, v16
	s_mov_b64 s[24:25], -1
	s_waitcnt lgkmcnt(0)
	v_cmp_eq_u32_e32 vcc, s33, v9
	s_and_saveexec_b64 s[34:35], vcc
	s_cbranch_execz .LBB193_119
; %bb.118:                              ;   in Loop: Header=BB193_113 Depth=2
	v_mad_u64_u32 v[8:9], s[24:25], v17, 28, v[8:9]
	ds_add_f64 v8, v[6:7] offset:2072
	s_xor_b64 s[24:25], exec, -1
.LBB193_119:                            ;   in Loop: Header=BB193_113 Depth=2
	s_or_b64 exec, exec, s[34:35]
	s_andn2_b64 s[20:21], s[20:21], exec
	s_and_b64 s[24:25], s[24:25], exec
	s_or_b64 s[20:21], s[20:21], s[24:25]
.LBB193_120:                            ;   in Loop: Header=BB193_113 Depth=2
	s_or_b64 exec, exec, s[22:23]
	s_and_b64 s[20:21], s[20:21], exec
                                        ; implicit-def: $vgpr8
.LBB193_121:                            ;   in Loop: Header=BB193_113 Depth=2
	s_andn2_saveexec_b64 s[18:19], s[18:19]
	s_cbranch_execz .LBB193_112
; %bb.122:                              ;   in Loop: Header=BB193_113 Depth=2
	v_mad_u64_u32 v[8:9], s[22:23], v17, 28, v[8:9]
	ds_add_f64 v8, v[6:7] offset:2072
	s_andn2_b64 s[20:21], s[20:21], exec
	s_branch .LBB193_112
.LBB193_123:
	s_or_b64 exec, exec, s[4:5]
.LBB193_124:
	s_waitcnt lgkmcnt(0)
	s_barrier
	s_and_saveexec_b64 s[2:3], s[0:1]
	s_cbranch_execz .LBB193_131
; %bb.125:
	s_lshl_b64 s[0:1], s[6:7], 3
	s_add_u32 s0, s14, s0
	s_addc_u32 s1, s15, s1
	s_load_dwordx2 s[2:3], s[0:1], 0x0
	s_mov_b64 s[0:1], 0
	s_movk_i32 s9, 0xff
	s_waitcnt lgkmcnt(0)
	s_sub_u32 s2, s2, s26
	s_subb_u32 s3, s3, 0
	s_cmp_eq_u32 s56, 0
	s_cselect_b32 s6, 1, 2
	s_cselect_b32 s7, 2, 1
	s_add_i32 s8, 0, 0x800
	s_waitcnt vmcnt(0)
	s_branch .LBB193_127
.LBB193_126:                            ;   in Loop: Header=BB193_127 Depth=1
	s_or_b64 exec, exec, s[4:5]
	v_add_u32_e32 v1, 0x100, v0
	v_cmp_lt_u32_e32 vcc, s9, v0
	s_or_b64 s[0:1], vcc, s[0:1]
	v_mov_b32_e32 v0, v1
	s_andn2_b64 exec, exec, s[0:1]
	s_cbranch_execz .LBB193_131
.LBB193_127:                            ; =>This Loop Header: Depth=1
                                        ;     Child Loop BB193_129 Depth 2
	v_lshl_add_u32 v1, v0, 2, 0
	ds_read_b32 v1, v1
	s_waitcnt lgkmcnt(0)
	v_cmp_gt_i32_e32 vcc, s33, v1
	s_and_saveexec_b64 s[4:5], vcc
	s_cbranch_execz .LBB193_126
; %bb.128:                              ;   in Loop: Header=BB193_127 Depth=1
	s_mov_b32 s10, 0
	v_pk_mov_b32 v[2:3], s[2:3], s[2:3] op_sel:[0,1]
.LBB193_129:                            ;   Parent Loop BB193_127 Depth=1
                                        ; =>  This Inner Loop Header: Depth=2
	s_add_i32 s11, s10, 0
	v_mov_b32_e32 v18, s11
	ds_read2_b32 v[4:5], v18 offset1:1
	ds_read2_b32 v[6:7], v18 offset0:2 offset1:3
	ds_read2_b32 v[8:9], v18 offset0:4 offset1:5
	;; [unrolled: 1-line block ×7, first 2 shown]
	s_waitcnt lgkmcnt(7)
	v_cmp_gt_i32_e32 vcc, v1, v4
	v_cndmask_b32_e64 v4, 0, 1, vcc
	v_cmp_gt_i32_e32 vcc, v1, v5
	v_cndmask_b32_e64 v5, 0, 1, vcc
	s_waitcnt lgkmcnt(6)
	v_cmp_gt_i32_e32 vcc, v1, v6
	v_cndmask_b32_e64 v6, 0, 1, vcc
	v_cmp_gt_i32_e32 vcc, v1, v7
	v_cndmask_b32_e64 v7, 0, 1, vcc
	s_waitcnt lgkmcnt(5)
	v_cmp_gt_i32_e32 vcc, v1, v8
	v_cndmask_b32_e64 v8, 0, 1, vcc
	v_cmp_gt_i32_e32 vcc, v1, v9
	v_cndmask_b32_e64 v9, 0, 1, vcc
	s_waitcnt lgkmcnt(4)
	v_cmp_gt_i32_e32 vcc, v1, v10
	v_cndmask_b32_e64 v10, 0, 1, vcc
	v_cmp_gt_i32_e32 vcc, v1, v11
	v_cndmask_b32_e64 v11, 0, 1, vcc
	s_waitcnt lgkmcnt(3)
	v_cmp_gt_i32_e32 vcc, v1, v12
	v_cndmask_b32_e64 v12, 0, 1, vcc
	v_cmp_gt_i32_e32 vcc, v1, v13
	v_cndmask_b32_e64 v13, 0, 1, vcc
	s_waitcnt lgkmcnt(2)
	v_cmp_gt_i32_e32 vcc, v1, v14
	v_cndmask_b32_e64 v14, 0, 1, vcc
	v_cmp_gt_i32_e32 vcc, v1, v15
	v_cndmask_b32_e64 v15, 0, 1, vcc
	s_waitcnt lgkmcnt(1)
	v_cmp_gt_i32_e32 vcc, v1, v16
	v_cndmask_b32_e64 v16, 0, 1, vcc
	v_cmp_gt_i32_e32 vcc, v1, v17
	v_cndmask_b32_e64 v17, 0, 1, vcc
	s_waitcnt lgkmcnt(0)
	v_cmp_gt_i32_e32 vcc, v1, v18
	v_cndmask_b32_e64 v18, 0, 1, vcc
	v_cmp_gt_i32_e32 vcc, v1, v19
	v_cndmask_b32_e64 v19, 0, 1, vcc
	v_add_co_u32_e32 v2, vcc, v2, v4
	v_addc_co_u32_e32 v3, vcc, 0, v3, vcc
	v_add_co_u32_e32 v2, vcc, v2, v5
	v_addc_co_u32_e32 v3, vcc, 0, v3, vcc
	;; [unrolled: 2-line block ×15, first 2 shown]
	s_add_i32 s10, s10, 64
	v_add_co_u32_e32 v2, vcc, v2, v19
	s_cmpk_lg_i32 s10, 0x800
	v_addc_co_u32_e32 v3, vcc, 0, v3, vcc
	s_cbranch_scc1 .LBB193_129
; %bb.130:                              ;   in Loop: Header=BB193_127 Depth=1
	v_lshlrev_b64 v[4:5], 2, v[2:3]
	v_mov_b32_e32 v6, s29
	v_add_co_u32_e32 v4, vcc, s28, v4
	v_add_u32_e32 v1, s26, v1
	v_addc_co_u32_e32 v5, vcc, v6, v5, vcc
	global_store_dword v[4:5], v1, off
	v_lshl_add_u32 v4, v0, 5, s8
	ds_read2_b64 v[4:7], v4 offset1:3
	v_lshlrev_b32_e32 v1, 2, v0
	v_or_b32_e32 v8, s6, v1
	v_lshl_add_u32 v10, v8, 3, s8
	v_or_b32_e32 v1, s7, v1
	s_waitcnt lgkmcnt(0)
	v_mov_b32_e32 v8, v4
	v_mov_b32_e32 v9, v5
	v_lshl_add_u32 v1, v1, 3, s8
	ds_read_b64 v[10:11], v10
	ds_read_b64 v[4:5], v1
	v_lshlrev_b64 v[2:3], 5, v[2:3]
	v_mov_b32_e32 v12, s31
	v_add_co_u32_e32 v2, vcc, s30, v2
	v_addc_co_u32_e32 v3, vcc, v12, v3, vcc
	s_waitcnt lgkmcnt(1)
	global_store_dwordx4 v[2:3], v[8:11], off
	s_waitcnt lgkmcnt(0)
	global_store_dwordx4 v[2:3], v[4:7], off offset:16
	s_branch .LBB193_126
.LBB193_131:
	s_endpgm
	.section	.rodata,"a",@progbits
	.p2align	6, 0x0
	.amdhsa_kernel _ZN9rocsparseL30bsrgemm_fill_block_per_row_2x2ILj256ELj16ELj512ELj137ElidEEv20rocsparse_direction_T4_S2_PKS2_S4_NS_24const_host_device_scalarIT5_EEPKT3_S4_PKS6_SA_S4_SC_S7_SA_S4_SC_SA_PS2_PS6_21rocsparse_index_base_SF_SF_SF_bbb
		.amdhsa_group_segment_fixed_size 0
		.amdhsa_private_segment_fixed_size 0
		.amdhsa_kernarg_size 164
		.amdhsa_user_sgpr_count 6
		.amdhsa_user_sgpr_private_segment_buffer 1
		.amdhsa_user_sgpr_dispatch_ptr 0
		.amdhsa_user_sgpr_queue_ptr 0
		.amdhsa_user_sgpr_kernarg_segment_ptr 1
		.amdhsa_user_sgpr_dispatch_id 0
		.amdhsa_user_sgpr_flat_scratch_init 0
		.amdhsa_user_sgpr_kernarg_preload_length 0
		.amdhsa_user_sgpr_kernarg_preload_offset 0
		.amdhsa_user_sgpr_private_segment_size 0
		.amdhsa_uses_dynamic_stack 0
		.amdhsa_system_sgpr_private_segment_wavefront_offset 0
		.amdhsa_system_sgpr_workgroup_id_x 1
		.amdhsa_system_sgpr_workgroup_id_y 0
		.amdhsa_system_sgpr_workgroup_id_z 0
		.amdhsa_system_sgpr_workgroup_info 0
		.amdhsa_system_vgpr_workitem_id 0
		.amdhsa_next_free_vgpr 40
		.amdhsa_next_free_sgpr 60
		.amdhsa_accum_offset 40
		.amdhsa_reserve_vcc 1
		.amdhsa_reserve_flat_scratch 0
		.amdhsa_float_round_mode_32 0
		.amdhsa_float_round_mode_16_64 0
		.amdhsa_float_denorm_mode_32 3
		.amdhsa_float_denorm_mode_16_64 3
		.amdhsa_dx10_clamp 1
		.amdhsa_ieee_mode 1
		.amdhsa_fp16_overflow 0
		.amdhsa_tg_split 0
		.amdhsa_exception_fp_ieee_invalid_op 0
		.amdhsa_exception_fp_denorm_src 0
		.amdhsa_exception_fp_ieee_div_zero 0
		.amdhsa_exception_fp_ieee_overflow 0
		.amdhsa_exception_fp_ieee_underflow 0
		.amdhsa_exception_fp_ieee_inexact 0
		.amdhsa_exception_int_div_zero 0
	.end_amdhsa_kernel
	.section	.text._ZN9rocsparseL30bsrgemm_fill_block_per_row_2x2ILj256ELj16ELj512ELj137ElidEEv20rocsparse_direction_T4_S2_PKS2_S4_NS_24const_host_device_scalarIT5_EEPKT3_S4_PKS6_SA_S4_SC_S7_SA_S4_SC_SA_PS2_PS6_21rocsparse_index_base_SF_SF_SF_bbb,"axG",@progbits,_ZN9rocsparseL30bsrgemm_fill_block_per_row_2x2ILj256ELj16ELj512ELj137ElidEEv20rocsparse_direction_T4_S2_PKS2_S4_NS_24const_host_device_scalarIT5_EEPKT3_S4_PKS6_SA_S4_SC_S7_SA_S4_SC_SA_PS2_PS6_21rocsparse_index_base_SF_SF_SF_bbb,comdat
.Lfunc_end193:
	.size	_ZN9rocsparseL30bsrgemm_fill_block_per_row_2x2ILj256ELj16ELj512ELj137ElidEEv20rocsparse_direction_T4_S2_PKS2_S4_NS_24const_host_device_scalarIT5_EEPKT3_S4_PKS6_SA_S4_SC_S7_SA_S4_SC_SA_PS2_PS6_21rocsparse_index_base_SF_SF_SF_bbb, .Lfunc_end193-_ZN9rocsparseL30bsrgemm_fill_block_per_row_2x2ILj256ELj16ELj512ELj137ElidEEv20rocsparse_direction_T4_S2_PKS2_S4_NS_24const_host_device_scalarIT5_EEPKT3_S4_PKS6_SA_S4_SC_S7_SA_S4_SC_SA_PS2_PS6_21rocsparse_index_base_SF_SF_SF_bbb
                                        ; -- End function
	.section	.AMDGPU.csdata,"",@progbits
; Kernel info:
; codeLenInByte = 4032
; NumSgprs: 64
; NumVgprs: 40
; NumAgprs: 0
; TotalNumVgprs: 40
; ScratchSize: 0
; MemoryBound: 0
; FloatMode: 240
; IeeeMode: 1
; LDSByteSize: 0 bytes/workgroup (compile time only)
; SGPRBlocks: 7
; VGPRBlocks: 4
; NumSGPRsForWavesPerEU: 64
; NumVGPRsForWavesPerEU: 40
; AccumOffset: 40
; Occupancy: 8
; WaveLimiterHint : 1
; COMPUTE_PGM_RSRC2:SCRATCH_EN: 0
; COMPUTE_PGM_RSRC2:USER_SGPR: 6
; COMPUTE_PGM_RSRC2:TRAP_HANDLER: 0
; COMPUTE_PGM_RSRC2:TGID_X_EN: 1
; COMPUTE_PGM_RSRC2:TGID_Y_EN: 0
; COMPUTE_PGM_RSRC2:TGID_Z_EN: 0
; COMPUTE_PGM_RSRC2:TIDIG_COMP_CNT: 0
; COMPUTE_PGM_RSRC3_GFX90A:ACCUM_OFFSET: 9
; COMPUTE_PGM_RSRC3_GFX90A:TG_SPLIT: 0
	.section	.text._ZN9rocsparseL38bsrgemm_block_per_row_atomic_multipassILj256ELj256ELj2ElidEEv20rocsparse_direction_T3_S2_PKS2_S4_NS_24const_host_device_scalarIT4_EEPKT2_S4_PKS6_SA_S4_SC_S7_SA_S4_SC_SA_PS2_PS6_PS8_21rocsparse_index_base_SG_SG_SG_bbb,"axG",@progbits,_ZN9rocsparseL38bsrgemm_block_per_row_atomic_multipassILj256ELj256ELj2ElidEEv20rocsparse_direction_T3_S2_PKS2_S4_NS_24const_host_device_scalarIT4_EEPKT2_S4_PKS6_SA_S4_SC_S7_SA_S4_SC_SA_PS2_PS6_PS8_21rocsparse_index_base_SG_SG_SG_bbb,comdat
	.globl	_ZN9rocsparseL38bsrgemm_block_per_row_atomic_multipassILj256ELj256ELj2ElidEEv20rocsparse_direction_T3_S2_PKS2_S4_NS_24const_host_device_scalarIT4_EEPKT2_S4_PKS6_SA_S4_SC_S7_SA_S4_SC_SA_PS2_PS6_PS8_21rocsparse_index_base_SG_SG_SG_bbb ; -- Begin function _ZN9rocsparseL38bsrgemm_block_per_row_atomic_multipassILj256ELj256ELj2ElidEEv20rocsparse_direction_T3_S2_PKS2_S4_NS_24const_host_device_scalarIT4_EEPKT2_S4_PKS6_SA_S4_SC_S7_SA_S4_SC_SA_PS2_PS6_PS8_21rocsparse_index_base_SG_SG_SG_bbb
	.p2align	8
	.type	_ZN9rocsparseL38bsrgemm_block_per_row_atomic_multipassILj256ELj256ELj2ElidEEv20rocsparse_direction_T3_S2_PKS2_S4_NS_24const_host_device_scalarIT4_EEPKT2_S4_PKS6_SA_S4_SC_S7_SA_S4_SC_SA_PS2_PS6_PS8_21rocsparse_index_base_SG_SG_SG_bbb,@function
_ZN9rocsparseL38bsrgemm_block_per_row_atomic_multipassILj256ELj256ELj2ElidEEv20rocsparse_direction_T3_S2_PKS2_S4_NS_24const_host_device_scalarIT4_EEPKT2_S4_PKS6_SA_S4_SC_S7_SA_S4_SC_SA_PS2_PS6_PS8_21rocsparse_index_base_SG_SG_SG_bbb: ; @_ZN9rocsparseL38bsrgemm_block_per_row_atomic_multipassILj256ELj256ELj2ElidEEv20rocsparse_direction_T3_S2_PKS2_S4_NS_24const_host_device_scalarIT4_EEPKT2_S4_PKS6_SA_S4_SC_S7_SA_S4_SC_SA_PS2_PS6_PS8_21rocsparse_index_base_SG_SG_SG_bbb
; %bb.0:
	s_load_dword s7, s[4:5], 0xa8
	s_load_dwordx4 s[52:55], s[4:5], 0x98
	s_load_dwordx2 s[8:9], s[4:5], 0x20
	s_waitcnt lgkmcnt(0)
	s_and_b32 s0, 1, s7
	s_bitcmp1_b32 s7, 16
	s_cselect_b64 s[2:3], -1, 0
	s_cmp_eq_u32 s0, 1
	s_load_dwordx2 s[0:1], s[4:5], 0x58
	s_cselect_b64 s[10:11], -1, 0
	s_and_b64 s[12:13], s[10:11], exec
	s_cselect_b32 s13, s9, 0
	s_cselect_b32 s12, s8, 0
	s_xor_b64 s[14:15], s[10:11], -1
	s_or_b64 s[14:15], s[14:15], s[2:3]
	s_and_b64 vcc, exec, s[14:15]
	v_pk_mov_b32 v[2:3], s[12:13], s[12:13] op_sel:[0,1]
	s_cbranch_vccnz .LBB194_2
; %bb.1:
	v_pk_mov_b32 v[2:3], s[8:9], s[8:9] op_sel:[0,1]
	flat_load_dwordx2 v[2:3], v[2:3]
.LBB194_2:
	s_bitcmp1_b32 s7, 8
	s_load_dwordx2 s[8:9], s[4:5], 0x18
	s_cselect_b64 s[34:35], -1, 0
	s_and_b64 s[12:13], s[34:35], exec
	s_waitcnt lgkmcnt(0)
	s_cselect_b32 s13, s1, 0
	s_cselect_b32 s12, s0, 0
	s_xor_b64 s[14:15], s[34:35], -1
	s_or_b64 s[2:3], s[14:15], s[2:3]
	s_and_b64 vcc, exec, s[2:3]
	v_pk_mov_b32 v[4:5], s[12:13], s[12:13] op_sel:[0,1]
	s_cbranch_vccnz .LBB194_4
; %bb.3:
	v_pk_mov_b32 v[4:5], s[0:1], s[0:1] op_sel:[0,1]
	flat_load_dwordx2 v[4:5], v[4:5]
.LBB194_4:
	s_load_dwordx2 s[2:3], s[4:5], 0x28
	s_cmp_eq_u64 s[8:9], 0
	s_mov_b64 s[60:61], 0
	s_cbranch_scc1 .LBB194_6
; %bb.5:
	s_load_dwordx2 s[0:1], s[4:5], 0x10
	s_waitcnt lgkmcnt(0)
	s_load_dword s0, s[0:1], 0x0
	s_mov_b32 s1, 0
	s_waitcnt lgkmcnt(0)
	s_add_i32 s0, s0, s6
	s_lshl_b64 s[0:1], s[0:1], 2
	s_add_u32 s0, s8, s0
	s_addc_u32 s1, s9, s1
	s_load_dword s6, s[0:1], 0x0
.LBB194_6:
	v_cndmask_b32_e64 v1, 0, 1, s[10:11]
	v_cmp_ne_u32_e64 s[0:1], 1, v1
	s_andn2_b64 vcc, exec, s[10:11]
	s_cbranch_vccz .LBB194_9
; %bb.7:
	s_and_b64 vcc, exec, s[0:1]
	s_mov_b64 s[62:63], 0
	s_cbranch_vccz .LBB194_10
.LBB194_8:
	s_load_dwordx4 s[56:59], s[4:5], 0x0
	s_waitcnt lgkmcnt(0)
	s_cmp_lt_i32 s57, 1
	s_cbranch_scc0 .LBB194_11
	s_branch .LBB194_97
.LBB194_9:
	s_waitcnt lgkmcnt(0)
	s_ashr_i32 s7, s6, 31
	s_lshl_b64 s[8:9], s[6:7], 3
	s_add_u32 s8, s2, s8
	s_addc_u32 s9, s3, s9
	s_load_dwordx2 s[8:9], s[8:9], 0x0
	s_waitcnt lgkmcnt(0)
	s_sub_u32 s60, s8, s52
	s_subb_u32 s61, s9, 0
	s_and_b64 vcc, exec, s[0:1]
	s_mov_b64 s[62:63], 0
	s_cbranch_vccnz .LBB194_8
.LBB194_10:
	s_waitcnt lgkmcnt(0)
	s_ashr_i32 s7, s6, 31
	s_lshl_b64 s[0:1], s[6:7], 3
	s_add_u32 s0, s2, s0
	s_addc_u32 s1, s3, s1
	s_load_dwordx2 s[0:1], s[0:1], 0x8
	s_waitcnt lgkmcnt(0)
	s_sub_u32 s62, s0, s52
	s_subb_u32 s63, s1, 0
	s_load_dwordx4 s[56:59], s[4:5], 0x0
	s_waitcnt lgkmcnt(0)
	s_cmp_lt_i32 s57, 1
	s_cbranch_scc1 .LBB194_97
.LBB194_11:
	s_load_dwordx2 s[64:65], s[4:5], 0x90
	s_load_dwordx4 s[28:31], s[4:5], 0x80
	s_load_dwordx8 s[36:43], s[4:5], 0x60
	s_load_dwordx2 s[70:71], s[4:5], 0x50
	s_load_dwordx8 s[44:51], s[4:5], 0x30
	v_pk_mov_b32 v[8:9], s[62:63], s[62:63] op_sel:[0,1]
	v_bfe_u32 v7, v0, 1, 1
	v_cmp_lt_i64_e32 vcc, s[60:61], v[8:9]
	v_mov_b32_e32 v8, 0
	v_and_b32_e32 v11, 1, v0
	v_mul_lo_u32 v12, v7, s58
	v_mov_b32_e32 v13, v8
	s_ashr_i32 s7, s6, 31
	v_max_i32_e32 v9, v11, v7
	v_lshlrev_b64 v[12:13], 3, v[12:13]
	s_lshl_b64 s[8:9], s[6:7], 3
	v_cmp_gt_i32_e64 s[4:5], s58, v9
	s_waitcnt lgkmcnt(0)
	v_mov_b32_e32 v9, s47
	v_add_co_u32_e64 v10, s[6:7], s46, v12
	v_addc_co_u32_e64 v9, s[6:7], v9, v13, s[6:7]
	v_lshlrev_b32_e32 v16, 3, v11
	v_add_co_u32_e64 v38, s[6:7], v10, v16
	v_mul_lo_u32 v14, v11, s58
	v_mov_b32_e32 v15, v8
	v_addc_co_u32_e64 v39, s[6:7], 0, v9, s[6:7]
	v_lshlrev_b64 v[14:15], 3, v[14:15]
	v_mov_b32_e32 v9, s31
	v_add_co_u32_e64 v10, s[6:7], s30, v14
	v_lshlrev_b32_e32 v7, 3, v7
	v_addc_co_u32_e64 v17, s[6:7], v9, v15, s[6:7]
	v_add_co_u32_e64 v10, s[6:7], v10, v7
	v_addc_co_u32_e64 v17, s[6:7], 0, v17, s[6:7]
	v_add_co_u32_e64 v18, s[6:7], s30, v12
	;; [unrolled: 2-line block ×3, first 2 shown]
	s_add_u32 s0, s42, s8
	v_lshrrev_b32_e32 v6, 2, v0
	v_addc_co_u32_e64 v9, s[6:7], 0, v9, s[6:7]
	s_addc_u32 s1, s43, s9
	v_subrev_co_u32_e64 v41, s[6:7], s55, v6
	s_load_dwordx2 s[0:1], s[0:1], 0x0
	v_subb_co_u32_e64 v42, s[6:7], 0, 0, s[6:7]
	v_mov_b32_e32 v19, s41
	v_add_co_u32_e64 v20, s[6:7], s40, v14
	v_addc_co_u32_e64 v21, s[6:7], v19, v15, s[6:7]
	v_add_co_u32_e64 v20, s[6:7], v20, v7
	v_addc_co_u32_e64 v21, s[6:7], 0, v21, s[6:7]
	s_waitcnt lgkmcnt(0)
	s_sub_u32 s74, s0, s54
	v_add_co_u32_e64 v12, s[6:7], s40, v12
	s_subb_u32 s75, s1, 0
	v_addc_co_u32_e64 v13, s[6:7], v19, v13, s[6:7]
	s_cmp_eq_u32 s56, 0
	v_add_co_u32_e64 v12, s[6:7], v12, v16
	v_and_b32_e32 v1, 3, v0
	s_cselect_b64 s[26:27], -1, 0
	s_cmp_lg_u32 s56, 0
	v_addc_co_u32_e64 v13, s[6:7], 0, v13, s[6:7]
	s_cselect_b64 s[46:47], -1, 0
	s_cmp_gt_i32 s58, 0
	v_cmp_eq_u32_e64 s[6:7], 3, v1
	v_lshlrev_b32_e32 v1, 2, v0
	s_movk_i32 s59, 0x2000
	s_cselect_b64 s[66:67], -1, 0
	s_add_u32 s36, s36, s8
	v_or_b32_e32 v43, 0x2800, v1
	v_add_u32_e32 v45, 0x27f8, v1
	v_add_u32_e32 v46, 0x27f0, v1
	;; [unrolled: 1-line block ×7, first 2 shown]
	v_cndmask_b32_e64 v1, v17, v9, s[26:27]
	v_lshlrev_b32_e32 v9, 5, v6
	s_addc_u32 s37, s37, s9
	s_and_b64 s[40:41], s[10:11], vcc
	v_or3_b32 v53, v9, v7, s59
	v_mov_b32_e32 v7, s71
	v_add_co_u32_e32 v14, vcc, s70, v14
	v_addc_co_u32_e32 v15, vcc, v7, v15, vcc
	s_movk_i32 s0, 0x100
	v_lshlrev_b32_e32 v36, 3, v0
	s_movk_i32 s24, 0x7f
	s_add_u32 s91, s48, 8
	v_add_co_u32_e32 v16, vcc, s70, v16
	s_mov_b32 s43, 0
	v_cmp_gt_u32_e64 s[0:1], s0, v0
	v_cmp_eq_u32_e64 s[2:3], 0, v0
	v_and_b32_e32 v40, 2, v0
	v_add_co_u32_e64 v19, s[8:9], -1, v0
	v_cmp_ne_u32_e64 s[10:11], 0, v0
	v_cmp_lt_u32_e64 s[12:13], 1, v0
	v_cmp_lt_u32_e64 s[14:15], 3, v0
	;; [unrolled: 1-line block ×7, first 2 shown]
	s_addc_u32 s92, s49, 0
	v_or_b32_e32 v52, 0xffffff00, v0
	v_addc_co_u32_e32 v17, vcc, 0, v7, vcc
	v_and_b32_e32 v7, 0x7f0, v36
	v_and_b32_e32 v0, 0xfc, v0
	s_mul_i32 s42, s58, s58
	v_mov_b32_e32 v22, 0x2800
	s_add_u32 s93, s28, -4
	s_mov_b32 s59, s43
	v_or_b32_e32 v54, 0x2000, v7
	v_add_co_u32_e32 v55, vcc, 64, v41
	v_or3_b32 v7, v0, v40, v11
	v_or_b32_e32 v37, 0x2000, v36
	s_mov_b32 s33, s53
	s_mov_b32 s90, s43
	;; [unrolled: 1-line block ×3, first 2 shown]
	v_lshl_add_u32 v44, v19, 2, v22
	v_cndmask_b32_e64 v10, v10, v18, s[26:27]
	v_cndmask_b32_e64 v13, v21, v13, s[26:27]
	;; [unrolled: 1-line block ×3, first 2 shown]
	s_addc_u32 s94, s29, -1
	s_lshl_b64 s[68:69], s[42:43], 3
	s_lshl_b64 s[70:71], s[58:59], 3
	;; [unrolled: 1-line block ×3, first 2 shown]
	v_addc_co_u32_e32 v56, vcc, 0, v42, vcc
	v_lshlrev_b32_e32 v57, 3, v7
	v_or_b32_e32 v58, 0x2800, v0
	v_mov_b32_e32 v0, 0x100
	v_pk_mov_b32 v[18:19], s[74:75], s[74:75] op_sel:[0,1]
	s_movk_i32 s59, 0x2ff
	v_mov_b32_e32 v59, 1
	s_movk_i32 s95, 0xbf
	v_mov_b32_e32 v9, v8
	s_branch .LBB194_13
.LBB194_12:                             ;   in Loop: Header=BB194_13 Depth=1
	s_or_b64 exec, exec, s[26:27]
	s_barrier
	ds_read_b32 v7, v8 offset:11264
	v_ashrrev_i32_e32 v0, 31, v20
	v_add_co_u32_e32 v18, vcc, v18, v20
	v_addc_co_u32_e32 v19, vcc, v19, v0, vcc
	s_waitcnt lgkmcnt(0)
	v_cmp_le_i32_e32 vcc, s57, v7
	v_readfirstlane_b32 s43, v7
	v_add_u32_e32 v0, 0x100, v7
	s_barrier
	s_cbranch_vccnz .LBB194_97
.LBB194_13:                             ; =>This Loop Header: Depth=1
                                        ;     Child Loop BB194_16 Depth 2
                                        ;     Child Loop BB194_22 Depth 2
                                        ;       Child Loop BB194_35 Depth 3
                                        ;         Child Loop BB194_44 Depth 4
                                        ;         Child Loop BB194_49 Depth 4
                                        ;     Child Loop BB194_60 Depth 2
                                        ;     Child Loop BB194_69 Depth 2
	;; [unrolled: 1-line block ×3, first 2 shown]
	s_and_saveexec_b64 s[26:27], s[0:1]
	s_cbranch_execz .LBB194_15
; %bb.14:                               ;   in Loop: Header=BB194_13 Depth=1
	ds_write_b32 v43, v8
.LBB194_15:                             ;   in Loop: Header=BB194_13 Depth=1
	s_or_b64 exec, exec, s[26:27]
	s_mov_b64 s[26:27], 0
	v_mov_b32_e32 v7, v36
	v_mov_b32_e32 v20, v52
.LBB194_16:                             ;   Parent Loop BB194_13 Depth=1
                                        ; =>  This Inner Loop Header: Depth=2
	v_add_u32_e32 v20, 0x100, v20
	v_cmp_lt_u32_e32 vcc, s59, v20
	ds_write_b64 v7, v[8:9]
	s_or_b64 s[26:27], vcc, s[26:27]
	v_add_u32_e32 v7, 0x800, v7
	s_andn2_b64 exec, exec, s[26:27]
	s_cbranch_execnz .LBB194_16
; %bb.17:                               ;   in Loop: Header=BB194_13 Depth=1
	s_or_b64 exec, exec, s[26:27]
	s_and_saveexec_b64 s[26:27], s[2:3]
	s_cbranch_execz .LBB194_19
; %bb.18:                               ;   in Loop: Header=BB194_13 Depth=1
	v_mov_b32_e32 v7, s57
	ds_write_b32 v8, v7 offset:11264
.LBB194_19:                             ;   in Loop: Header=BB194_13 Depth=1
	s_or_b64 exec, exec, s[26:27]
	s_andn2_b64 vcc, exec, s[40:41]
	v_mov_b32_e32 v7, s57
	s_waitcnt lgkmcnt(0)
	s_barrier
	s_cbranch_vccnz .LBB194_55
; %bb.20:                               ;   in Loop: Header=BB194_13 Depth=1
	s_cmp_lg_u32 s43, 0
	s_cselect_b64 s[30:31], -1, 0
	v_mov_b32_e32 v7, s57
	s_mov_b64 s[74:75], s[60:61]
	s_branch .LBB194_22
.LBB194_21:                             ;   in Loop: Header=BB194_22 Depth=2
	s_or_b64 exec, exec, s[28:29]
	s_add_u32 s74, s74, 64
	s_addc_u32 s75, s75, 0
	v_pk_mov_b32 v[20:21], s[62:63], s[62:63] op_sel:[0,1]
	v_cmp_lt_i64_e32 vcc, s[74:75], v[20:21]
	s_cbranch_vccz .LBB194_55
.LBB194_22:                             ;   Parent Loop BB194_13 Depth=1
                                        ; =>  This Loop Header: Depth=2
                                        ;       Child Loop BB194_35 Depth 3
                                        ;         Child Loop BB194_44 Depth 4
                                        ;         Child Loop BB194_49 Depth 4
	v_mov_b32_e32 v21, s75
	v_add_co_u32_e32 v20, vcc, s74, v6
	v_addc_co_u32_e32 v21, vcc, 0, v21, vcc
	v_cmp_gt_i64_e64 s[26:27], s[62:63], v[20:21]
	s_barrier
	s_and_saveexec_b64 s[28:29], s[26:27]
	s_cbranch_execz .LBB194_26
; %bb.23:                               ;   in Loop: Header=BB194_22 Depth=2
	v_pk_mov_b32 v[22:23], 0, 0
	s_and_saveexec_b64 s[76:77], s[4:5]
	s_cbranch_execz .LBB194_25
; %bb.24:                               ;   in Loop: Header=BB194_22 Depth=2
	v_mad_u64_u32 v[22:23], s[78:79], v20, s42, 0
	v_mov_b32_e32 v24, v23
	v_mad_u64_u32 v[24:25], s[78:79], v21, s42, v[24:25]
	v_mov_b32_e32 v23, v24
	v_lshlrev_b64 v[22:23], 3, v[22:23]
	v_add_co_u32_e32 v22, vcc, v38, v22
	v_addc_co_u32_e32 v23, vcc, v39, v23, vcc
	global_load_dwordx2 v[22:23], v[22:23], off
.LBB194_25:                             ;   in Loop: Header=BB194_22 Depth=2
	s_or_b64 exec, exec, s[76:77]
	s_waitcnt vmcnt(0)
	ds_write_b64 v37, v[22:23]
.LBB194_26:                             ;   in Loop: Header=BB194_22 Depth=2
	s_or_b64 exec, exec, s[28:29]
	v_pk_mov_b32 v[22:23], 0, 0
	s_waitcnt lgkmcnt(0)
	s_barrier
	s_and_saveexec_b64 s[76:77], s[26:27]
	s_cbranch_execz .LBB194_52
; %bb.27:                               ;   in Loop: Header=BB194_22 Depth=2
	v_lshlrev_b64 v[22:23], 2, v[20:21]
	v_mov_b32_e32 v24, s45
	v_add_co_u32_e32 v22, vcc, s44, v22
	v_addc_co_u32_e32 v23, vcc, v24, v23, vcc
	global_load_dword v22, v[22:23], off
	s_and_b64 vcc, exec, s[30:31]
	s_waitcnt vmcnt(0)
	v_subrev_u32_e32 v24, s52, v22
	v_ashrrev_i32_e32 v25, 31, v24
	s_cbranch_vccz .LBB194_54
; %bb.28:                               ;   in Loop: Header=BB194_22 Depth=2
	v_lshlrev_b64 v[22:23], 3, v[20:21]
	v_mov_b32_e32 v26, s65
	v_add_co_u32_e32 v22, vcc, s64, v22
	v_addc_co_u32_e32 v23, vcc, v26, v23, vcc
	global_load_dwordx2 v[22:23], v[22:23], off
	s_cbranch_execnz .LBB194_30
.LBB194_29:                             ;   in Loop: Header=BB194_22 Depth=2
	s_waitcnt vmcnt(0)
	v_lshlrev_b64 v[22:23], 3, v[24:25]
	v_mov_b32_e32 v26, s49
	v_add_co_u32_e32 v22, vcc, s48, v22
	v_addc_co_u32_e32 v23, vcc, v26, v23, vcc
	global_load_dwordx2 v[22:23], v[22:23], off
	v_mov_b32_e32 v26, s90
	s_waitcnt vmcnt(0)
	v_subrev_co_u32_e32 v22, vcc, s33, v22
	v_subb_co_u32_e32 v23, vcc, v23, v26, vcc
.LBB194_30:                             ;   in Loop: Header=BB194_22 Depth=2
	v_lshlrev_b64 v[24:25], 3, v[24:25]
	v_mov_b32_e32 v26, s92
	v_add_co_u32_e32 v24, vcc, s91, v24
	v_addc_co_u32_e32 v25, vcc, v26, v25, vcc
	global_load_dwordx2 v[24:25], v[24:25], off
	v_mov_b32_e32 v26, s90
	s_waitcnt vmcnt(0)
	v_subrev_co_u32_e32 v24, vcc, s33, v24
	v_subb_co_u32_e32 v25, vcc, v25, v26, vcc
	v_cmp_lt_i64_e32 vcc, v[22:23], v[24:25]
	s_and_saveexec_b64 s[78:79], vcc
	s_cbranch_execz .LBB194_51
; %bb.31:                               ;   in Loop: Header=BB194_22 Depth=2
	v_mad_u64_u32 v[26:27], s[28:29], s68, v22, v[14:15]
	v_mul_lo_u32 v30, s68, v23
	v_mul_lo_u32 v31, s69, v22
	v_mad_u64_u32 v[28:29], s[28:29], s68, v22, v[16:17]
	v_add3_u32 v27, v31, v27, v30
	v_add3_u32 v29, v31, v29, v30
	s_mov_b64 s[80:81], 0
	v_pk_mov_b32 v[30:31], v[22:23], v[22:23] op_sel:[0,1]
	s_branch .LBB194_35
.LBB194_32:                             ;   in Loop: Header=BB194_35 Depth=3
	v_or3_b32 v34, v60, v40, v11
	v_lshlrev_b32_e32 v34, 3, v34
	v_mul_f64 v[32:33], v[2:3], v[32:33]
	ds_add_f64 v34, v[32:33]
.LBB194_33:                             ;   in Loop: Header=BB194_35 Depth=3
	s_or_b64 exec, exec, s[86:87]
	s_or_b64 s[82:83], s[82:83], exec
.LBB194_34:                             ;   in Loop: Header=BB194_35 Depth=3
	s_or_b64 exec, exec, s[84:85]
	v_add_co_u32_e32 v22, vcc, 1, v22
	v_addc_co_u32_e32 v23, vcc, 0, v23, vcc
	v_cmp_ge_i64_e32 vcc, v[22:23], v[24:25]
	s_xor_b64 s[28:29], s[82:83], -1
	s_or_b64 s[28:29], s[28:29], vcc
	v_mov_b32_e32 v32, s69
	v_add_co_u32_e32 v26, vcc, s68, v26
	v_addc_co_u32_e32 v27, vcc, v27, v32, vcc
	s_and_b64 s[28:29], exec, s[28:29]
	v_add_co_u32_e32 v28, vcc, s68, v28
	s_or_b64 s[80:81], s[28:29], s[80:81]
	v_addc_co_u32_e32 v29, vcc, v29, v32, vcc
	s_andn2_b64 exec, exec, s[80:81]
	s_cbranch_execz .LBB194_50
.LBB194_35:                             ;   Parent Loop BB194_13 Depth=1
                                        ;     Parent Loop BB194_22 Depth=2
                                        ; =>    This Loop Header: Depth=3
                                        ;         Child Loop BB194_44 Depth 4
                                        ;         Child Loop BB194_49 Depth 4
	v_lshlrev_b64 v[32:33], 2, v[22:23]
	v_mov_b32_e32 v34, s51
	v_add_co_u32_e32 v32, vcc, s50, v32
	v_addc_co_u32_e32 v33, vcc, v34, v33, vcc
	global_load_dword v32, v[32:33], off
                                        ; implicit-def: $sgpr82_sgpr83
	s_waitcnt vmcnt(0)
	v_subrev_u32_e32 v32, s53, v32
	v_cmp_gt_i32_e64 s[28:29], s43, v32
	v_cmp_ge_i32_e32 vcc, v32, v0
	s_or_b64 s[28:29], s[28:29], vcc
	s_and_saveexec_b64 s[84:85], s[28:29]
	s_xor_b64 s[28:29], exec, s[84:85]
	s_cbranch_execz .LBB194_39
; %bb.36:                               ;   in Loop: Header=BB194_35 Depth=3
	s_mov_b64 s[82:83], -1
	s_and_saveexec_b64 s[84:85], vcc
; %bb.37:                               ;   in Loop: Header=BB194_35 Depth=3
	v_min_i32_e32 v7, v32, v7
	s_xor_b64 s[82:83], exec, -1
	v_pk_mov_b32 v[30:31], v[22:23], v[22:23] op_sel:[0,1]
; %bb.38:                               ;   in Loop: Header=BB194_35 Depth=3
	s_or_b64 exec, exec, s[84:85]
	s_and_b64 s[82:83], s[82:83], exec
                                        ; implicit-def: $vgpr32
.LBB194_39:                             ;   in Loop: Header=BB194_35 Depth=3
	s_andn2_saveexec_b64 s[84:85], s[28:29]
	s_cbranch_execz .LBB194_34
; %bb.40:                               ;   in Loop: Header=BB194_35 Depth=3
	v_subrev_u32_e32 v32, s43, v32
	v_lshlrev_b32_e32 v60, 2, v32
	ds_write_b32 v60, v59 offset:10240
	s_and_saveexec_b64 s[86:87], s[4:5]
	s_cbranch_execz .LBB194_33
; %bb.41:                               ;   in Loop: Header=BB194_35 Depth=3
	v_cndmask_b32_e64 v32, 0, 1, s[66:67]
	s_andn2_b64 vcc, exec, s[46:47]
	v_cmp_ne_u32_e64 s[28:29], 1, v32
	s_cbranch_vccnz .LBB194_46
; %bb.42:                               ;   in Loop: Header=BB194_35 Depth=3
	v_pk_mov_b32 v[32:33], 0, 0
	s_and_b64 vcc, exec, s[28:29]
	s_cbranch_vccnz .LBB194_45
; %bb.43:                               ;   in Loop: Header=BB194_35 Depth=3
	v_pk_mov_b32 v[34:35], v[26:27], v[26:27] op_sel:[0,1]
	s_mov_b32 s88, s58
	v_mov_b32_e32 v61, v53
.LBB194_44:                             ;   Parent Loop BB194_13 Depth=1
                                        ;     Parent Loop BB194_22 Depth=2
                                        ;       Parent Loop BB194_35 Depth=3
                                        ; =>      This Inner Loop Header: Depth=4
	global_load_dwordx2 v[62:63], v[34:35], off
	ds_read_b64 v[64:65], v61
	s_add_i32 s88, s88, -1
	v_add_co_u32_e32 v34, vcc, 8, v34
	v_add_u32_e32 v61, 16, v61
	v_addc_co_u32_e32 v35, vcc, 0, v35, vcc
	s_cmp_lg_u32 s88, 0
	s_waitcnt vmcnt(0) lgkmcnt(0)
	v_fmac_f64_e32 v[32:33], v[64:65], v[62:63]
	s_cbranch_scc1 .LBB194_44
.LBB194_45:                             ;   in Loop: Header=BB194_35 Depth=3
	s_cbranch_execnz .LBB194_32
	s_branch .LBB194_47
.LBB194_46:                             ;   in Loop: Header=BB194_35 Depth=3
                                        ; implicit-def: $vgpr32_vgpr33
.LBB194_47:                             ;   in Loop: Header=BB194_35 Depth=3
	v_pk_mov_b32 v[32:33], 0, 0
	s_and_b64 vcc, exec, s[28:29]
	s_cbranch_vccnz .LBB194_32
; %bb.48:                               ;   in Loop: Header=BB194_35 Depth=3
	v_mov_b32_e32 v61, v54
	v_pk_mov_b32 v[34:35], v[28:29], v[28:29] op_sel:[0,1]
	s_mov_b32 s28, s58
.LBB194_49:                             ;   Parent Loop BB194_13 Depth=1
                                        ;     Parent Loop BB194_22 Depth=2
                                        ;       Parent Loop BB194_35 Depth=3
                                        ; =>      This Inner Loop Header: Depth=4
	global_load_dwordx2 v[62:63], v[34:35], off
	ds_read_b64 v[64:65], v61
	s_add_i32 s28, s28, -1
	v_mov_b32_e32 v66, s71
	v_add_co_u32_e32 v34, vcc, s70, v34
	v_add_u32_e32 v61, 8, v61
	v_addc_co_u32_e32 v35, vcc, v35, v66, vcc
	s_cmp_eq_u32 s28, 0
	s_waitcnt vmcnt(0) lgkmcnt(0)
	v_fmac_f64_e32 v[32:33], v[64:65], v[62:63]
	s_cbranch_scc0 .LBB194_49
	s_branch .LBB194_32
.LBB194_50:                             ;   in Loop: Header=BB194_22 Depth=2
	s_or_b64 exec, exec, s[80:81]
	v_pk_mov_b32 v[22:23], v[30:31], v[30:31] op_sel:[0,1]
.LBB194_51:                             ;   in Loop: Header=BB194_22 Depth=2
	s_or_b64 exec, exec, s[78:79]
.LBB194_52:                             ;   in Loop: Header=BB194_22 Depth=2
	s_or_b64 exec, exec, s[76:77]
	s_waitcnt lgkmcnt(0)
	s_barrier
	s_and_saveexec_b64 s[28:29], s[26:27]
	s_cbranch_execz .LBB194_21
; %bb.53:                               ;   in Loop: Header=BB194_22 Depth=2
	v_lshlrev_b64 v[20:21], 3, v[20:21]
	v_mov_b32_e32 v24, s65
	v_add_co_u32_e32 v20, vcc, s64, v20
	v_addc_co_u32_e32 v21, vcc, v24, v21, vcc
	global_store_dwordx2 v[20:21], v[22:23], off
	s_branch .LBB194_21
.LBB194_54:                             ;   in Loop: Header=BB194_22 Depth=2
                                        ; implicit-def: $vgpr22_vgpr23
	s_branch .LBB194_29
.LBB194_55:                             ;   in Loop: Header=BB194_13 Depth=1
	s_andn2_b64 vcc, exec, s[34:35]
	s_cbranch_vccnz .LBB194_67
; %bb.56:                               ;   in Loop: Header=BB194_13 Depth=1
	s_load_dwordx4 s[28:31], s[36:37], 0x0
	s_waitcnt lgkmcnt(0)
	s_sub_u32 s30, s30, s56
	v_mov_b32_e32 v20, s29
	v_add_co_u32_e32 v24, vcc, s28, v41
	s_subb_u32 s31, s31, 0
	v_addc_co_u32_e32 v25, vcc, v20, v42, vcc
	v_cmp_gt_i64_e32 vcc, s[30:31], v[24:25]
	s_and_saveexec_b64 s[74:75], vcc
	s_cbranch_execz .LBB194_66
; %bb.57:                               ;   in Loop: Header=BB194_13 Depth=1
	v_lshlrev_b64 v[20:21], 2, v[24:25]
	v_mov_b32_e32 v22, s39
	v_add_co_u32_e32 v20, vcc, s38, v20
	v_addc_co_u32_e32 v21, vcc, v22, v21, vcc
	v_mad_u64_u32 v[22:23], s[26:27], s68, v24, v[12:13]
	v_mul_lo_u32 v25, s68, v25
	v_mul_lo_u32 v24, s69, v24
	v_add3_u32 v23, v24, v23, v25
	v_mov_b32_e32 v25, s29
	v_add_co_u32_e32 v24, vcc, s28, v55
	v_addc_co_u32_e32 v25, vcc, v56, v25, vcc
	s_mov_b64 s[76:77], 0
	s_branch .LBB194_60
.LBB194_58:                             ;   in Loop: Header=BB194_60 Depth=2
	s_or_b64 exec, exec, s[78:79]
	s_or_b64 s[26:27], s[26:27], exec
.LBB194_59:                             ;   in Loop: Header=BB194_60 Depth=2
	s_or_b64 exec, exec, s[28:29]
	v_cmp_le_i64_e32 vcc, s[30:31], v[24:25]
	s_xor_b64 s[26:27], s[26:27], -1
	s_or_b64 s[26:27], s[26:27], vcc
	v_add_co_u32_e32 v20, vcc, 0x100, v20
	v_addc_co_u32_e32 v21, vcc, 0, v21, vcc
	v_mov_b32_e32 v26, s73
	v_add_co_u32_e32 v22, vcc, s72, v22
	v_addc_co_u32_e32 v23, vcc, v23, v26, vcc
	s_and_b64 s[26:27], exec, s[26:27]
	v_add_co_u32_e32 v24, vcc, 64, v24
	s_or_b64 s[76:77], s[26:27], s[76:77]
	v_addc_co_u32_e32 v25, vcc, 0, v25, vcc
	s_andn2_b64 exec, exec, s[76:77]
	s_cbranch_execz .LBB194_65
.LBB194_60:                             ;   Parent Loop BB194_13 Depth=1
                                        ; =>  This Inner Loop Header: Depth=2
	global_load_dword v26, v[20:21], off
	s_waitcnt vmcnt(0)
	v_subrev_u32_e32 v26, s55, v26
	v_cmp_gt_i32_e64 s[26:27], s43, v26
	v_cmp_ge_i32_e64 s[28:29], v26, v0
	v_cmp_lt_i32_e32 vcc, v26, v0
	s_or_b64 s[28:29], s[26:27], s[28:29]
                                        ; implicit-def: $sgpr26_sgpr27
	s_and_saveexec_b64 s[78:79], s[28:29]
	s_xor_b64 s[28:29], exec, s[78:79]
; %bb.61:                               ;   in Loop: Header=BB194_60 Depth=2
	v_min_i32_e32 v26, v26, v7
	v_cndmask_b32_e32 v7, v26, v7, vcc
	s_and_b64 s[26:27], vcc, exec
                                        ; implicit-def: $vgpr26
; %bb.62:                               ;   in Loop: Header=BB194_60 Depth=2
	s_andn2_saveexec_b64 s[28:29], s[28:29]
	s_cbranch_execz .LBB194_59
; %bb.63:                               ;   in Loop: Header=BB194_60 Depth=2
	v_subrev_u32_e32 v26, s43, v26
	v_lshlrev_b32_e32 v26, 2, v26
	ds_write_b32 v26, v59 offset:10240
	s_and_saveexec_b64 s[78:79], s[4:5]
	s_cbranch_execz .LBB194_58
; %bb.64:                               ;   in Loop: Header=BB194_60 Depth=2
	global_load_dwordx2 v[28:29], v[22:23], off
	v_or3_b32 v30, v26, v40, v11
	s_waitcnt vmcnt(0)
	v_mul_f64 v[26:27], v[4:5], v[28:29]
	v_lshlrev_b32_e32 v28, 3, v30
	ds_add_f64 v28, v[26:27]
	s_branch .LBB194_58
.LBB194_65:                             ;   in Loop: Header=BB194_13 Depth=1
	s_or_b64 exec, exec, s[76:77]
.LBB194_66:                             ;   in Loop: Header=BB194_13 Depth=1
	s_or_b64 exec, exec, s[74:75]
.LBB194_67:                             ;   in Loop: Header=BB194_13 Depth=1
	s_and_saveexec_b64 s[26:27], s[6:7]
	s_cbranch_execz .LBB194_72
; %bb.68:                               ;   in Loop: Header=BB194_13 Depth=1
	s_mov_b64 s[28:29], exec
	s_brev_b32 s30, -2
.LBB194_69:                             ;   Parent Loop BB194_13 Depth=1
                                        ; =>  This Inner Loop Header: Depth=2
	s_ff1_i32_b64 s31, s[28:29]
	v_readlane_b32 s76, v7, s31
	s_lshl_b64 s[74:75], 1, s31
	s_min_i32 s30, s30, s76
	s_andn2_b64 s[28:29], s[28:29], s[74:75]
	s_cmp_lg_u64 s[28:29], 0
	s_cbranch_scc1 .LBB194_69
; %bb.70:                               ;   in Loop: Header=BB194_13 Depth=1
	v_mbcnt_lo_u32_b32 v0, exec_lo, 0
	v_mbcnt_hi_u32_b32 v0, exec_hi, v0
	v_cmp_eq_u32_e32 vcc, 0, v0
	s_and_saveexec_b64 s[28:29], vcc
	s_xor_b64 s[28:29], exec, s[28:29]
	s_cbranch_execz .LBB194_72
; %bb.71:                               ;   in Loop: Header=BB194_13 Depth=1
	v_mov_b32_e32 v0, s30
	ds_min_i32 v8, v0 offset:11264
.LBB194_72:                             ;   in Loop: Header=BB194_13 Depth=1
	s_or_b64 exec, exec, s[26:27]
	s_waitcnt lgkmcnt(0)
	s_barrier
	ds_read_b32 v0, v43
	s_waitcnt lgkmcnt(0)
	s_barrier
	s_and_saveexec_b64 s[26:27], s[10:11]
	s_cbranch_execz .LBB194_74
; %bb.73:                               ;   in Loop: Header=BB194_13 Depth=1
	ds_read_b32 v7, v44
	s_waitcnt lgkmcnt(0)
	v_add_u32_e32 v0, v7, v0
.LBB194_74:                             ;   in Loop: Header=BB194_13 Depth=1
	s_or_b64 exec, exec, s[26:27]
	s_barrier
	ds_write_b32 v43, v0
	s_waitcnt lgkmcnt(0)
	s_barrier
	s_and_saveexec_b64 s[26:27], s[12:13]
	s_cbranch_execz .LBB194_76
; %bb.75:                               ;   in Loop: Header=BB194_13 Depth=1
	ds_read_b32 v7, v45
	s_waitcnt lgkmcnt(0)
	v_add_u32_e32 v0, v7, v0
.LBB194_76:                             ;   in Loop: Header=BB194_13 Depth=1
	s_or_b64 exec, exec, s[26:27]
	s_barrier
	ds_write_b32 v43, v0
	;; [unrolled: 12-line block ×8, first 2 shown]
	s_waitcnt lgkmcnt(0)
	s_barrier
	ds_read_b32 v20, v8 offset:11260
	v_mov_b32_e32 v7, 0
	s_and_saveexec_b64 s[26:27], s[8:9]
	s_cbranch_execz .LBB194_90
; %bb.89:                               ;   in Loop: Header=BB194_13 Depth=1
	ds_read_b32 v7, v44
.LBB194_90:                             ;   in Loop: Header=BB194_13 Depth=1
	s_or_b64 exec, exec, s[26:27]
	s_waitcnt lgkmcnt(0)
	v_cmp_eq_u32_e32 vcc, v0, v7
	s_and_b64 s[28:29], s[8:9], vcc
	s_barrier
	s_and_saveexec_b64 s[26:27], s[28:29]
	s_cbranch_execz .LBB194_92
; %bb.91:                               ;   in Loop: Header=BB194_13 Depth=1
	ds_write_b32 v43, v8
.LBB194_92:                             ;   in Loop: Header=BB194_13 Depth=1
	s_or_b64 exec, exec, s[26:27]
	v_add_co_u32_e32 v21, vcc, -1, v18
	v_addc_co_u32_e32 v22, vcc, -1, v19, vcc
	s_add_i32 s30, s54, s43
	s_mov_b64 s[26:27], 0
	v_mov_b32_e32 v23, v58
	v_mov_b32_e32 v24, v57
	;; [unrolled: 1-line block ×3, first 2 shown]
	s_waitcnt lgkmcnt(0)
	s_barrier
	s_branch .LBB194_94
.LBB194_93:                             ;   in Loop: Header=BB194_94 Depth=2
	s_or_b64 exec, exec, s[28:29]
	v_add_u32_e32 v0, 64, v25
	v_cmp_lt_u32_e32 vcc, s95, v25
	v_add_u32_e32 v24, 0x800, v24
	v_add_u32_e32 v23, 0x100, v23
	s_or_b64 s[26:27], vcc, s[26:27]
	v_mov_b32_e32 v25, v0
	s_andn2_b64 exec, exec, s[26:27]
	s_cbranch_execz .LBB194_12
.LBB194_94:                             ;   Parent Loop BB194_13 Depth=1
                                        ; =>  This Inner Loop Header: Depth=2
	ds_read_b32 v0, v23
	s_waitcnt lgkmcnt(0)
	v_cmp_ne_u32_e32 vcc, 0, v0
	s_and_saveexec_b64 s[28:29], vcc
	s_cbranch_execz .LBB194_93
; %bb.95:                               ;   in Loop: Header=BB194_94 Depth=2
	v_ashrrev_i32_e32 v7, 31, v0
	v_add_co_u32_e32 v26, vcc, v18, v0
	v_addc_co_u32_e32 v27, vcc, v19, v7, vcc
	v_lshlrev_b64 v[26:27], 2, v[26:27]
	v_mov_b32_e32 v29, s94
	v_add_co_u32_e32 v26, vcc, s93, v26
	v_add_u32_e32 v28, s30, v25
	v_addc_co_u32_e32 v27, vcc, v29, v27, vcc
	global_store_dword v[26:27], v28, off
	s_and_b64 exec, exec, s[4:5]
	s_cbranch_execz .LBB194_93
; %bb.96:                               ;   in Loop: Header=BB194_94 Depth=2
	v_add_co_u32_e32 v0, vcc, v21, v0
	v_mad_u64_u32 v[28:29], s[74:75], v0, s42, 0
	v_addc_co_u32_e32 v7, vcc, v22, v7, vcc
	v_mov_b32_e32 v0, v29
	ds_read_b64 v[26:27], v24
	v_mad_u64_u32 v[30:31], s[74:75], v7, s42, v[0:1]
	v_mov_b32_e32 v29, v30
	v_lshlrev_b64 v[28:29], 3, v[28:29]
	v_add_co_u32_e32 v28, vcc, v10, v28
	v_addc_co_u32_e32 v29, vcc, v1, v29, vcc
	s_waitcnt lgkmcnt(0)
	global_store_dwordx2 v[28:29], v[26:27], off
	s_branch .LBB194_93
.LBB194_97:
	s_endpgm
	.section	.rodata,"a",@progbits
	.p2align	6, 0x0
	.amdhsa_kernel _ZN9rocsparseL38bsrgemm_block_per_row_atomic_multipassILj256ELj256ELj2ElidEEv20rocsparse_direction_T3_S2_PKS2_S4_NS_24const_host_device_scalarIT4_EEPKT2_S4_PKS6_SA_S4_SC_S7_SA_S4_SC_SA_PS2_PS6_PS8_21rocsparse_index_base_SG_SG_SG_bbb
		.amdhsa_group_segment_fixed_size 11272
		.amdhsa_private_segment_fixed_size 0
		.amdhsa_kernarg_size 172
		.amdhsa_user_sgpr_count 6
		.amdhsa_user_sgpr_private_segment_buffer 1
		.amdhsa_user_sgpr_dispatch_ptr 0
		.amdhsa_user_sgpr_queue_ptr 0
		.amdhsa_user_sgpr_kernarg_segment_ptr 1
		.amdhsa_user_sgpr_dispatch_id 0
		.amdhsa_user_sgpr_flat_scratch_init 0
		.amdhsa_user_sgpr_kernarg_preload_length 0
		.amdhsa_user_sgpr_kernarg_preload_offset 0
		.amdhsa_user_sgpr_private_segment_size 0
		.amdhsa_uses_dynamic_stack 0
		.amdhsa_system_sgpr_private_segment_wavefront_offset 0
		.amdhsa_system_sgpr_workgroup_id_x 1
		.amdhsa_system_sgpr_workgroup_id_y 0
		.amdhsa_system_sgpr_workgroup_id_z 0
		.amdhsa_system_sgpr_workgroup_info 0
		.amdhsa_system_vgpr_workitem_id 0
		.amdhsa_next_free_vgpr 67
		.amdhsa_next_free_sgpr 96
		.amdhsa_accum_offset 68
		.amdhsa_reserve_vcc 1
		.amdhsa_reserve_flat_scratch 0
		.amdhsa_float_round_mode_32 0
		.amdhsa_float_round_mode_16_64 0
		.amdhsa_float_denorm_mode_32 3
		.amdhsa_float_denorm_mode_16_64 3
		.amdhsa_dx10_clamp 1
		.amdhsa_ieee_mode 1
		.amdhsa_fp16_overflow 0
		.amdhsa_tg_split 0
		.amdhsa_exception_fp_ieee_invalid_op 0
		.amdhsa_exception_fp_denorm_src 0
		.amdhsa_exception_fp_ieee_div_zero 0
		.amdhsa_exception_fp_ieee_overflow 0
		.amdhsa_exception_fp_ieee_underflow 0
		.amdhsa_exception_fp_ieee_inexact 0
		.amdhsa_exception_int_div_zero 0
	.end_amdhsa_kernel
	.section	.text._ZN9rocsparseL38bsrgemm_block_per_row_atomic_multipassILj256ELj256ELj2ElidEEv20rocsparse_direction_T3_S2_PKS2_S4_NS_24const_host_device_scalarIT4_EEPKT2_S4_PKS6_SA_S4_SC_S7_SA_S4_SC_SA_PS2_PS6_PS8_21rocsparse_index_base_SG_SG_SG_bbb,"axG",@progbits,_ZN9rocsparseL38bsrgemm_block_per_row_atomic_multipassILj256ELj256ELj2ElidEEv20rocsparse_direction_T3_S2_PKS2_S4_NS_24const_host_device_scalarIT4_EEPKT2_S4_PKS6_SA_S4_SC_S7_SA_S4_SC_SA_PS2_PS6_PS8_21rocsparse_index_base_SG_SG_SG_bbb,comdat
.Lfunc_end194:
	.size	_ZN9rocsparseL38bsrgemm_block_per_row_atomic_multipassILj256ELj256ELj2ElidEEv20rocsparse_direction_T3_S2_PKS2_S4_NS_24const_host_device_scalarIT4_EEPKT2_S4_PKS6_SA_S4_SC_S7_SA_S4_SC_SA_PS2_PS6_PS8_21rocsparse_index_base_SG_SG_SG_bbb, .Lfunc_end194-_ZN9rocsparseL38bsrgemm_block_per_row_atomic_multipassILj256ELj256ELj2ElidEEv20rocsparse_direction_T3_S2_PKS2_S4_NS_24const_host_device_scalarIT4_EEPKT2_S4_PKS6_SA_S4_SC_S7_SA_S4_SC_SA_PS2_PS6_PS8_21rocsparse_index_base_SG_SG_SG_bbb
                                        ; -- End function
	.section	.AMDGPU.csdata,"",@progbits
; Kernel info:
; codeLenInByte = 3500
; NumSgprs: 100
; NumVgprs: 67
; NumAgprs: 0
; TotalNumVgprs: 67
; ScratchSize: 0
; MemoryBound: 0
; FloatMode: 240
; IeeeMode: 1
; LDSByteSize: 11272 bytes/workgroup (compile time only)
; SGPRBlocks: 12
; VGPRBlocks: 8
; NumSGPRsForWavesPerEU: 100
; NumVGPRsForWavesPerEU: 67
; AccumOffset: 68
; Occupancy: 5
; WaveLimiterHint : 1
; COMPUTE_PGM_RSRC2:SCRATCH_EN: 0
; COMPUTE_PGM_RSRC2:USER_SGPR: 6
; COMPUTE_PGM_RSRC2:TRAP_HANDLER: 0
; COMPUTE_PGM_RSRC2:TGID_X_EN: 1
; COMPUTE_PGM_RSRC2:TGID_Y_EN: 0
; COMPUTE_PGM_RSRC2:TGID_Z_EN: 0
; COMPUTE_PGM_RSRC2:TIDIG_COMP_CNT: 0
; COMPUTE_PGM_RSRC3_GFX90A:ACCUM_OFFSET: 16
; COMPUTE_PGM_RSRC3_GFX90A:TG_SPLIT: 0
	.section	.text._ZN9rocsparseL23bsrgemm_fill_wf_per_rowILj256ELj64ELj8ELj137ELj4ElidEEv20rocsparse_direction_T5_S2_S2_PKS2_S4_NS_24const_host_device_scalarIT6_EEPKT4_S4_PKS6_SA_S4_SC_S7_SA_S4_SC_SA_PS2_PS6_21rocsparse_index_base_SF_SF_SF_bbb,"axG",@progbits,_ZN9rocsparseL23bsrgemm_fill_wf_per_rowILj256ELj64ELj8ELj137ELj4ElidEEv20rocsparse_direction_T5_S2_S2_PKS2_S4_NS_24const_host_device_scalarIT6_EEPKT4_S4_PKS6_SA_S4_SC_S7_SA_S4_SC_SA_PS2_PS6_21rocsparse_index_base_SF_SF_SF_bbb,comdat
	.globl	_ZN9rocsparseL23bsrgemm_fill_wf_per_rowILj256ELj64ELj8ELj137ELj4ElidEEv20rocsparse_direction_T5_S2_S2_PKS2_S4_NS_24const_host_device_scalarIT6_EEPKT4_S4_PKS6_SA_S4_SC_S7_SA_S4_SC_SA_PS2_PS6_21rocsparse_index_base_SF_SF_SF_bbb ; -- Begin function _ZN9rocsparseL23bsrgemm_fill_wf_per_rowILj256ELj64ELj8ELj137ELj4ElidEEv20rocsparse_direction_T5_S2_S2_PKS2_S4_NS_24const_host_device_scalarIT6_EEPKT4_S4_PKS6_SA_S4_SC_S7_SA_S4_SC_SA_PS2_PS6_21rocsparse_index_base_SF_SF_SF_bbb
	.p2align	8
	.type	_ZN9rocsparseL23bsrgemm_fill_wf_per_rowILj256ELj64ELj8ELj137ELj4ElidEEv20rocsparse_direction_T5_S2_S2_PKS2_S4_NS_24const_host_device_scalarIT6_EEPKT4_S4_PKS6_SA_S4_SC_S7_SA_S4_SC_SA_PS2_PS6_21rocsparse_index_base_SF_SF_SF_bbb,@function
_ZN9rocsparseL23bsrgemm_fill_wf_per_rowILj256ELj64ELj8ELj137ELj4ElidEEv20rocsparse_direction_T5_S2_S2_PKS2_S4_NS_24const_host_device_scalarIT6_EEPKT4_S4_PKS6_SA_S4_SC_S7_SA_S4_SC_SA_PS2_PS6_21rocsparse_index_base_SF_SF_SF_bbb: ; @_ZN9rocsparseL23bsrgemm_fill_wf_per_rowILj256ELj64ELj8ELj137ELj4ElidEEv20rocsparse_direction_T5_S2_S2_PKS2_S4_NS_24const_host_device_scalarIT6_EEPKT4_S4_PKS6_SA_S4_SC_S7_SA_S4_SC_SA_PS2_PS6_21rocsparse_index_base_SF_SF_SF_bbb
; %bb.0:
	s_load_dword s7, s[4:5], 0xa0
	s_load_dwordx2 s[10:11], s[4:5], 0x20
	s_load_dwordx2 s[2:3], s[4:5], 0x58
	s_waitcnt lgkmcnt(0)
	s_and_b32 s0, 1, s7
	s_bitcmp1_b32 s7, 16
	s_cselect_b64 s[8:9], -1, 0
	s_cmp_eq_u32 s0, 1
	s_cselect_b64 s[0:1], -1, 0
	s_and_b64 s[12:13], s[0:1], exec
	s_cselect_b32 s13, s11, 0
	s_cselect_b32 s12, s10, 0
	s_xor_b64 s[14:15], s[0:1], -1
	s_or_b64 s[14:15], s[14:15], s[8:9]
	s_and_b64 vcc, exec, s[14:15]
	v_pk_mov_b32 v[10:11], s[12:13], s[12:13] op_sel:[0,1]
	s_cbranch_vccnz .LBB195_2
; %bb.1:
	v_pk_mov_b32 v[2:3], s[10:11], s[10:11] op_sel:[0,1]
	flat_load_dwordx2 v[10:11], v[2:3]
.LBB195_2:
	s_bitcmp1_b32 s7, 8
	s_load_dwordx4 s[36:39], s[4:5], 0x90
	s_cselect_b64 s[34:35], -1, 0
	s_and_b64 s[10:11], s[34:35], exec
	s_cselect_b32 s11, s3, 0
	s_cselect_b32 s10, s2, 0
	s_xor_b64 s[12:13], s[34:35], -1
	s_or_b64 s[8:9], s[12:13], s[8:9]
	s_and_b64 vcc, exec, s[8:9]
	v_pk_mov_b32 v[6:7], s[10:11], s[10:11] op_sel:[0,1]
	s_cbranch_vccnz .LBB195_4
; %bb.3:
	v_pk_mov_b32 v[2:3], s[2:3], s[2:3] op_sel:[0,1]
	flat_load_dwordx2 v[6:7], v[2:3]
.LBB195_4:
	s_load_dwordx4 s[40:43], s[4:5], 0x80
	s_load_dwordx8 s[16:23], s[4:5], 0x60
	s_load_dwordx4 s[44:47], s[4:5], 0x48
	s_load_dwordx8 s[8:15], s[4:5], 0x0
	s_load_dwordx8 s[24:31], s[4:5], 0x28
	v_and_b32_e32 v1, 63, v0
	v_lshrrev_b32_e32 v35, 6, v0
	v_mov_b32_e32 v2, 0x1000
	v_lshl_or_b32 v34, v35, 5, v2
	v_cmp_gt_u32_e32 vcc, 8, v1
	s_and_saveexec_b64 s[2:3], vcc
	s_cbranch_execz .LBB195_6
; %bb.5:
	v_lshl_add_u32 v2, v1, 2, v34
	s_waitcnt lgkmcnt(0)
	v_mov_b32_e32 v3, s10
	ds_write_b32 v2, v3
.LBB195_6:
	s_or_b64 exec, exec, s[2:3]
	v_lshlrev_b32_e32 v36, 10, v35
	v_mov_b32_e32 v2, 0
	v_or_b32_e32 v4, 0xffffffc0, v1
	v_lshl_or_b32 v5, v1, 3, v36
	s_mov_b64 s[2:3], 0
	v_mov_b32_e32 v3, v2
.LBB195_7:                              ; =>This Inner Loop Header: Depth=1
	v_add_co_u32_e32 v4, vcc, 64, v4
	s_xor_b64 s[4:5], vcc, -1
	s_and_b64 s[4:5], exec, s[4:5]
	ds_write_b64 v5, v[2:3]
	s_or_b64 s[2:3], s[4:5], s[2:3]
	v_add_u32_e32 v5, 0x200, v5
	s_andn2_b64 exec, exec, s[2:3]
	s_cbranch_execnz .LBB195_7
; %bb.8:
	s_or_b64 exec, exec, s[2:3]
	v_lshl_or_b32 v2, s6, 2, v35
	s_waitcnt lgkmcnt(0)
	v_cmp_gt_i32_e32 vcc, s9, v2
	s_barrier
	s_and_saveexec_b64 s[2:3], vcc
	s_cbranch_execz .LBB195_64
; %bb.9:
	s_cmp_eq_u64 s[14:15], 0
	s_cbranch_scc1 .LBB195_11
; %bb.10:
	s_load_dword s2, s[12:13], 0x0
	v_mov_b32_e32 v4, s15
	s_waitcnt lgkmcnt(0)
	v_add_u32_e32 v2, s2, v2
	v_ashrrev_i32_e32 v3, 31, v2
	v_lshlrev_b64 v[2:3], 2, v[2:3]
	v_add_co_u32_e32 v2, vcc, s14, v2
	v_addc_co_u32_e32 v3, vcc, v4, v3, vcc
	global_load_dword v2, v[2:3], off
.LBB195_11:
	s_waitcnt vmcnt(0)
	v_ashrrev_i32_e32 v3, 31, v2
	v_lshrrev_b32_e32 v37, 4, v1
	v_and_b32_e32 v38, 3, v0
	v_bfe_u32 v39, v0, 2, 2
	s_andn2_b64 vcc, exec, s[0:1]
	s_mul_i32 s4, s11, s11
	v_lshlrev_b64 v[8:9], 3, v[2:3]
	s_cbranch_vccnz .LBB195_41
; %bb.12:
	v_mov_b32_e32 v1, s25
	v_add_co_u32_e32 v2, vcc, s24, v8
	v_addc_co_u32_e32 v3, vcc, v1, v9, vcc
	global_load_dwordx4 v[2:5], v[2:3], off
	v_subrev_co_u32_e32 v1, vcc, s36, v37
	v_subb_co_u32_e64 v15, s[0:1], 0, 0, vcc
	s_mov_b32 s9, 0
	s_waitcnt vmcnt(0)
	v_subrev_co_u32_e32 v12, vcc, s36, v4
	v_subbrev_co_u32_e32 v13, vcc, 0, v5, vcc
	v_add_co_u32_e32 v14, vcc, v2, v1
	v_addc_co_u32_e32 v15, vcc, v3, v15, vcc
	v_cmp_lt_i64_e32 vcc, v[14:15], v[12:13]
	s_and_saveexec_b64 s[6:7], vcc
	s_cbranch_execz .LBB195_40
; %bb.13:
	v_mul_lo_u32 v2, v38, s11
	v_mov_b32_e32 v3, 0
	v_mov_b32_e32 v5, v3
	v_lshlrev_b64 v[2:3], 3, v[2:3]
	v_mov_b32_e32 v21, s47
	v_add_co_u32_e32 v16, vcc, s46, v2
	v_addc_co_u32_e32 v17, vcc, v21, v3, vcc
	v_mad_u64_u32 v[2:3], s[2:3], v14, s4, 0
	v_mov_b32_e32 v18, v3
	v_mad_u64_u32 v[18:19], s[2:3], v15, s4, v[18:19]
	v_mov_b32_e32 v3, v18
	v_lshlrev_b64 v[2:3], 3, v[2:3]
	v_lshlrev_b32_e32 v18, 3, v39
	v_add_co_u32_e32 v18, vcc, v2, v18
	v_addc_co_u32_e32 v19, vcc, 0, v3, vcc
	v_mov_b32_e32 v23, s29
	v_add_co_u32_e32 v18, vcc, s28, v18
	v_addc_co_u32_e32 v19, vcc, v23, v19, vcc
	v_lshlrev_b32_e32 v20, 3, v38
	v_mul_lo_u32 v4, v39, s11
	v_add_co_u32_e32 v20, vcc, s46, v20
	v_addc_co_u32_e32 v21, vcc, 0, v21, vcc
	v_lshlrev_b64 v[4:5], 3, v[4:5]
	v_add_co_u32_e32 v2, vcc, v2, v4
	s_cmp_lg_u32 s8, 0
	v_addc_co_u32_e32 v3, vcc, v3, v5, vcc
	v_max_i32_e32 v1, v38, v39
	s_cselect_b64 s[12:13], -1, 0
	s_cmp_gt_i32 s11, 0
	s_mov_b32 s5, s9
	s_mov_b32 s2, s11
	;; [unrolled: 1-line block ×3, first 2 shown]
	v_add_co_u32_e32 v22, vcc, s28, v2
	s_mov_b32 s33, s37
	v_cmp_gt_i32_e64 s[0:1], s11, v1
	s_cselect_b64 s[14:15], -1, 0
	v_and_b32_e32 v1, 15, v0
	s_lshl_b64 s[24:25], s[4:5], 3
	s_lshl_b64 s[48:49], s[4:5], 5
	;; [unrolled: 1-line block ×3, first 2 shown]
	v_addc_co_u32_e32 v23, vcc, v23, v3, vcc
	s_mov_b64 s[28:29], 0
	v_mov_b32_e32 v40, s27
	v_mov_b32_e32 v41, s31
	s_branch .LBB195_15
.LBB195_14:                             ;   in Loop: Header=BB195_15 Depth=1
	s_or_b64 exec, exec, s[46:47]
	v_add_co_u32_e32 v14, vcc, 4, v14
	v_addc_co_u32_e32 v15, vcc, 0, v15, vcc
	v_mov_b32_e32 v2, s49
	v_add_co_u32_e32 v18, vcc, s48, v18
	v_addc_co_u32_e32 v19, vcc, v19, v2, vcc
	v_cmp_ge_i64_e32 vcc, v[14:15], v[12:13]
	s_or_b64 s[28:29], vcc, s[28:29]
	v_add_co_u32_e32 v22, vcc, s48, v22
	v_addc_co_u32_e32 v23, vcc, v23, v2, vcc
	s_andn2_b64 exec, exec, s[28:29]
	s_cbranch_execz .LBB195_40
.LBB195_15:                             ; =>This Loop Header: Depth=1
                                        ;     Child Loop BB195_18 Depth 2
                                        ;       Child Loop BB195_22 Depth 3
                                        ;       Child Loop BB195_27 Depth 3
	;; [unrolled: 1-line block ×3, first 2 shown]
	v_lshlrev_b64 v[2:3], 2, v[14:15]
	v_add_co_u32_e32 v2, vcc, s26, v2
	v_addc_co_u32_e32 v3, vcc, v40, v3, vcc
	global_load_dword v2, v[2:3], off
	s_waitcnt vmcnt(0)
	v_subrev_u32_e32 v2, s36, v2
	v_ashrrev_i32_e32 v3, 31, v2
	v_lshlrev_b64 v[2:3], 3, v[2:3]
	v_add_co_u32_e32 v2, vcc, s30, v2
	v_addc_co_u32_e32 v3, vcc, v41, v3, vcc
	global_load_dwordx4 v[2:5], v[2:3], off
	s_waitcnt vmcnt(0)
	v_cmp_lt_i64_e32 vcc, v[2:3], v[4:5]
	s_and_saveexec_b64 s[46:47], vcc
	s_cbranch_execz .LBB195_14
; %bb.16:                               ;   in Loop: Header=BB195_15 Depth=1
	v_mov_b32_e32 v24, s9
	v_subrev_co_u32_e32 v4, vcc, s33, v4
	v_subb_co_u32_e32 v5, vcc, v5, v24, vcc
	v_subrev_co_u32_e32 v2, vcc, s33, v2
	v_subb_co_u32_e32 v3, vcc, v3, v24, vcc
	v_mad_u64_u32 v[24:25], s[2:3], s24, v2, v[16:17]
	v_mul_lo_u32 v28, s24, v3
	v_mul_lo_u32 v29, s25, v2
	v_mad_u64_u32 v[26:27], s[2:3], s24, v2, v[20:21]
	v_add3_u32 v25, v29, v25, v28
	v_add3_u32 v27, v29, v27, v28
	s_mov_b64 s[52:53], 0
	s_branch .LBB195_18
.LBB195_17:                             ;   in Loop: Header=BB195_18 Depth=2
	s_or_b64 exec, exec, s[54:55]
	v_add_co_u32_e32 v2, vcc, 1, v2
	v_addc_co_u32_e32 v3, vcc, 0, v3, vcc
	v_mov_b32_e32 v28, s25
	v_add_co_u32_e32 v24, vcc, s24, v24
	v_addc_co_u32_e32 v25, vcc, v25, v28, vcc
	v_cmp_ge_i64_e32 vcc, v[2:3], v[4:5]
	s_or_b64 s[52:53], vcc, s[52:53]
	v_add_co_u32_e32 v26, vcc, s24, v26
	v_addc_co_u32_e32 v27, vcc, v27, v28, vcc
	s_andn2_b64 exec, exec, s[52:53]
	s_cbranch_execz .LBB195_14
.LBB195_18:                             ;   Parent Loop BB195_15 Depth=1
                                        ; =>  This Loop Header: Depth=2
                                        ;       Child Loop BB195_22 Depth 3
                                        ;       Child Loop BB195_27 Depth 3
	;; [unrolled: 1-line block ×3, first 2 shown]
	s_and_saveexec_b64 s[54:55], s[0:1]
	s_cbranch_execz .LBB195_17
; %bb.19:                               ;   in Loop: Header=BB195_18 Depth=2
	v_lshlrev_b64 v[28:29], 2, v[2:3]
	v_mov_b32_e32 v30, s45
	v_add_co_u32_e32 v28, vcc, s44, v28
	v_addc_co_u32_e32 v29, vcc, v30, v29, vcc
	global_load_dword v42, v[28:29], off
	v_cndmask_b32_e64 v28, 0, 1, s[14:15]
	s_andn2_b64 vcc, exec, s[12:13]
	v_cmp_ne_u32_e64 s[2:3], 1, v28
	s_cbranch_vccnz .LBB195_24
; %bb.20:                               ;   in Loop: Header=BB195_18 Depth=2
	v_pk_mov_b32 v[28:29], 0, 0
	s_and_b64 vcc, exec, s[2:3]
	s_cbranch_vccnz .LBB195_23
; %bb.21:                               ;   in Loop: Header=BB195_18 Depth=2
	v_pk_mov_b32 v[30:31], v[18:19], v[18:19] op_sel:[0,1]
	v_pk_mov_b32 v[32:33], v[24:25], v[24:25] op_sel:[0,1]
	s_mov_b32 s5, s11
.LBB195_22:                             ;   Parent Loop BB195_15 Depth=1
                                        ;     Parent Loop BB195_18 Depth=2
                                        ; =>    This Inner Loop Header: Depth=3
	global_load_dwordx2 v[44:45], v[30:31], off
	global_load_dwordx2 v[46:47], v[32:33], off
	v_add_co_u32_e32 v32, vcc, 8, v32
	v_addc_co_u32_e32 v33, vcc, 0, v33, vcc
	s_add_i32 s5, s5, -1
	v_mov_b32_e32 v43, s51
	v_add_co_u32_e32 v30, vcc, s50, v30
	v_addc_co_u32_e32 v31, vcc, v31, v43, vcc
	s_cmp_lg_u32 s5, 0
	s_waitcnt vmcnt(0)
	v_fmac_f64_e32 v[28:29], v[44:45], v[46:47]
	s_cbranch_scc1 .LBB195_22
.LBB195_23:                             ;   in Loop: Header=BB195_18 Depth=2
	s_cbranch_execz .LBB195_25
	s_branch .LBB195_28
.LBB195_24:                             ;   in Loop: Header=BB195_18 Depth=2
                                        ; implicit-def: $vgpr28_vgpr29
.LBB195_25:                             ;   in Loop: Header=BB195_18 Depth=2
	v_pk_mov_b32 v[28:29], 0, 0
	s_and_b64 vcc, exec, s[2:3]
	s_cbranch_vccnz .LBB195_28
; %bb.26:                               ;   in Loop: Header=BB195_18 Depth=2
	v_pk_mov_b32 v[30:31], v[22:23], v[22:23] op_sel:[0,1]
	v_pk_mov_b32 v[32:33], v[26:27], v[26:27] op_sel:[0,1]
	s_mov_b32 s2, s11
.LBB195_27:                             ;   Parent Loop BB195_15 Depth=1
                                        ;     Parent Loop BB195_18 Depth=2
                                        ; =>    This Inner Loop Header: Depth=3
	global_load_dwordx2 v[44:45], v[30:31], off
	global_load_dwordx2 v[46:47], v[32:33], off
	v_add_co_u32_e32 v30, vcc, 8, v30
	v_addc_co_u32_e32 v31, vcc, 0, v31, vcc
	s_add_i32 s2, s2, -1
	v_mov_b32_e32 v43, s51
	v_add_co_u32_e32 v32, vcc, s50, v32
	v_addc_co_u32_e32 v33, vcc, v33, v43, vcc
	s_cmp_eq_u32 s2, 0
	s_waitcnt vmcnt(0)
	v_fmac_f64_e32 v[28:29], v[44:45], v[46:47]
	s_cbranch_scc0 .LBB195_27
.LBB195_28:                             ;   in Loop: Header=BB195_18 Depth=2
	s_waitcnt vmcnt(0)
	v_subrev_u32_e32 v30, s37, v42
	v_mul_f64 v[28:29], v[10:11], v[28:29]
	v_and_b32_e32 v31, 7, v30
	s_mov_b64 s[2:3], 0
	s_branch .LBB195_30
.LBB195_29:                             ;   in Loop: Header=BB195_30 Depth=3
	s_or_b64 exec, exec, s[56:57]
	s_xor_b64 s[56:57], s[58:59], -1
	s_and_b64 s[56:57], exec, s[56:57]
	s_or_b64 s[2:3], s[56:57], s[2:3]
	s_andn2_b64 exec, exec, s[2:3]
	s_cbranch_execz .LBB195_17
.LBB195_30:                             ;   Parent Loop BB195_15 Depth=1
                                        ;     Parent Loop BB195_18 Depth=2
                                        ; =>    This Inner Loop Header: Depth=3
	v_lshl_add_u32 v32, v31, 2, v34
	ds_read_b32 v33, v32
                                        ; implicit-def: $sgpr58_sgpr59
	s_waitcnt lgkmcnt(0)
	v_cmp_ne_u32_e32 vcc, v33, v30
	s_and_saveexec_b64 s[56:57], vcc
	s_xor_b64 s[56:57], exec, s[56:57]
	s_cbranch_execz .LBB195_38
; %bb.31:                               ;   in Loop: Header=BB195_30 Depth=3
	v_cmp_ne_u32_e32 vcc, s10, v33
                                        ; implicit-def: $sgpr58_sgpr59
	s_and_saveexec_b64 s[60:61], vcc
	s_xor_b64 s[60:61], exec, s[60:61]
; %bb.32:                               ;   in Loop: Header=BB195_30 Depth=3
	v_add_u32_e32 v31, 1, v31
	v_and_b32_e32 v31, 7, v31
	s_mov_b64 s[58:59], -1
                                        ; implicit-def: $vgpr32
; %bb.33:                               ;   in Loop: Header=BB195_30 Depth=3
	s_andn2_saveexec_b64 s[60:61], s[60:61]
	s_cbranch_execz .LBB195_37
; %bb.34:                               ;   in Loop: Header=BB195_30 Depth=3
	v_mov_b32_e32 v33, s10
	ds_cmpst_rtn_b32 v32, v32, v33, v30
	s_mov_b64 s[64:65], -1
	s_waitcnt lgkmcnt(0)
	v_cmp_eq_u32_e32 vcc, s10, v32
	s_and_saveexec_b64 s[62:63], vcc
	s_cbranch_execz .LBB195_36
; %bb.35:                               ;   in Loop: Header=BB195_30 Depth=3
	v_lshlrev_b32_e32 v32, 3, v1
	v_lshl_or_b32 v32, v31, 7, v32
	v_add_u32_e32 v32, v36, v32
	ds_add_f64 v32, v[28:29]
	s_xor_b64 s[64:65], exec, -1
.LBB195_36:                             ;   in Loop: Header=BB195_30 Depth=3
	s_or_b64 exec, exec, s[62:63]
	s_andn2_b64 s[58:59], s[58:59], exec
	s_and_b64 s[62:63], s[64:65], exec
	s_or_b64 s[58:59], s[58:59], s[62:63]
.LBB195_37:                             ;   in Loop: Header=BB195_30 Depth=3
	s_or_b64 exec, exec, s[60:61]
	s_and_b64 s[58:59], s[58:59], exec
.LBB195_38:                             ;   in Loop: Header=BB195_30 Depth=3
	s_andn2_saveexec_b64 s[56:57], s[56:57]
	s_cbranch_execz .LBB195_29
; %bb.39:                               ;   in Loop: Header=BB195_30 Depth=3
	v_lshlrev_b32_e32 v32, 3, v1
	v_lshl_or_b32 v32, v31, 7, v32
	v_add_u32_e32 v32, v36, v32
	ds_add_f64 v32, v[28:29]
	s_andn2_b64 s[58:59], s[58:59], exec
	s_branch .LBB195_29
.LBB195_40:
	s_or_b64 exec, exec, s[6:7]
.LBB195_41:
	s_andn2_b64 vcc, exec, s[34:35]
	s_waitcnt lgkmcnt(0)
	s_barrier
	s_cbranch_vccnz .LBB195_59
; %bb.42:
	v_mov_b32_e32 v1, s17
	v_add_co_u32_e32 v2, vcc, s16, v8
	v_addc_co_u32_e32 v3, vcc, v1, v9, vcc
	global_load_dwordx4 v[10:13], v[2:3], off
	v_subrev_co_u32_e32 v1, vcc, s39, v37
	v_subb_co_u32_e64 v5, s[0:1], 0, 0, vcc
	s_waitcnt vmcnt(0)
	v_subrev_co_u32_e32 v2, vcc, s39, v12
	v_subbrev_co_u32_e32 v3, vcc, 0, v13, vcc
	v_add_co_u32_e32 v4, vcc, v10, v1
	v_addc_co_u32_e32 v5, vcc, v11, v5, vcc
	v_cmp_lt_i64_e32 vcc, v[4:5], v[2:3]
	s_and_saveexec_b64 s[2:3], vcc
	s_cbranch_execz .LBB195_58
; %bb.43:
	v_mul_lo_u32 v10, v38, s11
	v_mov_b32_e32 v11, 0
	v_max_i32_e32 v1, v38, v39
	v_lshlrev_b64 v[12:13], 3, v[10:11]
	v_cmp_gt_i32_e32 vcc, s11, v1
	v_mov_b32_e32 v1, s21
	v_add_co_u32_e64 v10, s[0:1], s20, v12
	v_addc_co_u32_e64 v12, s[0:1], v1, v13, s[0:1]
	v_lshlrev_b32_e32 v13, 3, v39
	v_add_co_u32_e64 v13, s[0:1], v10, v13
	v_mul_lo_u32 v10, v39, s11
	v_addc_co_u32_e64 v12, s[0:1], 0, v12, s[0:1]
	v_lshlrev_b64 v[10:11], 3, v[10:11]
	v_add_co_u32_e64 v10, s[0:1], s20, v10
	v_addc_co_u32_e64 v1, s[0:1], v1, v11, s[0:1]
	v_lshlrev_b32_e32 v11, 3, v38
	v_add_co_u32_e64 v10, s[0:1], v10, v11
	s_cmp_eq_u32 s8, 0
	v_addc_co_u32_e64 v1, s[0:1], 0, v1, s[0:1]
	v_and_b32_e32 v11, 15, v0
	s_cselect_b64 s[0:1], -1, 0
	v_cndmask_b32_e64 v1, v12, v1, s[0:1]
	v_cndmask_b32_e64 v0, v13, v10, s[0:1]
	s_mov_b64 s[6:7], 0
	v_lshlrev_b32_e32 v12, 3, v11
	s_branch .LBB195_45
.LBB195_44:                             ;   in Loop: Header=BB195_45 Depth=1
	s_or_b64 exec, exec, s[12:13]
	v_add_co_u32_e64 v4, s[0:1], 4, v4
	v_addc_co_u32_e64 v5, s[0:1], 0, v5, s[0:1]
	v_cmp_ge_i64_e64 s[0:1], v[4:5], v[2:3]
	s_or_b64 s[6:7], s[0:1], s[6:7]
	s_andn2_b64 exec, exec, s[6:7]
	s_cbranch_execz .LBB195_58
.LBB195_45:                             ; =>This Loop Header: Depth=1
                                        ;     Child Loop BB195_48 Depth 2
	s_and_saveexec_b64 s[12:13], vcc
	s_cbranch_execz .LBB195_44
; %bb.46:                               ;   in Loop: Header=BB195_45 Depth=1
	v_lshlrev_b64 v[10:11], 2, v[4:5]
	v_mov_b32_e32 v13, s19
	v_add_co_u32_e64 v10, s[0:1], s18, v10
	v_addc_co_u32_e64 v11, s[0:1], v13, v11, s[0:1]
	global_load_dword v13, v[10:11], off
	v_mad_u64_u32 v[10:11], s[0:1], v4, s4, 0
	v_mov_b32_e32 v14, v11
	v_mad_u64_u32 v[14:15], s[0:1], v5, s4, v[14:15]
	v_mov_b32_e32 v11, v14
	v_lshlrev_b64 v[10:11], 3, v[10:11]
	v_add_co_u32_e64 v10, s[0:1], v0, v10
	v_addc_co_u32_e64 v11, s[0:1], v1, v11, s[0:1]
	global_load_dwordx2 v[10:11], v[10:11], off
	s_mov_b64 s[14:15], 0
	s_waitcnt vmcnt(1)
	v_subrev_u32_e32 v13, s39, v13
	v_and_b32_e32 v14, 7, v13
	s_waitcnt vmcnt(0)
	v_mul_f64 v[10:11], v[6:7], v[10:11]
	s_branch .LBB195_48
.LBB195_47:                             ;   in Loop: Header=BB195_48 Depth=2
	s_or_b64 exec, exec, s[0:1]
	s_xor_b64 s[0:1], s[20:21], -1
	s_and_b64 s[0:1], exec, s[0:1]
	s_or_b64 s[14:15], s[0:1], s[14:15]
	s_andn2_b64 exec, exec, s[14:15]
	s_cbranch_execz .LBB195_44
.LBB195_48:                             ;   Parent Loop BB195_45 Depth=1
                                        ; =>  This Inner Loop Header: Depth=2
	v_lshl_add_u32 v15, v14, 2, v34
	ds_read_b32 v16, v15
                                        ; implicit-def: $sgpr20_sgpr21
	s_waitcnt lgkmcnt(0)
	v_cmp_ne_u32_e64 s[0:1], v16, v13
	s_and_saveexec_b64 s[16:17], s[0:1]
	s_xor_b64 s[16:17], exec, s[16:17]
	s_cbranch_execz .LBB195_56
; %bb.49:                               ;   in Loop: Header=BB195_48 Depth=2
	v_cmp_ne_u32_e64 s[0:1], s10, v16
                                        ; implicit-def: $sgpr20_sgpr21
	s_and_saveexec_b64 s[24:25], s[0:1]
	s_xor_b64 s[0:1], exec, s[24:25]
; %bb.50:                               ;   in Loop: Header=BB195_48 Depth=2
	v_add_u32_e32 v14, 1, v14
	v_and_b32_e32 v14, 7, v14
	s_mov_b64 s[20:21], -1
                                        ; implicit-def: $vgpr15
; %bb.51:                               ;   in Loop: Header=BB195_48 Depth=2
	s_andn2_saveexec_b64 s[24:25], s[0:1]
	s_cbranch_execz .LBB195_55
; %bb.52:                               ;   in Loop: Header=BB195_48 Depth=2
	v_mov_b32_e32 v16, s10
	ds_cmpst_rtn_b32 v15, v15, v16, v13
	s_mov_b64 s[26:27], -1
	s_waitcnt lgkmcnt(0)
	v_cmp_eq_u32_e64 s[0:1], s10, v15
	s_and_saveexec_b64 s[28:29], s[0:1]
	s_cbranch_execz .LBB195_54
; %bb.53:                               ;   in Loop: Header=BB195_48 Depth=2
	v_lshl_or_b32 v15, v14, 7, v12
	v_add_u32_e32 v15, v36, v15
	ds_add_f64 v15, v[10:11]
	s_xor_b64 s[26:27], exec, -1
.LBB195_54:                             ;   in Loop: Header=BB195_48 Depth=2
	s_or_b64 exec, exec, s[28:29]
	s_andn2_b64 s[0:1], s[20:21], exec
	s_and_b64 s[20:21], s[26:27], exec
	s_or_b64 s[20:21], s[0:1], s[20:21]
.LBB195_55:                             ;   in Loop: Header=BB195_48 Depth=2
	s_or_b64 exec, exec, s[24:25]
	s_and_b64 s[20:21], s[20:21], exec
.LBB195_56:                             ;   in Loop: Header=BB195_48 Depth=2
	s_andn2_saveexec_b64 s[0:1], s[16:17]
	s_cbranch_execz .LBB195_47
; %bb.57:                               ;   in Loop: Header=BB195_48 Depth=2
	v_lshl_or_b32 v15, v14, 7, v12
	v_add_u32_e32 v15, v36, v15
	ds_add_f64 v15, v[10:11]
	s_andn2_b64 s[20:21], s[20:21], exec
	s_branch .LBB195_47
.LBB195_58:
	s_or_b64 exec, exec, s[2:3]
.LBB195_59:
	v_mov_b32_e32 v1, s23
	v_add_co_u32_e32 v0, vcc, s22, v8
	v_addc_co_u32_e32 v1, vcc, v1, v9, vcc
	s_waitcnt lgkmcnt(0)
	s_barrier
	global_load_dwordx2 v[0:1], v[0:1], off
	v_mul_lo_u32 v4, v39, s11
	v_mov_b32_e32 v5, 0
	v_max_i32_e32 v3, v38, v39
	s_cmp_eq_u32 s8, 0
	v_lshlrev_b32_e32 v8, 5, v35
	v_lshlrev_b32_e32 v9, 2, v37
	s_movk_i32 s2, 0x1000
	v_lshlrev_b64 v[4:5], 3, v[4:5]
	v_mov_b32_e32 v6, s43
	v_cmp_gt_i32_e32 vcc, s11, v3
	s_cselect_b64 s[0:1], -1, 0
	v_or3_b32 v3, v8, v9, s2
	v_add_co_u32_e64 v4, s[2:3], s42, v4
	v_lshlrev_b32_e32 v7, 3, v38
	v_addc_co_u32_e64 v5, s[2:3], v6, v5, s[2:3]
	v_cndmask_b32_e64 v6, v39, v38, s[0:1]
	v_cndmask_b32_e64 v10, v38, v39, s[0:1]
	v_add_co_u32_e64 v4, s[0:1], v4, v7
	v_lshlrev_b32_e32 v6, 3, v6
	v_addc_co_u32_e64 v5, s[0:1], 0, v5, s[0:1]
	v_lshl_or_b32 v6, v37, 7, v6
	v_lshl_or_b32 v6, v10, 5, v6
	v_or_b32_e32 v2, -4, v37
	v_add_u32_e32 v6, v36, v6
	s_mov_b64 s[2:3], 0
	s_waitcnt vmcnt(0)
	v_subrev_co_u32_e64 v7, s[0:1], s38, v0
	v_subbrev_co_u32_e64 v8, s[0:1], 0, v1, s[0:1]
	s_branch .LBB195_61
.LBB195_60:                             ;   in Loop: Header=BB195_61 Depth=1
	s_or_b64 exec, exec, s[6:7]
	v_add_co_u32_e64 v2, s[0:1], 4, v2
	s_xor_b64 s[0:1], s[0:1], -1
	s_and_b64 s[0:1], exec, s[0:1]
	v_add_u32_e32 v6, 0x200, v6
	s_or_b64 s[2:3], s[0:1], s[2:3]
	v_add_u32_e32 v3, 16, v3
	s_andn2_b64 exec, exec, s[2:3]
	s_cbranch_execz .LBB195_64
.LBB195_61:                             ; =>This Inner Loop Header: Depth=1
	ds_read_b32 v9, v3
	s_waitcnt lgkmcnt(0)
	v_cmp_gt_i32_e64 s[0:1], s10, v9
	s_and_saveexec_b64 s[6:7], s[0:1]
	s_cbranch_execz .LBB195_60
; %bb.62:                               ;   in Loop: Header=BB195_61 Depth=1
	ds_read_b128 v[10:13], v34
	ds_read_b128 v[14:17], v34 offset:16
	s_waitcnt lgkmcnt(1)
	v_cmp_gt_i32_e64 s[0:1], v9, v10
	v_cndmask_b32_e64 v0, 0, 1, s[0:1]
	v_add_co_u32_e64 v0, s[0:1], v7, v0
	v_addc_co_u32_e64 v1, s[0:1], 0, v8, s[0:1]
	v_cmp_gt_i32_e64 s[0:1], v9, v11
	v_cndmask_b32_e64 v10, 0, 1, s[0:1]
	v_add_co_u32_e64 v0, s[0:1], v0, v10
	v_addc_co_u32_e64 v1, s[0:1], 0, v1, s[0:1]
	;; [unrolled: 4-line block ×4, first 2 shown]
	s_waitcnt lgkmcnt(0)
	v_cmp_gt_i32_e64 s[0:1], v9, v14
	v_cndmask_b32_e64 v10, 0, 1, s[0:1]
	v_add_co_u32_e64 v0, s[0:1], v0, v10
	v_addc_co_u32_e64 v1, s[0:1], 0, v1, s[0:1]
	v_cmp_gt_i32_e64 s[0:1], v9, v15
	v_cndmask_b32_e64 v10, 0, 1, s[0:1]
	v_add_co_u32_e64 v0, s[0:1], v0, v10
	v_addc_co_u32_e64 v1, s[0:1], 0, v1, s[0:1]
	;; [unrolled: 4-line block ×4, first 2 shown]
	v_lshlrev_b64 v[10:11], 2, v[0:1]
	v_mov_b32_e32 v12, s41
	v_add_co_u32_e64 v10, s[0:1], s40, v10
	v_add_u32_e32 v9, s38, v9
	v_addc_co_u32_e64 v11, s[0:1], v12, v11, s[0:1]
	global_store_dword v[10:11], v9, off
	s_and_b64 exec, exec, vcc
	s_cbranch_execz .LBB195_60
; %bb.63:                               ;   in Loop: Header=BB195_61 Depth=1
	v_mad_u64_u32 v[10:11], s[0:1], v0, s4, 0
	v_mov_b32_e32 v0, v11
	v_mad_u64_u32 v[0:1], s[0:1], v1, s4, v[0:1]
	v_mov_b32_e32 v11, v0
	v_lshlrev_b64 v[0:1], 3, v[10:11]
	ds_read_b64 v[10:11], v6
	v_add_co_u32_e64 v0, s[0:1], v4, v0
	v_addc_co_u32_e64 v1, s[0:1], v5, v1, s[0:1]
	s_waitcnt lgkmcnt(0)
	global_store_dwordx2 v[0:1], v[10:11], off
	s_branch .LBB195_60
.LBB195_64:
	s_endpgm
	.section	.rodata,"a",@progbits
	.p2align	6, 0x0
	.amdhsa_kernel _ZN9rocsparseL23bsrgemm_fill_wf_per_rowILj256ELj64ELj8ELj137ELj4ElidEEv20rocsparse_direction_T5_S2_S2_PKS2_S4_NS_24const_host_device_scalarIT6_EEPKT4_S4_PKS6_SA_S4_SC_S7_SA_S4_SC_SA_PS2_PS6_21rocsparse_index_base_SF_SF_SF_bbb
		.amdhsa_group_segment_fixed_size 4224
		.amdhsa_private_segment_fixed_size 0
		.amdhsa_kernarg_size 164
		.amdhsa_user_sgpr_count 6
		.amdhsa_user_sgpr_private_segment_buffer 1
		.amdhsa_user_sgpr_dispatch_ptr 0
		.amdhsa_user_sgpr_queue_ptr 0
		.amdhsa_user_sgpr_kernarg_segment_ptr 1
		.amdhsa_user_sgpr_dispatch_id 0
		.amdhsa_user_sgpr_flat_scratch_init 0
		.amdhsa_user_sgpr_kernarg_preload_length 0
		.amdhsa_user_sgpr_kernarg_preload_offset 0
		.amdhsa_user_sgpr_private_segment_size 0
		.amdhsa_uses_dynamic_stack 0
		.amdhsa_system_sgpr_private_segment_wavefront_offset 0
		.amdhsa_system_sgpr_workgroup_id_x 1
		.amdhsa_system_sgpr_workgroup_id_y 0
		.amdhsa_system_sgpr_workgroup_id_z 0
		.amdhsa_system_sgpr_workgroup_info 0
		.amdhsa_system_vgpr_workitem_id 0
		.amdhsa_next_free_vgpr 48
		.amdhsa_next_free_sgpr 66
		.amdhsa_accum_offset 48
		.amdhsa_reserve_vcc 1
		.amdhsa_reserve_flat_scratch 0
		.amdhsa_float_round_mode_32 0
		.amdhsa_float_round_mode_16_64 0
		.amdhsa_float_denorm_mode_32 3
		.amdhsa_float_denorm_mode_16_64 3
		.amdhsa_dx10_clamp 1
		.amdhsa_ieee_mode 1
		.amdhsa_fp16_overflow 0
		.amdhsa_tg_split 0
		.amdhsa_exception_fp_ieee_invalid_op 0
		.amdhsa_exception_fp_denorm_src 0
		.amdhsa_exception_fp_ieee_div_zero 0
		.amdhsa_exception_fp_ieee_overflow 0
		.amdhsa_exception_fp_ieee_underflow 0
		.amdhsa_exception_fp_ieee_inexact 0
		.amdhsa_exception_int_div_zero 0
	.end_amdhsa_kernel
	.section	.text._ZN9rocsparseL23bsrgemm_fill_wf_per_rowILj256ELj64ELj8ELj137ELj4ElidEEv20rocsparse_direction_T5_S2_S2_PKS2_S4_NS_24const_host_device_scalarIT6_EEPKT4_S4_PKS6_SA_S4_SC_S7_SA_S4_SC_SA_PS2_PS6_21rocsparse_index_base_SF_SF_SF_bbb,"axG",@progbits,_ZN9rocsparseL23bsrgemm_fill_wf_per_rowILj256ELj64ELj8ELj137ELj4ElidEEv20rocsparse_direction_T5_S2_S2_PKS2_S4_NS_24const_host_device_scalarIT6_EEPKT4_S4_PKS6_SA_S4_SC_S7_SA_S4_SC_SA_PS2_PS6_21rocsparse_index_base_SF_SF_SF_bbb,comdat
.Lfunc_end195:
	.size	_ZN9rocsparseL23bsrgemm_fill_wf_per_rowILj256ELj64ELj8ELj137ELj4ElidEEv20rocsparse_direction_T5_S2_S2_PKS2_S4_NS_24const_host_device_scalarIT6_EEPKT4_S4_PKS6_SA_S4_SC_S7_SA_S4_SC_SA_PS2_PS6_21rocsparse_index_base_SF_SF_SF_bbb, .Lfunc_end195-_ZN9rocsparseL23bsrgemm_fill_wf_per_rowILj256ELj64ELj8ELj137ELj4ElidEEv20rocsparse_direction_T5_S2_S2_PKS2_S4_NS_24const_host_device_scalarIT6_EEPKT4_S4_PKS6_SA_S4_SC_S7_SA_S4_SC_SA_PS2_PS6_21rocsparse_index_base_SF_SF_SF_bbb
                                        ; -- End function
	.section	.AMDGPU.csdata,"",@progbits
; Kernel info:
; codeLenInByte = 2812
; NumSgprs: 70
; NumVgprs: 48
; NumAgprs: 0
; TotalNumVgprs: 48
; ScratchSize: 0
; MemoryBound: 0
; FloatMode: 240
; IeeeMode: 1
; LDSByteSize: 4224 bytes/workgroup (compile time only)
; SGPRBlocks: 8
; VGPRBlocks: 5
; NumSGPRsForWavesPerEU: 70
; NumVGPRsForWavesPerEU: 48
; AccumOffset: 48
; Occupancy: 8
; WaveLimiterHint : 1
; COMPUTE_PGM_RSRC2:SCRATCH_EN: 0
; COMPUTE_PGM_RSRC2:USER_SGPR: 6
; COMPUTE_PGM_RSRC2:TRAP_HANDLER: 0
; COMPUTE_PGM_RSRC2:TGID_X_EN: 1
; COMPUTE_PGM_RSRC2:TGID_Y_EN: 0
; COMPUTE_PGM_RSRC2:TGID_Z_EN: 0
; COMPUTE_PGM_RSRC2:TIDIG_COMP_CNT: 0
; COMPUTE_PGM_RSRC3_GFX90A:ACCUM_OFFSET: 11
; COMPUTE_PGM_RSRC3_GFX90A:TG_SPLIT: 0
	.section	.text._ZN9rocsparseL23bsrgemm_fill_wf_per_rowILj256ELj64ELj16ELj137ELj4ElidEEv20rocsparse_direction_T5_S2_S2_PKS2_S4_NS_24const_host_device_scalarIT6_EEPKT4_S4_PKS6_SA_S4_SC_S7_SA_S4_SC_SA_PS2_PS6_21rocsparse_index_base_SF_SF_SF_bbb,"axG",@progbits,_ZN9rocsparseL23bsrgemm_fill_wf_per_rowILj256ELj64ELj16ELj137ELj4ElidEEv20rocsparse_direction_T5_S2_S2_PKS2_S4_NS_24const_host_device_scalarIT6_EEPKT4_S4_PKS6_SA_S4_SC_S7_SA_S4_SC_SA_PS2_PS6_21rocsparse_index_base_SF_SF_SF_bbb,comdat
	.globl	_ZN9rocsparseL23bsrgemm_fill_wf_per_rowILj256ELj64ELj16ELj137ELj4ElidEEv20rocsparse_direction_T5_S2_S2_PKS2_S4_NS_24const_host_device_scalarIT6_EEPKT4_S4_PKS6_SA_S4_SC_S7_SA_S4_SC_SA_PS2_PS6_21rocsparse_index_base_SF_SF_SF_bbb ; -- Begin function _ZN9rocsparseL23bsrgemm_fill_wf_per_rowILj256ELj64ELj16ELj137ELj4ElidEEv20rocsparse_direction_T5_S2_S2_PKS2_S4_NS_24const_host_device_scalarIT6_EEPKT4_S4_PKS6_SA_S4_SC_S7_SA_S4_SC_SA_PS2_PS6_21rocsparse_index_base_SF_SF_SF_bbb
	.p2align	8
	.type	_ZN9rocsparseL23bsrgemm_fill_wf_per_rowILj256ELj64ELj16ELj137ELj4ElidEEv20rocsparse_direction_T5_S2_S2_PKS2_S4_NS_24const_host_device_scalarIT6_EEPKT4_S4_PKS6_SA_S4_SC_S7_SA_S4_SC_SA_PS2_PS6_21rocsparse_index_base_SF_SF_SF_bbb,@function
_ZN9rocsparseL23bsrgemm_fill_wf_per_rowILj256ELj64ELj16ELj137ELj4ElidEEv20rocsparse_direction_T5_S2_S2_PKS2_S4_NS_24const_host_device_scalarIT6_EEPKT4_S4_PKS6_SA_S4_SC_S7_SA_S4_SC_SA_PS2_PS6_21rocsparse_index_base_SF_SF_SF_bbb: ; @_ZN9rocsparseL23bsrgemm_fill_wf_per_rowILj256ELj64ELj16ELj137ELj4ElidEEv20rocsparse_direction_T5_S2_S2_PKS2_S4_NS_24const_host_device_scalarIT6_EEPKT4_S4_PKS6_SA_S4_SC_S7_SA_S4_SC_SA_PS2_PS6_21rocsparse_index_base_SF_SF_SF_bbb
; %bb.0:
	s_load_dword s7, s[4:5], 0xa0
	s_load_dwordx2 s[10:11], s[4:5], 0x20
	s_load_dwordx2 s[2:3], s[4:5], 0x58
	s_waitcnt lgkmcnt(0)
	s_and_b32 s0, 1, s7
	s_bitcmp1_b32 s7, 16
	s_cselect_b64 s[8:9], -1, 0
	s_cmp_eq_u32 s0, 1
	s_cselect_b64 s[0:1], -1, 0
	s_and_b64 s[12:13], s[0:1], exec
	s_cselect_b32 s13, s11, 0
	s_cselect_b32 s12, s10, 0
	s_xor_b64 s[14:15], s[0:1], -1
	s_or_b64 s[14:15], s[14:15], s[8:9]
	s_and_b64 vcc, exec, s[14:15]
	v_pk_mov_b32 v[10:11], s[12:13], s[12:13] op_sel:[0,1]
	s_cbranch_vccnz .LBB196_2
; %bb.1:
	v_pk_mov_b32 v[2:3], s[10:11], s[10:11] op_sel:[0,1]
	flat_load_dwordx2 v[10:11], v[2:3]
.LBB196_2:
	s_bitcmp1_b32 s7, 8
	s_load_dwordx4 s[36:39], s[4:5], 0x90
	s_cselect_b64 s[34:35], -1, 0
	s_and_b64 s[10:11], s[34:35], exec
	s_cselect_b32 s11, s3, 0
	s_cselect_b32 s10, s2, 0
	s_xor_b64 s[12:13], s[34:35], -1
	s_or_b64 s[8:9], s[12:13], s[8:9]
	s_and_b64 vcc, exec, s[8:9]
	v_pk_mov_b32 v[6:7], s[10:11], s[10:11] op_sel:[0,1]
	s_cbranch_vccnz .LBB196_4
; %bb.3:
	v_pk_mov_b32 v[2:3], s[2:3], s[2:3] op_sel:[0,1]
	flat_load_dwordx2 v[6:7], v[2:3]
.LBB196_4:
	s_load_dwordx4 s[40:43], s[4:5], 0x80
	s_load_dwordx8 s[16:23], s[4:5], 0x60
	s_load_dwordx4 s[44:47], s[4:5], 0x48
	s_load_dwordx8 s[8:15], s[4:5], 0x0
	s_load_dwordx8 s[24:31], s[4:5], 0x28
	v_and_b32_e32 v1, 63, v0
	v_and_b32_e32 v2, 0xc0, v0
	v_lshrrev_b32_e32 v35, 6, v0
	v_or_b32_e32 v34, 0x2000, v2
	v_cmp_gt_u32_e32 vcc, 16, v1
	s_and_saveexec_b64 s[2:3], vcc
	s_cbranch_execz .LBB196_6
; %bb.5:
	v_lshl_add_u32 v2, v1, 2, v34
	s_waitcnt lgkmcnt(0)
	v_mov_b32_e32 v3, s10
	ds_write_b32 v2, v3
.LBB196_6:
	s_or_b64 exec, exec, s[2:3]
	v_lshlrev_b32_e32 v36, 11, v35
	v_mov_b32_e32 v2, 0
	v_or_b32_e32 v4, 0xffffffc0, v1
	v_lshl_or_b32 v5, v1, 3, v36
	s_mov_b64 s[2:3], 0
	v_mov_b32_e32 v3, v2
	s_movk_i32 s4, 0xbf
.LBB196_7:                              ; =>This Inner Loop Header: Depth=1
	v_add_u32_e32 v4, 64, v4
	v_cmp_lt_u32_e32 vcc, s4, v4
	ds_write_b64 v5, v[2:3]
	s_or_b64 s[2:3], vcc, s[2:3]
	v_add_u32_e32 v5, 0x200, v5
	s_andn2_b64 exec, exec, s[2:3]
	s_cbranch_execnz .LBB196_7
; %bb.8:
	s_or_b64 exec, exec, s[2:3]
	v_lshl_or_b32 v2, s6, 2, v35
	s_waitcnt lgkmcnt(0)
	v_cmp_gt_i32_e32 vcc, s9, v2
	s_barrier
	s_and_saveexec_b64 s[2:3], vcc
	s_cbranch_execz .LBB196_64
; %bb.9:
	s_cmp_eq_u64 s[14:15], 0
	s_cbranch_scc1 .LBB196_11
; %bb.10:
	s_load_dword s2, s[12:13], 0x0
	v_mov_b32_e32 v4, s15
	s_waitcnt lgkmcnt(0)
	v_add_u32_e32 v2, s2, v2
	v_ashrrev_i32_e32 v3, 31, v2
	v_lshlrev_b64 v[2:3], 2, v[2:3]
	v_add_co_u32_e32 v2, vcc, s14, v2
	v_addc_co_u32_e32 v3, vcc, v4, v3, vcc
	global_load_dword v2, v[2:3], off
.LBB196_11:
	s_waitcnt vmcnt(0)
	v_ashrrev_i32_e32 v3, 31, v2
	v_lshrrev_b32_e32 v37, 4, v1
	v_and_b32_e32 v38, 3, v0
	v_bfe_u32 v39, v0, 2, 2
	s_andn2_b64 vcc, exec, s[0:1]
	s_mul_i32 s4, s11, s11
	v_lshlrev_b64 v[8:9], 3, v[2:3]
	s_cbranch_vccnz .LBB196_41
; %bb.12:
	v_mov_b32_e32 v1, s25
	v_add_co_u32_e32 v2, vcc, s24, v8
	v_addc_co_u32_e32 v3, vcc, v1, v9, vcc
	global_load_dwordx4 v[2:5], v[2:3], off
	v_subrev_co_u32_e32 v1, vcc, s36, v37
	v_subb_co_u32_e64 v15, s[0:1], 0, 0, vcc
	s_mov_b32 s9, 0
	s_waitcnt vmcnt(0)
	v_subrev_co_u32_e32 v12, vcc, s36, v4
	v_subbrev_co_u32_e32 v13, vcc, 0, v5, vcc
	v_add_co_u32_e32 v14, vcc, v2, v1
	v_addc_co_u32_e32 v15, vcc, v3, v15, vcc
	v_cmp_lt_i64_e32 vcc, v[14:15], v[12:13]
	s_and_saveexec_b64 s[6:7], vcc
	s_cbranch_execz .LBB196_40
; %bb.13:
	v_mul_lo_u32 v2, v38, s11
	v_mov_b32_e32 v3, 0
	v_mov_b32_e32 v5, v3
	v_lshlrev_b64 v[2:3], 3, v[2:3]
	v_mov_b32_e32 v21, s47
	v_add_co_u32_e32 v16, vcc, s46, v2
	v_addc_co_u32_e32 v17, vcc, v21, v3, vcc
	v_mad_u64_u32 v[2:3], s[2:3], v14, s4, 0
	v_mov_b32_e32 v18, v3
	v_mad_u64_u32 v[18:19], s[2:3], v15, s4, v[18:19]
	v_mov_b32_e32 v3, v18
	v_lshlrev_b64 v[2:3], 3, v[2:3]
	v_lshlrev_b32_e32 v18, 3, v39
	v_add_co_u32_e32 v18, vcc, v2, v18
	v_addc_co_u32_e32 v19, vcc, 0, v3, vcc
	v_mov_b32_e32 v23, s29
	v_add_co_u32_e32 v18, vcc, s28, v18
	v_addc_co_u32_e32 v19, vcc, v23, v19, vcc
	v_lshlrev_b32_e32 v20, 3, v38
	v_mul_lo_u32 v4, v39, s11
	v_add_co_u32_e32 v20, vcc, s46, v20
	v_addc_co_u32_e32 v21, vcc, 0, v21, vcc
	v_lshlrev_b64 v[4:5], 3, v[4:5]
	v_add_co_u32_e32 v2, vcc, v2, v4
	s_cmp_lg_u32 s8, 0
	v_addc_co_u32_e32 v3, vcc, v3, v5, vcc
	v_max_i32_e32 v1, v38, v39
	s_cselect_b64 s[12:13], -1, 0
	s_cmp_gt_i32 s11, 0
	s_mov_b32 s5, s9
	s_mov_b32 s2, s11
	;; [unrolled: 1-line block ×3, first 2 shown]
	v_add_co_u32_e32 v22, vcc, s28, v2
	s_mov_b32 s33, s37
	v_cmp_gt_i32_e64 s[0:1], s11, v1
	s_cselect_b64 s[14:15], -1, 0
	v_and_b32_e32 v1, 15, v0
	s_lshl_b64 s[24:25], s[4:5], 3
	s_lshl_b64 s[48:49], s[4:5], 5
	;; [unrolled: 1-line block ×3, first 2 shown]
	v_addc_co_u32_e32 v23, vcc, v23, v3, vcc
	s_mov_b64 s[28:29], 0
	v_mov_b32_e32 v40, s27
	v_mov_b32_e32 v41, s31
	s_branch .LBB196_15
.LBB196_14:                             ;   in Loop: Header=BB196_15 Depth=1
	s_or_b64 exec, exec, s[46:47]
	v_add_co_u32_e32 v14, vcc, 4, v14
	v_addc_co_u32_e32 v15, vcc, 0, v15, vcc
	v_mov_b32_e32 v2, s49
	v_add_co_u32_e32 v18, vcc, s48, v18
	v_addc_co_u32_e32 v19, vcc, v19, v2, vcc
	v_cmp_ge_i64_e32 vcc, v[14:15], v[12:13]
	s_or_b64 s[28:29], vcc, s[28:29]
	v_add_co_u32_e32 v22, vcc, s48, v22
	v_addc_co_u32_e32 v23, vcc, v23, v2, vcc
	s_andn2_b64 exec, exec, s[28:29]
	s_cbranch_execz .LBB196_40
.LBB196_15:                             ; =>This Loop Header: Depth=1
                                        ;     Child Loop BB196_18 Depth 2
                                        ;       Child Loop BB196_22 Depth 3
                                        ;       Child Loop BB196_27 Depth 3
	;; [unrolled: 1-line block ×3, first 2 shown]
	v_lshlrev_b64 v[2:3], 2, v[14:15]
	v_add_co_u32_e32 v2, vcc, s26, v2
	v_addc_co_u32_e32 v3, vcc, v40, v3, vcc
	global_load_dword v2, v[2:3], off
	s_waitcnt vmcnt(0)
	v_subrev_u32_e32 v2, s36, v2
	v_ashrrev_i32_e32 v3, 31, v2
	v_lshlrev_b64 v[2:3], 3, v[2:3]
	v_add_co_u32_e32 v2, vcc, s30, v2
	v_addc_co_u32_e32 v3, vcc, v41, v3, vcc
	global_load_dwordx4 v[2:5], v[2:3], off
	s_waitcnt vmcnt(0)
	v_cmp_lt_i64_e32 vcc, v[2:3], v[4:5]
	s_and_saveexec_b64 s[46:47], vcc
	s_cbranch_execz .LBB196_14
; %bb.16:                               ;   in Loop: Header=BB196_15 Depth=1
	v_mov_b32_e32 v24, s9
	v_subrev_co_u32_e32 v4, vcc, s33, v4
	v_subb_co_u32_e32 v5, vcc, v5, v24, vcc
	v_subrev_co_u32_e32 v2, vcc, s33, v2
	v_subb_co_u32_e32 v3, vcc, v3, v24, vcc
	v_mad_u64_u32 v[24:25], s[2:3], s24, v2, v[16:17]
	v_mul_lo_u32 v28, s24, v3
	v_mul_lo_u32 v29, s25, v2
	v_mad_u64_u32 v[26:27], s[2:3], s24, v2, v[20:21]
	v_add3_u32 v25, v29, v25, v28
	v_add3_u32 v27, v29, v27, v28
	s_mov_b64 s[52:53], 0
	s_branch .LBB196_18
.LBB196_17:                             ;   in Loop: Header=BB196_18 Depth=2
	s_or_b64 exec, exec, s[54:55]
	v_add_co_u32_e32 v2, vcc, 1, v2
	v_addc_co_u32_e32 v3, vcc, 0, v3, vcc
	v_mov_b32_e32 v28, s25
	v_add_co_u32_e32 v24, vcc, s24, v24
	v_addc_co_u32_e32 v25, vcc, v25, v28, vcc
	v_cmp_ge_i64_e32 vcc, v[2:3], v[4:5]
	s_or_b64 s[52:53], vcc, s[52:53]
	v_add_co_u32_e32 v26, vcc, s24, v26
	v_addc_co_u32_e32 v27, vcc, v27, v28, vcc
	s_andn2_b64 exec, exec, s[52:53]
	s_cbranch_execz .LBB196_14
.LBB196_18:                             ;   Parent Loop BB196_15 Depth=1
                                        ; =>  This Loop Header: Depth=2
                                        ;       Child Loop BB196_22 Depth 3
                                        ;       Child Loop BB196_27 Depth 3
	;; [unrolled: 1-line block ×3, first 2 shown]
	s_and_saveexec_b64 s[54:55], s[0:1]
	s_cbranch_execz .LBB196_17
; %bb.19:                               ;   in Loop: Header=BB196_18 Depth=2
	v_lshlrev_b64 v[28:29], 2, v[2:3]
	v_mov_b32_e32 v30, s45
	v_add_co_u32_e32 v28, vcc, s44, v28
	v_addc_co_u32_e32 v29, vcc, v30, v29, vcc
	global_load_dword v42, v[28:29], off
	v_cndmask_b32_e64 v28, 0, 1, s[14:15]
	s_andn2_b64 vcc, exec, s[12:13]
	v_cmp_ne_u32_e64 s[2:3], 1, v28
	s_cbranch_vccnz .LBB196_24
; %bb.20:                               ;   in Loop: Header=BB196_18 Depth=2
	v_pk_mov_b32 v[28:29], 0, 0
	s_and_b64 vcc, exec, s[2:3]
	s_cbranch_vccnz .LBB196_23
; %bb.21:                               ;   in Loop: Header=BB196_18 Depth=2
	v_pk_mov_b32 v[30:31], v[18:19], v[18:19] op_sel:[0,1]
	v_pk_mov_b32 v[32:33], v[24:25], v[24:25] op_sel:[0,1]
	s_mov_b32 s5, s11
.LBB196_22:                             ;   Parent Loop BB196_15 Depth=1
                                        ;     Parent Loop BB196_18 Depth=2
                                        ; =>    This Inner Loop Header: Depth=3
	global_load_dwordx2 v[44:45], v[30:31], off
	global_load_dwordx2 v[46:47], v[32:33], off
	v_add_co_u32_e32 v32, vcc, 8, v32
	v_addc_co_u32_e32 v33, vcc, 0, v33, vcc
	s_add_i32 s5, s5, -1
	v_mov_b32_e32 v43, s51
	v_add_co_u32_e32 v30, vcc, s50, v30
	v_addc_co_u32_e32 v31, vcc, v31, v43, vcc
	s_cmp_lg_u32 s5, 0
	s_waitcnt vmcnt(0)
	v_fmac_f64_e32 v[28:29], v[44:45], v[46:47]
	s_cbranch_scc1 .LBB196_22
.LBB196_23:                             ;   in Loop: Header=BB196_18 Depth=2
	s_cbranch_execz .LBB196_25
	s_branch .LBB196_28
.LBB196_24:                             ;   in Loop: Header=BB196_18 Depth=2
                                        ; implicit-def: $vgpr28_vgpr29
.LBB196_25:                             ;   in Loop: Header=BB196_18 Depth=2
	v_pk_mov_b32 v[28:29], 0, 0
	s_and_b64 vcc, exec, s[2:3]
	s_cbranch_vccnz .LBB196_28
; %bb.26:                               ;   in Loop: Header=BB196_18 Depth=2
	v_pk_mov_b32 v[30:31], v[22:23], v[22:23] op_sel:[0,1]
	v_pk_mov_b32 v[32:33], v[26:27], v[26:27] op_sel:[0,1]
	s_mov_b32 s2, s11
.LBB196_27:                             ;   Parent Loop BB196_15 Depth=1
                                        ;     Parent Loop BB196_18 Depth=2
                                        ; =>    This Inner Loop Header: Depth=3
	global_load_dwordx2 v[44:45], v[30:31], off
	global_load_dwordx2 v[46:47], v[32:33], off
	v_add_co_u32_e32 v30, vcc, 8, v30
	v_addc_co_u32_e32 v31, vcc, 0, v31, vcc
	s_add_i32 s2, s2, -1
	v_mov_b32_e32 v43, s51
	v_add_co_u32_e32 v32, vcc, s50, v32
	v_addc_co_u32_e32 v33, vcc, v33, v43, vcc
	s_cmp_eq_u32 s2, 0
	s_waitcnt vmcnt(0)
	v_fmac_f64_e32 v[28:29], v[44:45], v[46:47]
	s_cbranch_scc0 .LBB196_27
.LBB196_28:                             ;   in Loop: Header=BB196_18 Depth=2
	s_waitcnt vmcnt(0)
	v_subrev_u32_e32 v30, s37, v42
	v_lshl_add_u32 v31, v30, 3, v30
	v_mul_f64 v[28:29], v[10:11], v[28:29]
	v_and_b32_e32 v31, 15, v31
	s_mov_b64 s[2:3], 0
	s_branch .LBB196_30
.LBB196_29:                             ;   in Loop: Header=BB196_30 Depth=3
	s_or_b64 exec, exec, s[56:57]
	s_xor_b64 s[56:57], s[58:59], -1
	s_and_b64 s[56:57], exec, s[56:57]
	s_or_b64 s[2:3], s[56:57], s[2:3]
	s_andn2_b64 exec, exec, s[2:3]
	s_cbranch_execz .LBB196_17
.LBB196_30:                             ;   Parent Loop BB196_15 Depth=1
                                        ;     Parent Loop BB196_18 Depth=2
                                        ; =>    This Inner Loop Header: Depth=3
	v_lshl_add_u32 v32, v31, 2, v34
	ds_read_b32 v33, v32
                                        ; implicit-def: $sgpr58_sgpr59
	s_waitcnt lgkmcnt(0)
	v_cmp_ne_u32_e32 vcc, v33, v30
	s_and_saveexec_b64 s[56:57], vcc
	s_xor_b64 s[56:57], exec, s[56:57]
	s_cbranch_execz .LBB196_38
; %bb.31:                               ;   in Loop: Header=BB196_30 Depth=3
	v_cmp_ne_u32_e32 vcc, s10, v33
                                        ; implicit-def: $sgpr58_sgpr59
	s_and_saveexec_b64 s[60:61], vcc
	s_xor_b64 s[60:61], exec, s[60:61]
; %bb.32:                               ;   in Loop: Header=BB196_30 Depth=3
	v_add_u32_e32 v31, 1, v31
	v_and_b32_e32 v31, 15, v31
	s_mov_b64 s[58:59], -1
                                        ; implicit-def: $vgpr32
; %bb.33:                               ;   in Loop: Header=BB196_30 Depth=3
	s_andn2_saveexec_b64 s[60:61], s[60:61]
	s_cbranch_execz .LBB196_37
; %bb.34:                               ;   in Loop: Header=BB196_30 Depth=3
	v_mov_b32_e32 v33, s10
	ds_cmpst_rtn_b32 v32, v32, v33, v30
	s_mov_b64 s[64:65], -1
	s_waitcnt lgkmcnt(0)
	v_cmp_eq_u32_e32 vcc, s10, v32
	s_and_saveexec_b64 s[62:63], vcc
	s_cbranch_execz .LBB196_36
; %bb.35:                               ;   in Loop: Header=BB196_30 Depth=3
	v_lshlrev_b32_e32 v32, 3, v1
	v_lshl_or_b32 v32, v31, 7, v32
	v_add_u32_e32 v32, v36, v32
	ds_add_f64 v32, v[28:29]
	s_xor_b64 s[64:65], exec, -1
.LBB196_36:                             ;   in Loop: Header=BB196_30 Depth=3
	s_or_b64 exec, exec, s[62:63]
	s_andn2_b64 s[58:59], s[58:59], exec
	s_and_b64 s[62:63], s[64:65], exec
	s_or_b64 s[58:59], s[58:59], s[62:63]
.LBB196_37:                             ;   in Loop: Header=BB196_30 Depth=3
	s_or_b64 exec, exec, s[60:61]
	s_and_b64 s[58:59], s[58:59], exec
.LBB196_38:                             ;   in Loop: Header=BB196_30 Depth=3
	s_andn2_saveexec_b64 s[56:57], s[56:57]
	s_cbranch_execz .LBB196_29
; %bb.39:                               ;   in Loop: Header=BB196_30 Depth=3
	v_lshlrev_b32_e32 v32, 3, v1
	v_lshl_or_b32 v32, v31, 7, v32
	v_add_u32_e32 v32, v36, v32
	ds_add_f64 v32, v[28:29]
	s_andn2_b64 s[58:59], s[58:59], exec
	s_branch .LBB196_29
.LBB196_40:
	s_or_b64 exec, exec, s[6:7]
.LBB196_41:
	s_andn2_b64 vcc, exec, s[34:35]
	s_waitcnt lgkmcnt(0)
	s_barrier
	s_cbranch_vccnz .LBB196_59
; %bb.42:
	v_mov_b32_e32 v1, s17
	v_add_co_u32_e32 v2, vcc, s16, v8
	v_addc_co_u32_e32 v3, vcc, v1, v9, vcc
	global_load_dwordx4 v[10:13], v[2:3], off
	v_subrev_co_u32_e32 v1, vcc, s39, v37
	v_subb_co_u32_e64 v5, s[0:1], 0, 0, vcc
	s_waitcnt vmcnt(0)
	v_subrev_co_u32_e32 v2, vcc, s39, v12
	v_subbrev_co_u32_e32 v3, vcc, 0, v13, vcc
	v_add_co_u32_e32 v4, vcc, v10, v1
	v_addc_co_u32_e32 v5, vcc, v11, v5, vcc
	v_cmp_lt_i64_e32 vcc, v[4:5], v[2:3]
	s_and_saveexec_b64 s[2:3], vcc
	s_cbranch_execz .LBB196_58
; %bb.43:
	v_mul_lo_u32 v10, v38, s11
	v_mov_b32_e32 v11, 0
	v_max_i32_e32 v1, v38, v39
	v_lshlrev_b64 v[12:13], 3, v[10:11]
	v_cmp_gt_i32_e32 vcc, s11, v1
	v_mov_b32_e32 v1, s21
	v_add_co_u32_e64 v10, s[0:1], s20, v12
	v_addc_co_u32_e64 v12, s[0:1], v1, v13, s[0:1]
	v_lshlrev_b32_e32 v13, 3, v39
	v_add_co_u32_e64 v13, s[0:1], v10, v13
	v_mul_lo_u32 v10, v39, s11
	v_addc_co_u32_e64 v12, s[0:1], 0, v12, s[0:1]
	v_lshlrev_b64 v[10:11], 3, v[10:11]
	v_add_co_u32_e64 v10, s[0:1], s20, v10
	v_addc_co_u32_e64 v1, s[0:1], v1, v11, s[0:1]
	v_lshlrev_b32_e32 v11, 3, v38
	v_add_co_u32_e64 v10, s[0:1], v10, v11
	s_cmp_eq_u32 s8, 0
	v_addc_co_u32_e64 v1, s[0:1], 0, v1, s[0:1]
	v_and_b32_e32 v11, 15, v0
	s_cselect_b64 s[0:1], -1, 0
	v_cndmask_b32_e64 v1, v12, v1, s[0:1]
	v_cndmask_b32_e64 v0, v13, v10, s[0:1]
	s_mov_b64 s[6:7], 0
	v_lshlrev_b32_e32 v12, 3, v11
	s_branch .LBB196_45
.LBB196_44:                             ;   in Loop: Header=BB196_45 Depth=1
	s_or_b64 exec, exec, s[12:13]
	v_add_co_u32_e64 v4, s[0:1], 4, v4
	v_addc_co_u32_e64 v5, s[0:1], 0, v5, s[0:1]
	v_cmp_ge_i64_e64 s[0:1], v[4:5], v[2:3]
	s_or_b64 s[6:7], s[0:1], s[6:7]
	s_andn2_b64 exec, exec, s[6:7]
	s_cbranch_execz .LBB196_58
.LBB196_45:                             ; =>This Loop Header: Depth=1
                                        ;     Child Loop BB196_48 Depth 2
	s_and_saveexec_b64 s[12:13], vcc
	s_cbranch_execz .LBB196_44
; %bb.46:                               ;   in Loop: Header=BB196_45 Depth=1
	v_lshlrev_b64 v[10:11], 2, v[4:5]
	v_mov_b32_e32 v13, s19
	v_add_co_u32_e64 v10, s[0:1], s18, v10
	v_addc_co_u32_e64 v11, s[0:1], v13, v11, s[0:1]
	global_load_dword v13, v[10:11], off
	v_mad_u64_u32 v[10:11], s[0:1], v4, s4, 0
	v_mov_b32_e32 v14, v11
	v_mad_u64_u32 v[14:15], s[0:1], v5, s4, v[14:15]
	v_mov_b32_e32 v11, v14
	v_lshlrev_b64 v[10:11], 3, v[10:11]
	v_add_co_u32_e64 v10, s[0:1], v0, v10
	v_addc_co_u32_e64 v11, s[0:1], v1, v11, s[0:1]
	global_load_dwordx2 v[10:11], v[10:11], off
	s_mov_b64 s[14:15], 0
	s_waitcnt vmcnt(1)
	v_subrev_u32_e32 v13, s39, v13
	v_lshl_add_u32 v14, v13, 3, v13
	v_and_b32_e32 v14, 15, v14
	s_waitcnt vmcnt(0)
	v_mul_f64 v[10:11], v[6:7], v[10:11]
	s_branch .LBB196_48
.LBB196_47:                             ;   in Loop: Header=BB196_48 Depth=2
	s_or_b64 exec, exec, s[0:1]
	s_xor_b64 s[0:1], s[20:21], -1
	s_and_b64 s[0:1], exec, s[0:1]
	s_or_b64 s[14:15], s[0:1], s[14:15]
	s_andn2_b64 exec, exec, s[14:15]
	s_cbranch_execz .LBB196_44
.LBB196_48:                             ;   Parent Loop BB196_45 Depth=1
                                        ; =>  This Inner Loop Header: Depth=2
	v_lshl_add_u32 v15, v14, 2, v34
	ds_read_b32 v16, v15
                                        ; implicit-def: $sgpr20_sgpr21
	s_waitcnt lgkmcnt(0)
	v_cmp_ne_u32_e64 s[0:1], v16, v13
	s_and_saveexec_b64 s[16:17], s[0:1]
	s_xor_b64 s[16:17], exec, s[16:17]
	s_cbranch_execz .LBB196_56
; %bb.49:                               ;   in Loop: Header=BB196_48 Depth=2
	v_cmp_ne_u32_e64 s[0:1], s10, v16
                                        ; implicit-def: $sgpr20_sgpr21
	s_and_saveexec_b64 s[24:25], s[0:1]
	s_xor_b64 s[0:1], exec, s[24:25]
; %bb.50:                               ;   in Loop: Header=BB196_48 Depth=2
	v_add_u32_e32 v14, 1, v14
	v_and_b32_e32 v14, 15, v14
	s_mov_b64 s[20:21], -1
                                        ; implicit-def: $vgpr15
; %bb.51:                               ;   in Loop: Header=BB196_48 Depth=2
	s_andn2_saveexec_b64 s[24:25], s[0:1]
	s_cbranch_execz .LBB196_55
; %bb.52:                               ;   in Loop: Header=BB196_48 Depth=2
	v_mov_b32_e32 v16, s10
	ds_cmpst_rtn_b32 v15, v15, v16, v13
	s_mov_b64 s[26:27], -1
	s_waitcnt lgkmcnt(0)
	v_cmp_eq_u32_e64 s[0:1], s10, v15
	s_and_saveexec_b64 s[28:29], s[0:1]
	s_cbranch_execz .LBB196_54
; %bb.53:                               ;   in Loop: Header=BB196_48 Depth=2
	v_lshl_or_b32 v15, v14, 7, v12
	v_add_u32_e32 v15, v36, v15
	ds_add_f64 v15, v[10:11]
	s_xor_b64 s[26:27], exec, -1
.LBB196_54:                             ;   in Loop: Header=BB196_48 Depth=2
	s_or_b64 exec, exec, s[28:29]
	s_andn2_b64 s[0:1], s[20:21], exec
	s_and_b64 s[20:21], s[26:27], exec
	s_or_b64 s[20:21], s[0:1], s[20:21]
.LBB196_55:                             ;   in Loop: Header=BB196_48 Depth=2
	s_or_b64 exec, exec, s[24:25]
	s_and_b64 s[20:21], s[20:21], exec
.LBB196_56:                             ;   in Loop: Header=BB196_48 Depth=2
	s_andn2_saveexec_b64 s[0:1], s[16:17]
	s_cbranch_execz .LBB196_47
; %bb.57:                               ;   in Loop: Header=BB196_48 Depth=2
	v_lshl_or_b32 v15, v14, 7, v12
	v_add_u32_e32 v15, v36, v15
	ds_add_f64 v15, v[10:11]
	s_andn2_b64 s[20:21], s[20:21], exec
	s_branch .LBB196_47
.LBB196_58:
	s_or_b64 exec, exec, s[2:3]
.LBB196_59:
	v_mov_b32_e32 v1, s23
	v_add_co_u32_e32 v0, vcc, s22, v8
	v_addc_co_u32_e32 v1, vcc, v1, v9, vcc
	s_waitcnt lgkmcnt(0)
	s_barrier
	global_load_dwordx2 v[0:1], v[0:1], off
	v_mul_lo_u32 v4, v39, s11
	v_mov_b32_e32 v5, 0
	v_max_i32_e32 v3, v38, v39
	s_cmp_eq_u32 s8, 0
	v_lshlrev_b32_e32 v8, 6, v35
	v_lshlrev_b32_e32 v9, 2, v37
	s_movk_i32 s2, 0x2000
	v_lshlrev_b64 v[4:5], 3, v[4:5]
	v_mov_b32_e32 v6, s43
	v_cmp_gt_i32_e32 vcc, s11, v3
	s_cselect_b64 s[0:1], -1, 0
	v_or3_b32 v3, v8, v9, s2
	v_add_co_u32_e64 v4, s[2:3], s42, v4
	v_lshlrev_b32_e32 v7, 3, v38
	v_addc_co_u32_e64 v5, s[2:3], v6, v5, s[2:3]
	v_cndmask_b32_e64 v6, v39, v38, s[0:1]
	v_cndmask_b32_e64 v10, v38, v39, s[0:1]
	v_add_co_u32_e64 v4, s[0:1], v4, v7
	v_lshlrev_b32_e32 v6, 3, v6
	v_addc_co_u32_e64 v5, s[0:1], 0, v5, s[0:1]
	v_lshl_or_b32 v6, v37, 7, v6
	v_lshl_or_b32 v6, v10, 5, v6
	v_or_b32_e32 v2, -4, v37
	v_add_u32_e32 v6, v36, v6
	s_mov_b64 s[2:3], 0
	s_waitcnt vmcnt(0)
	v_subrev_co_u32_e64 v7, s[0:1], s38, v0
	v_subbrev_co_u32_e64 v8, s[0:1], 0, v1, s[0:1]
	s_branch .LBB196_61
.LBB196_60:                             ;   in Loop: Header=BB196_61 Depth=1
	s_or_b64 exec, exec, s[6:7]
	v_add_u32_e32 v2, 4, v2
	v_cmp_lt_u32_e64 s[0:1], 11, v2
	v_add_u32_e32 v6, 0x200, v6
	s_or_b64 s[2:3], s[0:1], s[2:3]
	v_add_u32_e32 v3, 16, v3
	s_andn2_b64 exec, exec, s[2:3]
	s_cbranch_execz .LBB196_64
.LBB196_61:                             ; =>This Inner Loop Header: Depth=1
	ds_read_b32 v9, v3
	s_waitcnt lgkmcnt(0)
	v_cmp_gt_i32_e64 s[0:1], s10, v9
	s_and_saveexec_b64 s[6:7], s[0:1]
	s_cbranch_execz .LBB196_60
; %bb.62:                               ;   in Loop: Header=BB196_61 Depth=1
	ds_read_b128 v[10:13], v34
	ds_read_b128 v[14:17], v34 offset:16
	ds_read_b128 v[18:21], v34 offset:32
	;; [unrolled: 1-line block ×3, first 2 shown]
	s_waitcnt lgkmcnt(3)
	v_cmp_gt_i32_e64 s[0:1], v9, v10
	v_cndmask_b32_e64 v0, 0, 1, s[0:1]
	v_add_co_u32_e64 v0, s[0:1], v7, v0
	v_addc_co_u32_e64 v1, s[0:1], 0, v8, s[0:1]
	v_cmp_gt_i32_e64 s[0:1], v9, v11
	v_cndmask_b32_e64 v10, 0, 1, s[0:1]
	v_add_co_u32_e64 v0, s[0:1], v0, v10
	v_addc_co_u32_e64 v1, s[0:1], 0, v1, s[0:1]
	v_cmp_gt_i32_e64 s[0:1], v9, v12
	v_cndmask_b32_e64 v10, 0, 1, s[0:1]
	v_add_co_u32_e64 v0, s[0:1], v0, v10
	v_addc_co_u32_e64 v1, s[0:1], 0, v1, s[0:1]
	v_cmp_gt_i32_e64 s[0:1], v9, v13
	v_cndmask_b32_e64 v10, 0, 1, s[0:1]
	v_add_co_u32_e64 v0, s[0:1], v0, v10
	v_addc_co_u32_e64 v1, s[0:1], 0, v1, s[0:1]
	s_waitcnt lgkmcnt(2)
	v_cmp_gt_i32_e64 s[0:1], v9, v14
	v_cndmask_b32_e64 v10, 0, 1, s[0:1]
	v_add_co_u32_e64 v0, s[0:1], v0, v10
	v_addc_co_u32_e64 v1, s[0:1], 0, v1, s[0:1]
	v_cmp_gt_i32_e64 s[0:1], v9, v15
	v_cndmask_b32_e64 v10, 0, 1, s[0:1]
	v_add_co_u32_e64 v0, s[0:1], v0, v10
	v_addc_co_u32_e64 v1, s[0:1], 0, v1, s[0:1]
	v_cmp_gt_i32_e64 s[0:1], v9, v16
	v_cndmask_b32_e64 v10, 0, 1, s[0:1]
	v_add_co_u32_e64 v0, s[0:1], v0, v10
	v_addc_co_u32_e64 v1, s[0:1], 0, v1, s[0:1]
	v_cmp_gt_i32_e64 s[0:1], v9, v17
	v_cndmask_b32_e64 v10, 0, 1, s[0:1]
	v_add_co_u32_e64 v0, s[0:1], v0, v10
	v_addc_co_u32_e64 v1, s[0:1], 0, v1, s[0:1]
	s_waitcnt lgkmcnt(1)
	v_cmp_gt_i32_e64 s[0:1], v9, v18
	v_cndmask_b32_e64 v10, 0, 1, s[0:1]
	v_add_co_u32_e64 v0, s[0:1], v0, v10
	v_addc_co_u32_e64 v1, s[0:1], 0, v1, s[0:1]
	v_cmp_gt_i32_e64 s[0:1], v9, v19
	v_cndmask_b32_e64 v10, 0, 1, s[0:1]
	v_add_co_u32_e64 v0, s[0:1], v0, v10
	v_addc_co_u32_e64 v1, s[0:1], 0, v1, s[0:1]
	v_cmp_gt_i32_e64 s[0:1], v9, v20
	v_cndmask_b32_e64 v10, 0, 1, s[0:1]
	v_add_co_u32_e64 v0, s[0:1], v0, v10
	v_addc_co_u32_e64 v1, s[0:1], 0, v1, s[0:1]
	v_cmp_gt_i32_e64 s[0:1], v9, v21
	v_cndmask_b32_e64 v10, 0, 1, s[0:1]
	v_add_co_u32_e64 v0, s[0:1], v0, v10
	v_addc_co_u32_e64 v1, s[0:1], 0, v1, s[0:1]
	s_waitcnt lgkmcnt(0)
	v_cmp_gt_i32_e64 s[0:1], v9, v22
	v_cndmask_b32_e64 v10, 0, 1, s[0:1]
	v_add_co_u32_e64 v0, s[0:1], v0, v10
	v_addc_co_u32_e64 v1, s[0:1], 0, v1, s[0:1]
	v_cmp_gt_i32_e64 s[0:1], v9, v23
	v_cndmask_b32_e64 v10, 0, 1, s[0:1]
	v_add_co_u32_e64 v0, s[0:1], v0, v10
	v_addc_co_u32_e64 v1, s[0:1], 0, v1, s[0:1]
	v_cmp_gt_i32_e64 s[0:1], v9, v24
	v_cndmask_b32_e64 v10, 0, 1, s[0:1]
	v_add_co_u32_e64 v0, s[0:1], v0, v10
	v_addc_co_u32_e64 v1, s[0:1], 0, v1, s[0:1]
	v_cmp_gt_i32_e64 s[0:1], v9, v25
	v_cndmask_b32_e64 v10, 0, 1, s[0:1]
	v_add_co_u32_e64 v0, s[0:1], v0, v10
	v_addc_co_u32_e64 v1, s[0:1], 0, v1, s[0:1]
	v_lshlrev_b64 v[10:11], 2, v[0:1]
	v_mov_b32_e32 v12, s41
	v_add_co_u32_e64 v10, s[0:1], s40, v10
	v_add_u32_e32 v9, s38, v9
	v_addc_co_u32_e64 v11, s[0:1], v12, v11, s[0:1]
	global_store_dword v[10:11], v9, off
	s_and_b64 exec, exec, vcc
	s_cbranch_execz .LBB196_60
; %bb.63:                               ;   in Loop: Header=BB196_61 Depth=1
	v_mad_u64_u32 v[10:11], s[0:1], v0, s4, 0
	v_mov_b32_e32 v0, v11
	v_mad_u64_u32 v[0:1], s[0:1], v1, s4, v[0:1]
	v_mov_b32_e32 v11, v0
	v_lshlrev_b64 v[0:1], 3, v[10:11]
	ds_read_b64 v[10:11], v6
	v_add_co_u32_e64 v0, s[0:1], v4, v0
	v_addc_co_u32_e64 v1, s[0:1], v5, v1, s[0:1]
	s_waitcnt lgkmcnt(0)
	global_store_dwordx2 v[0:1], v[10:11], off
	s_branch .LBB196_60
.LBB196_64:
	s_endpgm
	.section	.rodata,"a",@progbits
	.p2align	6, 0x0
	.amdhsa_kernel _ZN9rocsparseL23bsrgemm_fill_wf_per_rowILj256ELj64ELj16ELj137ELj4ElidEEv20rocsparse_direction_T5_S2_S2_PKS2_S4_NS_24const_host_device_scalarIT6_EEPKT4_S4_PKS6_SA_S4_SC_S7_SA_S4_SC_SA_PS2_PS6_21rocsparse_index_base_SF_SF_SF_bbb
		.amdhsa_group_segment_fixed_size 8448
		.amdhsa_private_segment_fixed_size 0
		.amdhsa_kernarg_size 164
		.amdhsa_user_sgpr_count 6
		.amdhsa_user_sgpr_private_segment_buffer 1
		.amdhsa_user_sgpr_dispatch_ptr 0
		.amdhsa_user_sgpr_queue_ptr 0
		.amdhsa_user_sgpr_kernarg_segment_ptr 1
		.amdhsa_user_sgpr_dispatch_id 0
		.amdhsa_user_sgpr_flat_scratch_init 0
		.amdhsa_user_sgpr_kernarg_preload_length 0
		.amdhsa_user_sgpr_kernarg_preload_offset 0
		.amdhsa_user_sgpr_private_segment_size 0
		.amdhsa_uses_dynamic_stack 0
		.amdhsa_system_sgpr_private_segment_wavefront_offset 0
		.amdhsa_system_sgpr_workgroup_id_x 1
		.amdhsa_system_sgpr_workgroup_id_y 0
		.amdhsa_system_sgpr_workgroup_id_z 0
		.amdhsa_system_sgpr_workgroup_info 0
		.amdhsa_system_vgpr_workitem_id 0
		.amdhsa_next_free_vgpr 48
		.amdhsa_next_free_sgpr 66
		.amdhsa_accum_offset 48
		.amdhsa_reserve_vcc 1
		.amdhsa_reserve_flat_scratch 0
		.amdhsa_float_round_mode_32 0
		.amdhsa_float_round_mode_16_64 0
		.amdhsa_float_denorm_mode_32 3
		.amdhsa_float_denorm_mode_16_64 3
		.amdhsa_dx10_clamp 1
		.amdhsa_ieee_mode 1
		.amdhsa_fp16_overflow 0
		.amdhsa_tg_split 0
		.amdhsa_exception_fp_ieee_invalid_op 0
		.amdhsa_exception_fp_denorm_src 0
		.amdhsa_exception_fp_ieee_div_zero 0
		.amdhsa_exception_fp_ieee_overflow 0
		.amdhsa_exception_fp_ieee_underflow 0
		.amdhsa_exception_fp_ieee_inexact 0
		.amdhsa_exception_int_div_zero 0
	.end_amdhsa_kernel
	.section	.text._ZN9rocsparseL23bsrgemm_fill_wf_per_rowILj256ELj64ELj16ELj137ELj4ElidEEv20rocsparse_direction_T5_S2_S2_PKS2_S4_NS_24const_host_device_scalarIT6_EEPKT4_S4_PKS6_SA_S4_SC_S7_SA_S4_SC_SA_PS2_PS6_21rocsparse_index_base_SF_SF_SF_bbb,"axG",@progbits,_ZN9rocsparseL23bsrgemm_fill_wf_per_rowILj256ELj64ELj16ELj137ELj4ElidEEv20rocsparse_direction_T5_S2_S2_PKS2_S4_NS_24const_host_device_scalarIT6_EEPKT4_S4_PKS6_SA_S4_SC_S7_SA_S4_SC_SA_PS2_PS6_21rocsparse_index_base_SF_SF_SF_bbb,comdat
.Lfunc_end196:
	.size	_ZN9rocsparseL23bsrgemm_fill_wf_per_rowILj256ELj64ELj16ELj137ELj4ElidEEv20rocsparse_direction_T5_S2_S2_PKS2_S4_NS_24const_host_device_scalarIT6_EEPKT4_S4_PKS6_SA_S4_SC_S7_SA_S4_SC_SA_PS2_PS6_21rocsparse_index_base_SF_SF_SF_bbb, .Lfunc_end196-_ZN9rocsparseL23bsrgemm_fill_wf_per_rowILj256ELj64ELj16ELj137ELj4ElidEEv20rocsparse_direction_T5_S2_S2_PKS2_S4_NS_24const_host_device_scalarIT6_EEPKT4_S4_PKS6_SA_S4_SC_S7_SA_S4_SC_SA_PS2_PS6_21rocsparse_index_base_SF_SF_SF_bbb
                                        ; -- End function
	.section	.AMDGPU.csdata,"",@progbits
; Kernel info:
; codeLenInByte = 3104
; NumSgprs: 70
; NumVgprs: 48
; NumAgprs: 0
; TotalNumVgprs: 48
; ScratchSize: 0
; MemoryBound: 0
; FloatMode: 240
; IeeeMode: 1
; LDSByteSize: 8448 bytes/workgroup (compile time only)
; SGPRBlocks: 8
; VGPRBlocks: 5
; NumSGPRsForWavesPerEU: 70
; NumVGPRsForWavesPerEU: 48
; AccumOffset: 48
; Occupancy: 7
; WaveLimiterHint : 1
; COMPUTE_PGM_RSRC2:SCRATCH_EN: 0
; COMPUTE_PGM_RSRC2:USER_SGPR: 6
; COMPUTE_PGM_RSRC2:TRAP_HANDLER: 0
; COMPUTE_PGM_RSRC2:TGID_X_EN: 1
; COMPUTE_PGM_RSRC2:TGID_Y_EN: 0
; COMPUTE_PGM_RSRC2:TGID_Z_EN: 0
; COMPUTE_PGM_RSRC2:TIDIG_COMP_CNT: 0
; COMPUTE_PGM_RSRC3_GFX90A:ACCUM_OFFSET: 11
; COMPUTE_PGM_RSRC3_GFX90A:TG_SPLIT: 0
	.section	.text._ZN9rocsparseL38bsrgemm_block_per_row_atomic_multipassILj256ELj32ELj4ElidEEv20rocsparse_direction_T3_S2_PKS2_S4_NS_24const_host_device_scalarIT4_EEPKT2_S4_PKS6_SA_S4_SC_S7_SA_S4_SC_SA_PS2_PS6_PS8_21rocsparse_index_base_SG_SG_SG_bbb,"axG",@progbits,_ZN9rocsparseL38bsrgemm_block_per_row_atomic_multipassILj256ELj32ELj4ElidEEv20rocsparse_direction_T3_S2_PKS2_S4_NS_24const_host_device_scalarIT4_EEPKT2_S4_PKS6_SA_S4_SC_S7_SA_S4_SC_SA_PS2_PS6_PS8_21rocsparse_index_base_SG_SG_SG_bbb,comdat
	.globl	_ZN9rocsparseL38bsrgemm_block_per_row_atomic_multipassILj256ELj32ELj4ElidEEv20rocsparse_direction_T3_S2_PKS2_S4_NS_24const_host_device_scalarIT4_EEPKT2_S4_PKS6_SA_S4_SC_S7_SA_S4_SC_SA_PS2_PS6_PS8_21rocsparse_index_base_SG_SG_SG_bbb ; -- Begin function _ZN9rocsparseL38bsrgemm_block_per_row_atomic_multipassILj256ELj32ELj4ElidEEv20rocsparse_direction_T3_S2_PKS2_S4_NS_24const_host_device_scalarIT4_EEPKT2_S4_PKS6_SA_S4_SC_S7_SA_S4_SC_SA_PS2_PS6_PS8_21rocsparse_index_base_SG_SG_SG_bbb
	.p2align	8
	.type	_ZN9rocsparseL38bsrgemm_block_per_row_atomic_multipassILj256ELj32ELj4ElidEEv20rocsparse_direction_T3_S2_PKS2_S4_NS_24const_host_device_scalarIT4_EEPKT2_S4_PKS6_SA_S4_SC_S7_SA_S4_SC_SA_PS2_PS6_PS8_21rocsparse_index_base_SG_SG_SG_bbb,@function
_ZN9rocsparseL38bsrgemm_block_per_row_atomic_multipassILj256ELj32ELj4ElidEEv20rocsparse_direction_T3_S2_PKS2_S4_NS_24const_host_device_scalarIT4_EEPKT2_S4_PKS6_SA_S4_SC_S7_SA_S4_SC_SA_PS2_PS6_PS8_21rocsparse_index_base_SG_SG_SG_bbb: ; @_ZN9rocsparseL38bsrgemm_block_per_row_atomic_multipassILj256ELj32ELj4ElidEEv20rocsparse_direction_T3_S2_PKS2_S4_NS_24const_host_device_scalarIT4_EEPKT2_S4_PKS6_SA_S4_SC_S7_SA_S4_SC_SA_PS2_PS6_PS8_21rocsparse_index_base_SG_SG_SG_bbb
; %bb.0:
	s_load_dword s7, s[4:5], 0xa8
	s_load_dwordx4 s[44:47], s[4:5], 0x98
	s_load_dwordx2 s[8:9], s[4:5], 0x20
	s_waitcnt lgkmcnt(0)
	s_and_b32 s0, 1, s7
	s_bitcmp1_b32 s7, 16
	s_cselect_b64 s[2:3], -1, 0
	s_cmp_eq_u32 s0, 1
	s_load_dwordx2 s[0:1], s[4:5], 0x58
	s_cselect_b64 s[14:15], -1, 0
	s_and_b64 s[10:11], s[14:15], exec
	s_cselect_b32 s11, s9, 0
	s_cselect_b32 s10, s8, 0
	s_xor_b64 s[12:13], s[14:15], -1
	s_or_b64 s[12:13], s[12:13], s[2:3]
	s_and_b64 vcc, exec, s[12:13]
	v_pk_mov_b32 v[2:3], s[10:11], s[10:11] op_sel:[0,1]
	s_cbranch_vccnz .LBB197_2
; %bb.1:
	v_pk_mov_b32 v[2:3], s[8:9], s[8:9] op_sel:[0,1]
	flat_load_dwordx2 v[2:3], v[2:3]
.LBB197_2:
	s_bitcmp1_b32 s7, 8
	s_load_dwordx2 s[8:9], s[4:5], 0x18
	s_cselect_b64 s[34:35], -1, 0
	s_and_b64 s[10:11], s[34:35], exec
	s_waitcnt lgkmcnt(0)
	s_cselect_b32 s11, s1, 0
	s_cselect_b32 s10, s0, 0
	s_xor_b64 s[12:13], s[34:35], -1
	s_or_b64 s[2:3], s[12:13], s[2:3]
	s_and_b64 vcc, exec, s[2:3]
	v_pk_mov_b32 v[4:5], s[10:11], s[10:11] op_sel:[0,1]
	s_cbranch_vccnz .LBB197_4
; %bb.3:
	v_pk_mov_b32 v[4:5], s[0:1], s[0:1] op_sel:[0,1]
	flat_load_dwordx2 v[4:5], v[4:5]
.LBB197_4:
	s_load_dwordx2 s[2:3], s[4:5], 0x28
	s_cmp_eq_u64 s[8:9], 0
	s_mov_b64 s[56:57], 0
	s_cbranch_scc1 .LBB197_6
; %bb.5:
	s_load_dwordx2 s[0:1], s[4:5], 0x10
	s_waitcnt lgkmcnt(0)
	s_load_dword s0, s[0:1], 0x0
	s_mov_b32 s1, 0
	s_waitcnt lgkmcnt(0)
	s_add_i32 s0, s0, s6
	s_lshl_b64 s[0:1], s[0:1], 2
	s_add_u32 s0, s8, s0
	s_addc_u32 s1, s9, s1
	s_load_dword s6, s[0:1], 0x0
.LBB197_6:
	v_cndmask_b32_e64 v1, 0, 1, s[14:15]
	v_cmp_ne_u32_e64 s[0:1], 1, v1
	s_andn2_b64 vcc, exec, s[14:15]
	s_cbranch_vccz .LBB197_9
; %bb.7:
	s_and_b64 vcc, exec, s[0:1]
	s_mov_b64 s[58:59], 0
	s_cbranch_vccz .LBB197_10
.LBB197_8:
	s_load_dwordx4 s[48:51], s[4:5], 0x0
	s_waitcnt lgkmcnt(0)
	s_cmp_lt_i32 s49, 1
	s_cbranch_scc0 .LBB197_11
	s_branch .LBB197_93
.LBB197_9:
	s_waitcnt lgkmcnt(0)
	s_ashr_i32 s7, s6, 31
	s_lshl_b64 s[8:9], s[6:7], 3
	s_add_u32 s8, s2, s8
	s_addc_u32 s9, s3, s9
	s_load_dwordx2 s[8:9], s[8:9], 0x0
	s_waitcnt lgkmcnt(0)
	s_sub_u32 s56, s8, s44
	s_subb_u32 s57, s9, 0
	s_and_b64 vcc, exec, s[0:1]
	s_mov_b64 s[58:59], 0
	s_cbranch_vccnz .LBB197_8
.LBB197_10:
	s_waitcnt lgkmcnt(0)
	s_ashr_i32 s7, s6, 31
	s_lshl_b64 s[0:1], s[6:7], 3
	s_add_u32 s0, s2, s0
	s_addc_u32 s1, s3, s1
	s_load_dwordx2 s[0:1], s[0:1], 0x8
	s_waitcnt lgkmcnt(0)
	s_sub_u32 s58, s0, s44
	s_subb_u32 s59, s1, 0
	s_load_dwordx4 s[48:51], s[4:5], 0x0
	s_waitcnt lgkmcnt(0)
	s_cmp_lt_i32 s49, 1
	s_cbranch_scc1 .LBB197_93
.LBB197_11:
	s_load_dwordx2 s[60:61], s[4:5], 0x90
	s_load_dwordx4 s[52:55], s[4:5], 0x80
	s_load_dwordx8 s[24:31], s[4:5], 0x60
	s_load_dwordx2 s[68:69], s[4:5], 0x50
	s_load_dwordx8 s[36:43], s[4:5], 0x30
	v_pk_mov_b32 v[8:9], s[58:59], s[58:59] op_sel:[0,1]
	v_bfe_u32 v7, v0, 2, 2
	v_cmp_lt_i64_e32 vcc, s[56:57], v[8:9]
	v_mov_b32_e32 v8, 0
	v_and_b32_e32 v13, 3, v0
	v_mul_lo_u32 v10, v7, s50
	v_mov_b32_e32 v11, v8
	s_ashr_i32 s7, s6, 31
	v_max_i32_e32 v9, v13, v7
	v_lshlrev_b64 v[10:11], 3, v[10:11]
	s_lshl_b64 s[10:11], s[6:7], 3
	v_cmp_gt_i32_e64 s[6:7], s50, v9
	s_waitcnt lgkmcnt(0)
	v_mov_b32_e32 v9, s39
	v_add_co_u32_e64 v12, s[8:9], s38, v10
	v_addc_co_u32_e64 v9, s[8:9], v9, v11, s[8:9]
	v_lshlrev_b32_e32 v16, 3, v13
	s_add_u32 s0, s30, s10
	v_add_co_u32_e64 v38, s[8:9], v12, v16
	v_mul_lo_u32 v14, v13, s50
	v_mov_b32_e32 v15, v8
	s_addc_u32 s1, s31, s11
	v_addc_co_u32_e64 v39, s[8:9], 0, v9, s[8:9]
	v_lshlrev_b64 v[14:15], 3, v[14:15]
	s_load_dwordx2 s[0:1], s[0:1], 0x0
	v_mov_b32_e32 v9, s29
	v_add_co_u32_e64 v12, s[8:9], s28, v14
	v_addc_co_u32_e64 v17, s[8:9], v9, v15, s[8:9]
	v_lshlrev_b32_e32 v7, 3, v7
	v_add_co_u32_e64 v12, s[8:9], v12, v7
	v_addc_co_u32_e64 v17, s[8:9], 0, v17, s[8:9]
	v_add_co_u32_e64 v18, s[8:9], s28, v10
	s_waitcnt lgkmcnt(0)
	s_sub_u32 s30, s0, s46
	v_addc_co_u32_e64 v9, s[8:9], v9, v11, s[8:9]
	s_subb_u32 s31, s1, 0
	v_add_co_u32_e64 v18, s[8:9], v18, v16
	v_lshrrev_b32_e32 v6, 4, v0
	s_cmp_eq_u32 s48, 0
	v_addc_co_u32_e64 v9, s[8:9], 0, v9, s[8:9]
	s_cselect_b64 s[22:23], -1, 0
	s_cmp_lg_u32 s48, 0
	v_subrev_co_u32_e64 v41, s[8:9], s47, v6
	v_and_b32_e32 v1, 15, v0
	s_cselect_b64 s[38:39], -1, 0
	s_cmp_gt_i32 s50, 0
	v_subb_co_u32_e64 v42, s[8:9], 0, 0, s[8:9]
	s_cselect_b64 s[64:65], -1, 0
	s_add_u32 s66, s24, s10
	v_cmp_eq_u32_e64 s[8:9], 15, v1
	v_and_b32_e32 v1, 31, v0
	s_addc_u32 s67, s25, s11
	v_add_co_u32_e64 v20, s[10:11], -1, v1
	v_mov_b32_e32 v21, 0x1800
	v_lshl_add_u32 v44, v20, 2, v21
	v_mov_b32_e32 v20, s55
	v_add_co_u32_e64 v22, s[12:13], s54, v14
	v_addc_co_u32_e64 v23, s[12:13], v20, v15, s[12:13]
	s_movk_i32 s2, 0x200
	v_add_co_u32_e64 v22, s[12:13], v22, v7
	v_cmp_gt_u32_e64 s[0:1], 32, v0
	v_cmp_gt_u32_e64 s[2:3], s2, v0
	v_cmp_eq_u32_e64 s[4:5], 0, v0
	v_lshlrev_b32_e32 v36, 3, v0
	s_movk_i32 s51, 0x1000
	v_and_b32_e32 v40, 12, v0
	v_addc_co_u32_e64 v23, s[12:13], 0, v23, s[12:13]
	v_lshl_or_b32 v45, v0, 2, v21
	v_or_b32_e32 v50, 0xffffff00, v0
	v_lshlrev_b32_e32 v0, 7, v6
	v_add_co_u32_e64 v10, s[12:13], s54, v10
	s_and_b64 s[54:55], s[14:15], vcc
	v_or3_b32 v51, v0, v7, s51
	v_mov_b32_e32 v0, s69
	v_add_co_u32_e32 v14, vcc, s68, v14
	v_addc_co_u32_e64 v11, s[12:13], v20, v11, s[12:13]
	v_addc_co_u32_e32 v15, vcc, v0, v15, vcc
	v_add_co_u32_e64 v20, s[12:13], v10, v16
	s_add_u32 s87, s40, 8
	v_add_co_u32_e32 v16, vcc, s68, v16
	s_mov_b32 s63, 0
	v_addc_co_u32_e64 v24, s[12:13], 0, v11, s[12:13]
	s_addc_u32 s88, s41, 0
	v_cndmask_b32_e64 v11, v17, v9, s[22:23]
	v_addc_co_u32_e32 v17, vcc, 0, v0, vcc
	s_mul_i32 s62, s50, s50
	v_lshlrev_b32_e32 v19, 2, v1
	s_add_u32 s89, s52, -4
	s_mov_b32 s51, s63
	v_add_co_u32_e32 v52, vcc, 16, v41
	v_and_b32_e32 v0, 0x7e0, v36
	v_or_b32_e32 v37, 0x1000, v36
	s_mov_b32 s33, s45
	s_mov_b32 s86, s63
	;; [unrolled: 1-line block ×3, first 2 shown]
	v_or_b32_e32 v43, 0x1800, v19
	v_cmp_ne_u32_e64 s[12:13], 0, v1
	v_cmp_lt_u32_e64 s[14:15], 1, v1
	v_add_u32_e32 v46, 0x17f8, v19
	v_cmp_lt_u32_e64 s[16:17], 3, v1
	v_add_u32_e32 v47, 0x17f0, v19
	s_addc_u32 s90, s53, -1
	v_cmp_lt_u32_e64 s[18:19], 7, v1
	v_add_u32_e32 v48, 0x17e0, v19
	v_cmp_lt_u32_e64 s[20:21], 15, v1
	v_add_u32_e32 v49, 0x17c0, v19
	v_cndmask_b32_e64 v10, v12, v18, s[22:23]
	v_cndmask_b32_e64 v1, v23, v24, s[22:23]
	;; [unrolled: 1-line block ×3, first 2 shown]
	s_lshl_b64 s[52:53], s[62:63], 3
	v_addc_co_u32_e32 v53, vcc, 0, v42, vcc
	s_lshl_b64 s[68:69], s[50:51], 3
	v_or_b32_e32 v54, 0x1000, v0
	v_pk_mov_b32 v[18:19], s[30:31], s[30:31] op_sel:[0,1]
	s_lshl_b64 s[70:71], s[62:63], 7
	v_lshl_or_b32 v55, v6, 2, v21
	v_mov_b32_e32 v0, 32
	v_mov_b32_e32 v56, 1
	s_branch .LBB197_13
.LBB197_12:                             ;   in Loop: Header=BB197_13 Depth=1
	s_or_b64 exec, exec, s[22:23]
	s_barrier
	ds_read_b32 v7, v8 offset:6272
	v_ashrrev_i32_e32 v0, 31, v9
	v_add_co_u32_e32 v18, vcc, v18, v9
	v_addc_co_u32_e32 v19, vcc, v19, v0, vcc
	s_waitcnt lgkmcnt(0)
	v_cmp_le_i32_e32 vcc, s49, v7
	v_readfirstlane_b32 s63, v7
	v_add_u32_e32 v0, 32, v7
	s_barrier
	s_cbranch_vccnz .LBB197_93
.LBB197_13:                             ; =>This Loop Header: Depth=1
                                        ;     Child Loop BB197_17 Depth 2
                                        ;     Child Loop BB197_23 Depth 2
                                        ;       Child Loop BB197_36 Depth 3
                                        ;         Child Loop BB197_45 Depth 4
                                        ;         Child Loop BB197_50 Depth 4
                                        ;     Child Loop BB197_61 Depth 2
                                        ;     Child Loop BB197_70 Depth 2
	;; [unrolled: 1-line block ×3, first 2 shown]
	s_and_saveexec_b64 s[22:23], s[0:1]
	s_cbranch_execz .LBB197_15
; %bb.14:                               ;   in Loop: Header=BB197_13 Depth=1
	ds_write_b32 v45, v8
.LBB197_15:                             ;   in Loop: Header=BB197_13 Depth=1
	s_or_b64 exec, exec, s[22:23]
	s_and_saveexec_b64 s[22:23], s[2:3]
	s_cbranch_execz .LBB197_18
; %bb.16:                               ;   in Loop: Header=BB197_13 Depth=1
	s_mov_b64 s[24:25], 0
	v_mov_b32_e32 v7, v36
	v_mov_b32_e32 v20, v50
.LBB197_17:                             ;   Parent Loop BB197_13 Depth=1
                                        ; =>  This Inner Loop Header: Depth=2
	v_add_co_u32_e32 v20, vcc, 0x100, v20
	s_xor_b64 s[28:29], vcc, -1
	v_mov_b32_e32 v9, v8
	s_and_b64 s[28:29], exec, s[28:29]
	ds_write_b64 v7, v[8:9]
	s_or_b64 s[24:25], s[28:29], s[24:25]
	v_add_u32_e32 v7, 0x800, v7
	s_andn2_b64 exec, exec, s[24:25]
	s_cbranch_execnz .LBB197_17
.LBB197_18:                             ;   in Loop: Header=BB197_13 Depth=1
	s_or_b64 exec, exec, s[22:23]
	s_and_saveexec_b64 s[22:23], s[4:5]
	s_cbranch_execz .LBB197_20
; %bb.19:                               ;   in Loop: Header=BB197_13 Depth=1
	v_mov_b32_e32 v7, s49
	ds_write_b32 v8, v7 offset:6272
.LBB197_20:                             ;   in Loop: Header=BB197_13 Depth=1
	s_or_b64 exec, exec, s[22:23]
	s_andn2_b64 vcc, exec, s[54:55]
	v_mov_b32_e32 v7, s49
	s_waitcnt lgkmcnt(0)
	s_barrier
	s_cbranch_vccnz .LBB197_56
; %bb.21:                               ;   in Loop: Header=BB197_13 Depth=1
	s_cmp_lg_u32 s63, 0
	s_cselect_b64 s[28:29], -1, 0
	v_mov_b32_e32 v7, s49
	s_mov_b64 s[30:31], s[56:57]
	s_branch .LBB197_23
.LBB197_22:                             ;   in Loop: Header=BB197_23 Depth=2
	s_or_b64 exec, exec, s[24:25]
	s_add_u32 s30, s30, 16
	s_addc_u32 s31, s31, 0
	v_pk_mov_b32 v[20:21], s[58:59], s[58:59] op_sel:[0,1]
	v_cmp_lt_i64_e32 vcc, s[30:31], v[20:21]
	s_cbranch_vccz .LBB197_56
.LBB197_23:                             ;   Parent Loop BB197_13 Depth=1
                                        ; =>  This Loop Header: Depth=2
                                        ;       Child Loop BB197_36 Depth 3
                                        ;         Child Loop BB197_45 Depth 4
                                        ;         Child Loop BB197_50 Depth 4
	v_mov_b32_e32 v9, s31
	v_add_co_u32_e32 v20, vcc, s30, v6
	v_addc_co_u32_e32 v21, vcc, 0, v9, vcc
	v_cmp_gt_i64_e64 s[22:23], s[58:59], v[20:21]
	s_barrier
	s_and_saveexec_b64 s[24:25], s[22:23]
	s_cbranch_execz .LBB197_27
; %bb.24:                               ;   in Loop: Header=BB197_23 Depth=2
	v_pk_mov_b32 v[22:23], 0, 0
	s_and_saveexec_b64 s[72:73], s[6:7]
	s_cbranch_execz .LBB197_26
; %bb.25:                               ;   in Loop: Header=BB197_23 Depth=2
	v_mad_u64_u32 v[22:23], s[74:75], v20, s62, 0
	v_mov_b32_e32 v24, v23
	v_mad_u64_u32 v[24:25], s[74:75], v21, s62, v[24:25]
	v_mov_b32_e32 v23, v24
	v_lshlrev_b64 v[22:23], 3, v[22:23]
	v_add_co_u32_e32 v22, vcc, v38, v22
	v_addc_co_u32_e32 v23, vcc, v39, v23, vcc
	global_load_dwordx2 v[22:23], v[22:23], off
.LBB197_26:                             ;   in Loop: Header=BB197_23 Depth=2
	s_or_b64 exec, exec, s[72:73]
	s_waitcnt vmcnt(0)
	ds_write_b64 v37, v[22:23]
.LBB197_27:                             ;   in Loop: Header=BB197_23 Depth=2
	s_or_b64 exec, exec, s[24:25]
	v_pk_mov_b32 v[22:23], 0, 0
	s_waitcnt lgkmcnt(0)
	s_barrier
	s_and_saveexec_b64 s[72:73], s[22:23]
	s_cbranch_execz .LBB197_53
; %bb.28:                               ;   in Loop: Header=BB197_23 Depth=2
	v_lshlrev_b64 v[22:23], 2, v[20:21]
	v_mov_b32_e32 v9, s37
	v_add_co_u32_e32 v22, vcc, s36, v22
	v_addc_co_u32_e32 v23, vcc, v9, v23, vcc
	global_load_dword v9, v[22:23], off
	s_and_b64 vcc, exec, s[28:29]
	s_waitcnt vmcnt(0)
	v_subrev_u32_e32 v24, s44, v9
	v_ashrrev_i32_e32 v25, 31, v24
	s_cbranch_vccz .LBB197_55
; %bb.29:                               ;   in Loop: Header=BB197_23 Depth=2
	v_lshlrev_b64 v[22:23], 3, v[20:21]
	v_mov_b32_e32 v9, s61
	v_add_co_u32_e32 v22, vcc, s60, v22
	v_addc_co_u32_e32 v23, vcc, v9, v23, vcc
	global_load_dwordx2 v[22:23], v[22:23], off
	s_cbranch_execnz .LBB197_31
.LBB197_30:                             ;   in Loop: Header=BB197_23 Depth=2
	s_waitcnt vmcnt(0)
	v_lshlrev_b64 v[22:23], 3, v[24:25]
	v_mov_b32_e32 v9, s41
	v_add_co_u32_e32 v22, vcc, s40, v22
	v_addc_co_u32_e32 v23, vcc, v9, v23, vcc
	global_load_dwordx2 v[22:23], v[22:23], off
	v_mov_b32_e32 v9, s86
	s_waitcnt vmcnt(0)
	v_subrev_co_u32_e32 v22, vcc, s33, v22
	v_subb_co_u32_e32 v23, vcc, v23, v9, vcc
.LBB197_31:                             ;   in Loop: Header=BB197_23 Depth=2
	v_lshlrev_b64 v[24:25], 3, v[24:25]
	v_mov_b32_e32 v9, s88
	v_add_co_u32_e32 v24, vcc, s87, v24
	v_addc_co_u32_e32 v25, vcc, v9, v25, vcc
	global_load_dwordx2 v[24:25], v[24:25], off
	v_mov_b32_e32 v9, s86
	s_waitcnt vmcnt(0)
	v_subrev_co_u32_e32 v24, vcc, s33, v24
	v_subb_co_u32_e32 v25, vcc, v25, v9, vcc
	v_cmp_lt_i64_e32 vcc, v[22:23], v[24:25]
	s_and_saveexec_b64 s[74:75], vcc
	s_cbranch_execz .LBB197_52
; %bb.32:                               ;   in Loop: Header=BB197_23 Depth=2
	v_mad_u64_u32 v[26:27], s[24:25], s52, v22, v[14:15]
	v_mul_lo_u32 v9, s52, v23
	v_mul_lo_u32 v30, s53, v22
	v_mad_u64_u32 v[28:29], s[24:25], s52, v22, v[16:17]
	v_add3_u32 v27, v30, v27, v9
	v_add3_u32 v29, v30, v29, v9
	s_mov_b64 s[76:77], 0
	v_pk_mov_b32 v[30:31], v[22:23], v[22:23] op_sel:[0,1]
	s_branch .LBB197_36
.LBB197_33:                             ;   in Loop: Header=BB197_36 Depth=3
	v_lshlrev_b32_e32 v9, 4, v9
	v_or3_b32 v9, v9, v40, v13
	v_lshlrev_b32_e32 v9, 3, v9
	v_mul_f64 v[32:33], v[2:3], v[32:33]
	ds_add_f64 v9, v[32:33]
.LBB197_34:                             ;   in Loop: Header=BB197_36 Depth=3
	s_or_b64 exec, exec, s[82:83]
	s_or_b64 s[78:79], s[78:79], exec
.LBB197_35:                             ;   in Loop: Header=BB197_36 Depth=3
	s_or_b64 exec, exec, s[80:81]
	v_add_co_u32_e32 v22, vcc, 1, v22
	v_addc_co_u32_e32 v23, vcc, 0, v23, vcc
	v_cmp_ge_i64_e32 vcc, v[22:23], v[24:25]
	s_xor_b64 s[24:25], s[78:79], -1
	s_or_b64 s[24:25], s[24:25], vcc
	v_mov_b32_e32 v9, s53
	v_add_co_u32_e32 v26, vcc, s52, v26
	v_addc_co_u32_e32 v27, vcc, v27, v9, vcc
	s_and_b64 s[24:25], exec, s[24:25]
	v_add_co_u32_e32 v28, vcc, s52, v28
	s_or_b64 s[76:77], s[24:25], s[76:77]
	v_addc_co_u32_e32 v29, vcc, v29, v9, vcc
	s_andn2_b64 exec, exec, s[76:77]
	s_cbranch_execz .LBB197_51
.LBB197_36:                             ;   Parent Loop BB197_13 Depth=1
                                        ;     Parent Loop BB197_23 Depth=2
                                        ; =>    This Loop Header: Depth=3
                                        ;         Child Loop BB197_45 Depth 4
                                        ;         Child Loop BB197_50 Depth 4
	v_lshlrev_b64 v[32:33], 2, v[22:23]
	v_mov_b32_e32 v9, s43
	v_add_co_u32_e32 v32, vcc, s42, v32
	v_addc_co_u32_e32 v33, vcc, v9, v33, vcc
	global_load_dword v9, v[32:33], off
                                        ; implicit-def: $sgpr78_sgpr79
	s_waitcnt vmcnt(0)
	v_subrev_u32_e32 v9, s45, v9
	v_cmp_gt_i32_e64 s[24:25], s63, v9
	v_cmp_ge_i32_e32 vcc, v9, v0
	s_or_b64 s[24:25], s[24:25], vcc
	s_and_saveexec_b64 s[80:81], s[24:25]
	s_xor_b64 s[24:25], exec, s[80:81]
	s_cbranch_execz .LBB197_40
; %bb.37:                               ;   in Loop: Header=BB197_36 Depth=3
	s_mov_b64 s[78:79], -1
	s_and_saveexec_b64 s[80:81], vcc
; %bb.38:                               ;   in Loop: Header=BB197_36 Depth=3
	v_min_i32_e32 v7, v9, v7
	s_xor_b64 s[78:79], exec, -1
	v_pk_mov_b32 v[30:31], v[22:23], v[22:23] op_sel:[0,1]
; %bb.39:                               ;   in Loop: Header=BB197_36 Depth=3
	s_or_b64 exec, exec, s[80:81]
	s_and_b64 s[78:79], s[78:79], exec
                                        ; implicit-def: $vgpr9
.LBB197_40:                             ;   in Loop: Header=BB197_36 Depth=3
	s_andn2_saveexec_b64 s[80:81], s[24:25]
	s_cbranch_execz .LBB197_35
; %bb.41:                               ;   in Loop: Header=BB197_36 Depth=3
	v_subrev_u32_e32 v9, s63, v9
	v_lshlrev_b32_e32 v32, 2, v9
	ds_write_b32 v32, v56 offset:6144
	s_and_saveexec_b64 s[82:83], s[6:7]
	s_cbranch_execz .LBB197_34
; %bb.42:                               ;   in Loop: Header=BB197_36 Depth=3
	v_cndmask_b32_e64 v32, 0, 1, s[64:65]
	s_andn2_b64 vcc, exec, s[38:39]
	v_cmp_ne_u32_e64 s[24:25], 1, v32
	s_cbranch_vccnz .LBB197_47
; %bb.43:                               ;   in Loop: Header=BB197_36 Depth=3
	v_pk_mov_b32 v[32:33], 0, 0
	s_and_b64 vcc, exec, s[24:25]
	s_cbranch_vccnz .LBB197_46
; %bb.44:                               ;   in Loop: Header=BB197_36 Depth=3
	v_pk_mov_b32 v[34:35], v[26:27], v[26:27] op_sel:[0,1]
	s_mov_b32 s51, s50
	v_mov_b32_e32 v57, v51
.LBB197_45:                             ;   Parent Loop BB197_13 Depth=1
                                        ;     Parent Loop BB197_23 Depth=2
                                        ;       Parent Loop BB197_36 Depth=3
                                        ; =>      This Inner Loop Header: Depth=4
	global_load_dwordx2 v[58:59], v[34:35], off
	ds_read_b64 v[60:61], v57
	s_add_i32 s51, s51, -1
	v_add_co_u32_e32 v34, vcc, 8, v34
	v_add_u32_e32 v57, 32, v57
	v_addc_co_u32_e32 v35, vcc, 0, v35, vcc
	s_cmp_lg_u32 s51, 0
	s_waitcnt vmcnt(0) lgkmcnt(0)
	v_fmac_f64_e32 v[32:33], v[60:61], v[58:59]
	s_cbranch_scc1 .LBB197_45
.LBB197_46:                             ;   in Loop: Header=BB197_36 Depth=3
	s_cbranch_execnz .LBB197_33
	s_branch .LBB197_48
.LBB197_47:                             ;   in Loop: Header=BB197_36 Depth=3
                                        ; implicit-def: $vgpr32_vgpr33
.LBB197_48:                             ;   in Loop: Header=BB197_36 Depth=3
	v_pk_mov_b32 v[32:33], 0, 0
	s_and_b64 vcc, exec, s[24:25]
	s_cbranch_vccnz .LBB197_33
; %bb.49:                               ;   in Loop: Header=BB197_36 Depth=3
	v_mov_b32_e32 v57, v54
	v_pk_mov_b32 v[34:35], v[28:29], v[28:29] op_sel:[0,1]
	s_mov_b32 s24, s50
.LBB197_50:                             ;   Parent Loop BB197_13 Depth=1
                                        ;     Parent Loop BB197_23 Depth=2
                                        ;       Parent Loop BB197_36 Depth=3
                                        ; =>      This Inner Loop Header: Depth=4
	global_load_dwordx2 v[58:59], v[34:35], off
	ds_read_b64 v[60:61], v57
	s_add_i32 s24, s24, -1
	v_mov_b32_e32 v62, s69
	v_add_co_u32_e32 v34, vcc, s68, v34
	v_add_u32_e32 v57, 8, v57
	v_addc_co_u32_e32 v35, vcc, v35, v62, vcc
	s_cmp_eq_u32 s24, 0
	s_waitcnt vmcnt(0) lgkmcnt(0)
	v_fmac_f64_e32 v[32:33], v[60:61], v[58:59]
	s_cbranch_scc0 .LBB197_50
	s_branch .LBB197_33
.LBB197_51:                             ;   in Loop: Header=BB197_23 Depth=2
	s_or_b64 exec, exec, s[76:77]
	v_pk_mov_b32 v[22:23], v[30:31], v[30:31] op_sel:[0,1]
.LBB197_52:                             ;   in Loop: Header=BB197_23 Depth=2
	s_or_b64 exec, exec, s[74:75]
.LBB197_53:                             ;   in Loop: Header=BB197_23 Depth=2
	s_or_b64 exec, exec, s[72:73]
	s_waitcnt lgkmcnt(0)
	s_barrier
	s_and_saveexec_b64 s[24:25], s[22:23]
	s_cbranch_execz .LBB197_22
; %bb.54:                               ;   in Loop: Header=BB197_23 Depth=2
	v_lshlrev_b64 v[20:21], 3, v[20:21]
	v_mov_b32_e32 v9, s61
	v_add_co_u32_e32 v20, vcc, s60, v20
	v_addc_co_u32_e32 v21, vcc, v9, v21, vcc
	global_store_dwordx2 v[20:21], v[22:23], off
	s_branch .LBB197_22
.LBB197_55:                             ;   in Loop: Header=BB197_23 Depth=2
                                        ; implicit-def: $vgpr22_vgpr23
	s_branch .LBB197_30
.LBB197_56:                             ;   in Loop: Header=BB197_13 Depth=1
	s_andn2_b64 vcc, exec, s[34:35]
	s_cbranch_vccnz .LBB197_68
; %bb.57:                               ;   in Loop: Header=BB197_13 Depth=1
	s_load_dwordx4 s[28:31], s[66:67], 0x0
	s_waitcnt lgkmcnt(0)
	s_sub_u32 s30, s30, s48
	v_mov_b32_e32 v9, s29
	v_add_co_u32_e32 v24, vcc, s28, v41
	s_subb_u32 s31, s31, 0
	v_addc_co_u32_e32 v25, vcc, v9, v42, vcc
	v_cmp_gt_i64_e32 vcc, s[30:31], v[24:25]
	s_and_saveexec_b64 s[72:73], vcc
	s_cbranch_execz .LBB197_67
; %bb.58:                               ;   in Loop: Header=BB197_13 Depth=1
	v_lshlrev_b64 v[20:21], 2, v[24:25]
	v_mov_b32_e32 v9, s27
	v_add_co_u32_e32 v20, vcc, s26, v20
	v_addc_co_u32_e32 v21, vcc, v9, v21, vcc
	v_mad_u64_u32 v[22:23], s[22:23], s52, v24, v[10:11]
	v_mul_lo_u32 v9, s52, v25
	v_mul_lo_u32 v24, s53, v24
	v_add3_u32 v23, v24, v23, v9
	v_mov_b32_e32 v9, s29
	v_add_co_u32_e32 v24, vcc, s28, v52
	v_addc_co_u32_e32 v25, vcc, v53, v9, vcc
	s_mov_b64 s[28:29], 0
	s_branch .LBB197_61
.LBB197_59:                             ;   in Loop: Header=BB197_61 Depth=2
	s_or_b64 exec, exec, s[74:75]
	s_or_b64 s[22:23], s[22:23], exec
.LBB197_60:                             ;   in Loop: Header=BB197_61 Depth=2
	s_or_b64 exec, exec, s[24:25]
	v_cmp_le_i64_e32 vcc, s[30:31], v[24:25]
	s_xor_b64 s[22:23], s[22:23], -1
	s_or_b64 s[22:23], s[22:23], vcc
	v_add_co_u32_e32 v20, vcc, 64, v20
	v_addc_co_u32_e32 v21, vcc, 0, v21, vcc
	v_mov_b32_e32 v9, s71
	v_add_co_u32_e32 v22, vcc, s70, v22
	v_addc_co_u32_e32 v23, vcc, v23, v9, vcc
	s_and_b64 s[22:23], exec, s[22:23]
	v_add_co_u32_e32 v24, vcc, 16, v24
	s_or_b64 s[28:29], s[22:23], s[28:29]
	v_addc_co_u32_e32 v25, vcc, 0, v25, vcc
	s_andn2_b64 exec, exec, s[28:29]
	s_cbranch_execz .LBB197_66
.LBB197_61:                             ;   Parent Loop BB197_13 Depth=1
                                        ; =>  This Inner Loop Header: Depth=2
	global_load_dword v9, v[20:21], off
	s_waitcnt vmcnt(0)
	v_subrev_u32_e32 v9, s47, v9
	v_cmp_gt_i32_e64 s[22:23], s63, v9
	v_cmp_ge_i32_e64 s[24:25], v9, v0
	v_cmp_lt_i32_e32 vcc, v9, v0
	s_or_b64 s[24:25], s[22:23], s[24:25]
                                        ; implicit-def: $sgpr22_sgpr23
	s_and_saveexec_b64 s[74:75], s[24:25]
	s_xor_b64 s[24:25], exec, s[74:75]
; %bb.62:                               ;   in Loop: Header=BB197_61 Depth=2
	v_min_i32_e32 v9, v9, v7
	v_cndmask_b32_e32 v7, v9, v7, vcc
	s_and_b64 s[22:23], vcc, exec
                                        ; implicit-def: $vgpr9
; %bb.63:                               ;   in Loop: Header=BB197_61 Depth=2
	s_andn2_saveexec_b64 s[24:25], s[24:25]
	s_cbranch_execz .LBB197_60
; %bb.64:                               ;   in Loop: Header=BB197_61 Depth=2
	v_subrev_u32_e32 v9, s63, v9
	v_lshlrev_b32_e32 v26, 2, v9
	ds_write_b32 v26, v56 offset:6144
	s_and_saveexec_b64 s[74:75], s[6:7]
	s_cbranch_execz .LBB197_59
; %bb.65:                               ;   in Loop: Header=BB197_61 Depth=2
	global_load_dwordx2 v[26:27], v[22:23], off
	v_lshlrev_b32_e32 v9, 4, v9
	v_or3_b32 v9, v9, v40, v13
	v_lshlrev_b32_e32 v9, 3, v9
	s_waitcnt vmcnt(0)
	v_mul_f64 v[26:27], v[4:5], v[26:27]
	ds_add_f64 v9, v[26:27]
	s_branch .LBB197_59
.LBB197_66:                             ;   in Loop: Header=BB197_13 Depth=1
	s_or_b64 exec, exec, s[28:29]
.LBB197_67:                             ;   in Loop: Header=BB197_13 Depth=1
	s_or_b64 exec, exec, s[72:73]
.LBB197_68:                             ;   in Loop: Header=BB197_13 Depth=1
	s_and_saveexec_b64 s[22:23], s[8:9]
	s_cbranch_execz .LBB197_73
; %bb.69:                               ;   in Loop: Header=BB197_13 Depth=1
	s_mov_b64 s[24:25], exec
	s_brev_b32 s28, -2
.LBB197_70:                             ;   Parent Loop BB197_13 Depth=1
                                        ; =>  This Inner Loop Header: Depth=2
	s_ff1_i32_b64 s29, s[24:25]
	v_readlane_b32 s51, v7, s29
	s_lshl_b64 s[30:31], 1, s29
	s_min_i32 s28, s28, s51
	s_andn2_b64 s[24:25], s[24:25], s[30:31]
	s_cmp_lg_u64 s[24:25], 0
	s_cbranch_scc1 .LBB197_70
; %bb.71:                               ;   in Loop: Header=BB197_13 Depth=1
	v_mbcnt_lo_u32_b32 v0, exec_lo, 0
	v_mbcnt_hi_u32_b32 v0, exec_hi, v0
	v_cmp_eq_u32_e32 vcc, 0, v0
	s_and_saveexec_b64 s[24:25], vcc
	s_xor_b64 s[24:25], exec, s[24:25]
	s_cbranch_execz .LBB197_73
; %bb.72:                               ;   in Loop: Header=BB197_13 Depth=1
	v_mov_b32_e32 v0, s28
	ds_min_i32 v8, v0 offset:6272
.LBB197_73:                             ;   in Loop: Header=BB197_13 Depth=1
	s_or_b64 exec, exec, s[22:23]
	s_waitcnt lgkmcnt(0)
	s_barrier
	ds_read_b32 v0, v43
	s_waitcnt lgkmcnt(0)
	s_barrier
	s_and_saveexec_b64 s[22:23], s[12:13]
	s_cbranch_execz .LBB197_75
; %bb.74:                               ;   in Loop: Header=BB197_13 Depth=1
	ds_read_b32 v7, v44
	s_waitcnt lgkmcnt(0)
	v_add_u32_e32 v0, v7, v0
.LBB197_75:                             ;   in Loop: Header=BB197_13 Depth=1
	s_or_b64 exec, exec, s[22:23]
	s_barrier
	ds_write_b32 v43, v0
	s_waitcnt lgkmcnt(0)
	s_barrier
	s_and_saveexec_b64 s[22:23], s[14:15]
	s_cbranch_execz .LBB197_77
; %bb.76:                               ;   in Loop: Header=BB197_13 Depth=1
	ds_read_b32 v7, v46
	s_waitcnt lgkmcnt(0)
	v_add_u32_e32 v0, v7, v0
.LBB197_77:                             ;   in Loop: Header=BB197_13 Depth=1
	s_or_b64 exec, exec, s[22:23]
	s_barrier
	ds_write_b32 v43, v0
	;; [unrolled: 12-line block ×5, first 2 shown]
	s_waitcnt lgkmcnt(0)
	s_barrier
	ds_read_b32 v9, v8 offset:6268
	v_mov_b32_e32 v7, 0
	s_and_saveexec_b64 s[22:23], s[10:11]
	s_cbranch_execz .LBB197_85
; %bb.84:                               ;   in Loop: Header=BB197_13 Depth=1
	ds_read_b32 v7, v44
.LBB197_85:                             ;   in Loop: Header=BB197_13 Depth=1
	s_or_b64 exec, exec, s[22:23]
	s_waitcnt lgkmcnt(0)
	v_cmp_eq_u32_e32 vcc, v0, v7
	s_and_b64 s[24:25], s[10:11], vcc
	s_barrier
	s_and_saveexec_b64 s[22:23], s[24:25]
	s_cbranch_execz .LBB197_87
; %bb.86:                               ;   in Loop: Header=BB197_13 Depth=1
	ds_write_b32 v43, v8
.LBB197_87:                             ;   in Loop: Header=BB197_13 Depth=1
	s_or_b64 exec, exec, s[22:23]
	s_waitcnt lgkmcnt(0)
	s_barrier
	s_and_saveexec_b64 s[22:23], s[2:3]
	s_cbranch_execz .LBB197_12
; %bb.88:                               ;   in Loop: Header=BB197_13 Depth=1
	v_add_co_u32_e32 v20, vcc, -1, v18
	v_addc_co_u32_e32 v21, vcc, -1, v19, vcc
	s_add_i32 s30, s46, s63
	s_mov_b64 s[24:25], 0
	v_mov_b32_e32 v22, v55
	v_mov_b32_e32 v23, v36
	;; [unrolled: 1-line block ×3, first 2 shown]
	s_branch .LBB197_90
.LBB197_89:                             ;   in Loop: Header=BB197_90 Depth=2
	s_or_b64 exec, exec, s[28:29]
	v_add_u32_e32 v0, 16, v24
	v_cmp_lt_u32_e32 vcc, 15, v24
	v_add_u32_e32 v23, 0x800, v23
	v_add_u32_e32 v22, 64, v22
	s_or_b64 s[24:25], vcc, s[24:25]
	v_mov_b32_e32 v24, v0
	s_andn2_b64 exec, exec, s[24:25]
	s_cbranch_execz .LBB197_12
.LBB197_90:                             ;   Parent Loop BB197_13 Depth=1
                                        ; =>  This Inner Loop Header: Depth=2
	ds_read_b32 v0, v22
	s_waitcnt lgkmcnt(0)
	v_cmp_ne_u32_e32 vcc, 0, v0
	s_and_saveexec_b64 s[28:29], vcc
	s_cbranch_execz .LBB197_89
; %bb.91:                               ;   in Loop: Header=BB197_90 Depth=2
	v_ashrrev_i32_e32 v7, 31, v0
	v_add_co_u32_e32 v26, vcc, v18, v0
	v_addc_co_u32_e32 v27, vcc, v19, v7, vcc
	v_lshlrev_b64 v[26:27], 2, v[26:27]
	v_mov_b32_e32 v28, s90
	v_add_co_u32_e32 v26, vcc, s89, v26
	v_add_u32_e32 v25, s30, v24
	v_addc_co_u32_e32 v27, vcc, v28, v27, vcc
	global_store_dword v[26:27], v25, off
	s_and_b64 exec, exec, s[6:7]
	s_cbranch_execz .LBB197_89
; %bb.92:                               ;   in Loop: Header=BB197_90 Depth=2
	v_add_co_u32_e32 v0, vcc, v20, v0
	v_mad_u64_u32 v[28:29], s[72:73], v0, s62, 0
	v_addc_co_u32_e32 v7, vcc, v21, v7, vcc
	v_mov_b32_e32 v0, v29
	ds_read_b64 v[26:27], v23
	v_mad_u64_u32 v[30:31], s[72:73], v7, s62, v[0:1]
	v_mov_b32_e32 v29, v30
	v_lshlrev_b64 v[28:29], 3, v[28:29]
	v_add_co_u32_e32 v28, vcc, v12, v28
	v_addc_co_u32_e32 v29, vcc, v1, v29, vcc
	s_waitcnt lgkmcnt(0)
	global_store_dwordx2 v[28:29], v[26:27], off
	s_branch .LBB197_89
.LBB197_93:
	s_endpgm
	.section	.rodata,"a",@progbits
	.p2align	6, 0x0
	.amdhsa_kernel _ZN9rocsparseL38bsrgemm_block_per_row_atomic_multipassILj256ELj32ELj4ElidEEv20rocsparse_direction_T3_S2_PKS2_S4_NS_24const_host_device_scalarIT4_EEPKT2_S4_PKS6_SA_S4_SC_S7_SA_S4_SC_SA_PS2_PS6_PS8_21rocsparse_index_base_SG_SG_SG_bbb
		.amdhsa_group_segment_fixed_size 6280
		.amdhsa_private_segment_fixed_size 0
		.amdhsa_kernarg_size 172
		.amdhsa_user_sgpr_count 6
		.amdhsa_user_sgpr_private_segment_buffer 1
		.amdhsa_user_sgpr_dispatch_ptr 0
		.amdhsa_user_sgpr_queue_ptr 0
		.amdhsa_user_sgpr_kernarg_segment_ptr 1
		.amdhsa_user_sgpr_dispatch_id 0
		.amdhsa_user_sgpr_flat_scratch_init 0
		.amdhsa_user_sgpr_kernarg_preload_length 0
		.amdhsa_user_sgpr_kernarg_preload_offset 0
		.amdhsa_user_sgpr_private_segment_size 0
		.amdhsa_uses_dynamic_stack 0
		.amdhsa_system_sgpr_private_segment_wavefront_offset 0
		.amdhsa_system_sgpr_workgroup_id_x 1
		.amdhsa_system_sgpr_workgroup_id_y 0
		.amdhsa_system_sgpr_workgroup_id_z 0
		.amdhsa_system_sgpr_workgroup_info 0
		.amdhsa_system_vgpr_workitem_id 0
		.amdhsa_next_free_vgpr 63
		.amdhsa_next_free_sgpr 91
		.amdhsa_accum_offset 64
		.amdhsa_reserve_vcc 1
		.amdhsa_reserve_flat_scratch 0
		.amdhsa_float_round_mode_32 0
		.amdhsa_float_round_mode_16_64 0
		.amdhsa_float_denorm_mode_32 3
		.amdhsa_float_denorm_mode_16_64 3
		.amdhsa_dx10_clamp 1
		.amdhsa_ieee_mode 1
		.amdhsa_fp16_overflow 0
		.amdhsa_tg_split 0
		.amdhsa_exception_fp_ieee_invalid_op 0
		.amdhsa_exception_fp_denorm_src 0
		.amdhsa_exception_fp_ieee_div_zero 0
		.amdhsa_exception_fp_ieee_overflow 0
		.amdhsa_exception_fp_ieee_underflow 0
		.amdhsa_exception_fp_ieee_inexact 0
		.amdhsa_exception_int_div_zero 0
	.end_amdhsa_kernel
	.section	.text._ZN9rocsparseL38bsrgemm_block_per_row_atomic_multipassILj256ELj32ELj4ElidEEv20rocsparse_direction_T3_S2_PKS2_S4_NS_24const_host_device_scalarIT4_EEPKT2_S4_PKS6_SA_S4_SC_S7_SA_S4_SC_SA_PS2_PS6_PS8_21rocsparse_index_base_SG_SG_SG_bbb,"axG",@progbits,_ZN9rocsparseL38bsrgemm_block_per_row_atomic_multipassILj256ELj32ELj4ElidEEv20rocsparse_direction_T3_S2_PKS2_S4_NS_24const_host_device_scalarIT4_EEPKT2_S4_PKS6_SA_S4_SC_S7_SA_S4_SC_SA_PS2_PS6_PS8_21rocsparse_index_base_SG_SG_SG_bbb,comdat
.Lfunc_end197:
	.size	_ZN9rocsparseL38bsrgemm_block_per_row_atomic_multipassILj256ELj32ELj4ElidEEv20rocsparse_direction_T3_S2_PKS2_S4_NS_24const_host_device_scalarIT4_EEPKT2_S4_PKS6_SA_S4_SC_S7_SA_S4_SC_SA_PS2_PS6_PS8_21rocsparse_index_base_SG_SG_SG_bbb, .Lfunc_end197-_ZN9rocsparseL38bsrgemm_block_per_row_atomic_multipassILj256ELj32ELj4ElidEEv20rocsparse_direction_T3_S2_PKS2_S4_NS_24const_host_device_scalarIT4_EEPKT2_S4_PKS6_SA_S4_SC_S7_SA_S4_SC_SA_PS2_PS6_PS8_21rocsparse_index_base_SG_SG_SG_bbb
                                        ; -- End function
	.section	.AMDGPU.csdata,"",@progbits
; Kernel info:
; codeLenInByte = 3308
; NumSgprs: 95
; NumVgprs: 63
; NumAgprs: 0
; TotalNumVgprs: 63
; ScratchSize: 0
; MemoryBound: 0
; FloatMode: 240
; IeeeMode: 1
; LDSByteSize: 6280 bytes/workgroup (compile time only)
; SGPRBlocks: 11
; VGPRBlocks: 7
; NumSGPRsForWavesPerEU: 95
; NumVGPRsForWavesPerEU: 63
; AccumOffset: 64
; Occupancy: 8
; WaveLimiterHint : 1
; COMPUTE_PGM_RSRC2:SCRATCH_EN: 0
; COMPUTE_PGM_RSRC2:USER_SGPR: 6
; COMPUTE_PGM_RSRC2:TRAP_HANDLER: 0
; COMPUTE_PGM_RSRC2:TGID_X_EN: 1
; COMPUTE_PGM_RSRC2:TGID_Y_EN: 0
; COMPUTE_PGM_RSRC2:TGID_Z_EN: 0
; COMPUTE_PGM_RSRC2:TIDIG_COMP_CNT: 0
; COMPUTE_PGM_RSRC3_GFX90A:ACCUM_OFFSET: 15
; COMPUTE_PGM_RSRC3_GFX90A:TG_SPLIT: 0
	.section	.text._ZN9rocsparseL38bsrgemm_block_per_row_atomic_multipassILj256ELj64ELj4ElidEEv20rocsparse_direction_T3_S2_PKS2_S4_NS_24const_host_device_scalarIT4_EEPKT2_S4_PKS6_SA_S4_SC_S7_SA_S4_SC_SA_PS2_PS6_PS8_21rocsparse_index_base_SG_SG_SG_bbb,"axG",@progbits,_ZN9rocsparseL38bsrgemm_block_per_row_atomic_multipassILj256ELj64ELj4ElidEEv20rocsparse_direction_T3_S2_PKS2_S4_NS_24const_host_device_scalarIT4_EEPKT2_S4_PKS6_SA_S4_SC_S7_SA_S4_SC_SA_PS2_PS6_PS8_21rocsparse_index_base_SG_SG_SG_bbb,comdat
	.globl	_ZN9rocsparseL38bsrgemm_block_per_row_atomic_multipassILj256ELj64ELj4ElidEEv20rocsparse_direction_T3_S2_PKS2_S4_NS_24const_host_device_scalarIT4_EEPKT2_S4_PKS6_SA_S4_SC_S7_SA_S4_SC_SA_PS2_PS6_PS8_21rocsparse_index_base_SG_SG_SG_bbb ; -- Begin function _ZN9rocsparseL38bsrgemm_block_per_row_atomic_multipassILj256ELj64ELj4ElidEEv20rocsparse_direction_T3_S2_PKS2_S4_NS_24const_host_device_scalarIT4_EEPKT2_S4_PKS6_SA_S4_SC_S7_SA_S4_SC_SA_PS2_PS6_PS8_21rocsparse_index_base_SG_SG_SG_bbb
	.p2align	8
	.type	_ZN9rocsparseL38bsrgemm_block_per_row_atomic_multipassILj256ELj64ELj4ElidEEv20rocsparse_direction_T3_S2_PKS2_S4_NS_24const_host_device_scalarIT4_EEPKT2_S4_PKS6_SA_S4_SC_S7_SA_S4_SC_SA_PS2_PS6_PS8_21rocsparse_index_base_SG_SG_SG_bbb,@function
_ZN9rocsparseL38bsrgemm_block_per_row_atomic_multipassILj256ELj64ELj4ElidEEv20rocsparse_direction_T3_S2_PKS2_S4_NS_24const_host_device_scalarIT4_EEPKT2_S4_PKS6_SA_S4_SC_S7_SA_S4_SC_SA_PS2_PS6_PS8_21rocsparse_index_base_SG_SG_SG_bbb: ; @_ZN9rocsparseL38bsrgemm_block_per_row_atomic_multipassILj256ELj64ELj4ElidEEv20rocsparse_direction_T3_S2_PKS2_S4_NS_24const_host_device_scalarIT4_EEPKT2_S4_PKS6_SA_S4_SC_S7_SA_S4_SC_SA_PS2_PS6_PS8_21rocsparse_index_base_SG_SG_SG_bbb
; %bb.0:
	s_load_dword s7, s[4:5], 0xa8
	s_load_dwordx4 s[44:47], s[4:5], 0x98
	s_load_dwordx2 s[8:9], s[4:5], 0x20
	s_waitcnt lgkmcnt(0)
	s_and_b32 s0, 1, s7
	s_bitcmp1_b32 s7, 16
	s_cselect_b64 s[2:3], -1, 0
	s_cmp_eq_u32 s0, 1
	s_load_dwordx2 s[0:1], s[4:5], 0x58
	s_cselect_b64 s[10:11], -1, 0
	s_and_b64 s[12:13], s[10:11], exec
	s_cselect_b32 s13, s9, 0
	s_cselect_b32 s12, s8, 0
	s_xor_b64 s[14:15], s[10:11], -1
	s_or_b64 s[14:15], s[14:15], s[2:3]
	s_and_b64 vcc, exec, s[14:15]
	v_pk_mov_b32 v[2:3], s[12:13], s[12:13] op_sel:[0,1]
	s_cbranch_vccnz .LBB198_2
; %bb.1:
	v_pk_mov_b32 v[2:3], s[8:9], s[8:9] op_sel:[0,1]
	flat_load_dwordx2 v[2:3], v[2:3]
.LBB198_2:
	s_bitcmp1_b32 s7, 8
	s_load_dwordx2 s[8:9], s[4:5], 0x18
	s_cselect_b64 s[34:35], -1, 0
	s_and_b64 s[12:13], s[34:35], exec
	s_waitcnt lgkmcnt(0)
	s_cselect_b32 s13, s1, 0
	s_cselect_b32 s12, s0, 0
	s_xor_b64 s[14:15], s[34:35], -1
	s_or_b64 s[2:3], s[14:15], s[2:3]
	s_and_b64 vcc, exec, s[2:3]
	v_pk_mov_b32 v[4:5], s[12:13], s[12:13] op_sel:[0,1]
	s_cbranch_vccnz .LBB198_4
; %bb.3:
	v_pk_mov_b32 v[4:5], s[0:1], s[0:1] op_sel:[0,1]
	flat_load_dwordx2 v[4:5], v[4:5]
.LBB198_4:
	s_load_dwordx2 s[2:3], s[4:5], 0x28
	s_cmp_eq_u64 s[8:9], 0
	s_mov_b64 s[56:57], 0
	s_cbranch_scc1 .LBB198_6
; %bb.5:
	s_load_dwordx2 s[0:1], s[4:5], 0x10
	s_waitcnt lgkmcnt(0)
	s_load_dword s0, s[0:1], 0x0
	s_mov_b32 s1, 0
	s_waitcnt lgkmcnt(0)
	s_add_i32 s0, s0, s6
	s_lshl_b64 s[0:1], s[0:1], 2
	s_add_u32 s0, s8, s0
	s_addc_u32 s1, s9, s1
	s_load_dword s6, s[0:1], 0x0
.LBB198_6:
	v_cndmask_b32_e64 v1, 0, 1, s[10:11]
	v_cmp_ne_u32_e64 s[0:1], 1, v1
	s_andn2_b64 vcc, exec, s[10:11]
	s_cbranch_vccz .LBB198_9
; %bb.7:
	s_and_b64 vcc, exec, s[0:1]
	s_mov_b64 s[58:59], 0
	s_cbranch_vccz .LBB198_10
.LBB198_8:
	s_load_dwordx4 s[48:51], s[4:5], 0x0
	s_waitcnt lgkmcnt(0)
	s_cmp_lt_i32 s49, 1
	s_cbranch_scc0 .LBB198_11
	s_branch .LBB198_93
.LBB198_9:
	s_waitcnt lgkmcnt(0)
	s_ashr_i32 s7, s6, 31
	s_lshl_b64 s[8:9], s[6:7], 3
	s_add_u32 s8, s2, s8
	s_addc_u32 s9, s3, s9
	s_load_dwordx2 s[8:9], s[8:9], 0x0
	s_waitcnt lgkmcnt(0)
	s_sub_u32 s56, s8, s44
	s_subb_u32 s57, s9, 0
	s_and_b64 vcc, exec, s[0:1]
	s_mov_b64 s[58:59], 0
	s_cbranch_vccnz .LBB198_8
.LBB198_10:
	s_waitcnt lgkmcnt(0)
	s_ashr_i32 s7, s6, 31
	s_lshl_b64 s[0:1], s[6:7], 3
	s_add_u32 s0, s2, s0
	s_addc_u32 s1, s3, s1
	s_load_dwordx2 s[0:1], s[0:1], 0x8
	s_waitcnt lgkmcnt(0)
	s_sub_u32 s58, s0, s44
	s_subb_u32 s59, s1, 0
	s_load_dwordx4 s[48:51], s[4:5], 0x0
	s_waitcnt lgkmcnt(0)
	s_cmp_lt_i32 s49, 1
	s_cbranch_scc1 .LBB198_93
.LBB198_11:
	s_load_dwordx2 s[60:61], s[4:5], 0x90
	s_load_dwordx4 s[52:55], s[4:5], 0x80
	s_load_dwordx8 s[24:31], s[4:5], 0x60
	s_load_dwordx2 s[68:69], s[4:5], 0x50
	s_load_dwordx8 s[36:43], s[4:5], 0x30
	v_pk_mov_b32 v[8:9], s[58:59], s[58:59] op_sel:[0,1]
	v_bfe_u32 v7, v0, 2, 2
	v_cmp_lt_i64_e32 vcc, s[56:57], v[8:9]
	v_mov_b32_e32 v8, 0
	v_and_b32_e32 v11, 3, v0
	v_mul_lo_u32 v12, v7, s50
	v_mov_b32_e32 v13, v8
	s_ashr_i32 s7, s6, 31
	v_max_i32_e32 v9, v11, v7
	v_lshlrev_b64 v[12:13], 3, v[12:13]
	s_lshl_b64 s[8:9], s[6:7], 3
	v_cmp_gt_i32_e64 s[4:5], s50, v9
	s_waitcnt lgkmcnt(0)
	v_mov_b32_e32 v9, s39
	v_add_co_u32_e64 v10, s[6:7], s38, v12
	v_addc_co_u32_e64 v9, s[6:7], v9, v13, s[6:7]
	v_lshlrev_b32_e32 v16, 3, v11
	v_add_co_u32_e64 v38, s[6:7], v10, v16
	v_mul_lo_u32 v14, v11, s50
	v_mov_b32_e32 v15, v8
	v_addc_co_u32_e64 v39, s[6:7], 0, v9, s[6:7]
	v_lshlrev_b64 v[14:15], 3, v[14:15]
	v_mov_b32_e32 v9, s55
	v_add_co_u32_e64 v10, s[6:7], s54, v14
	v_lshlrev_b32_e32 v7, 3, v7
	v_addc_co_u32_e64 v17, s[6:7], v9, v15, s[6:7]
	v_add_co_u32_e64 v10, s[6:7], v10, v7
	v_addc_co_u32_e64 v17, s[6:7], 0, v17, s[6:7]
	v_add_co_u32_e64 v18, s[6:7], s54, v12
	v_addc_co_u32_e64 v9, s[6:7], v9, v13, s[6:7]
	s_add_u32 s0, s30, s8
	v_add_co_u32_e64 v18, s[6:7], v18, v16
	s_addc_u32 s1, s31, s9
	v_lshrrev_b32_e32 v6, 4, v0
	v_addc_co_u32_e64 v9, s[6:7], 0, v9, s[6:7]
	s_load_dwordx2 s[0:1], s[0:1], 0x0
	v_subrev_co_u32_e64 v41, s[6:7], s47, v6
	v_subb_co_u32_e64 v42, s[6:7], 0, 0, s[6:7]
	v_mov_b32_e32 v19, s29
	v_add_co_u32_e64 v20, s[6:7], s28, v14
	v_addc_co_u32_e64 v21, s[6:7], v19, v15, s[6:7]
	v_add_co_u32_e64 v20, s[6:7], v20, v7
	s_waitcnt lgkmcnt(0)
	s_sub_u32 s30, s0, s46
	v_addc_co_u32_e64 v21, s[6:7], 0, v21, s[6:7]
	s_subb_u32 s31, s1, 0
	v_add_co_u32_e64 v12, s[6:7], s28, v12
	s_cmp_eq_u32 s48, 0
	v_addc_co_u32_e64 v13, s[6:7], v19, v13, s[6:7]
	s_cselect_b64 s[22:23], -1, 0
	s_cmp_lg_u32 s48, 0
	v_add_co_u32_e64 v12, s[6:7], v12, v16
	v_and_b32_e32 v1, 15, v0
	s_cselect_b64 s[38:39], -1, 0
	s_cmp_gt_i32 s50, 0
	v_addc_co_u32_e64 v13, s[6:7], 0, v13, s[6:7]
	v_mov_b32_e32 v23, 0x2800
	v_cmp_gt_u32_e64 s[0:1], 64, v0
	v_cmp_eq_u32_e64 s[2:3], 0, v0
	v_lshlrev_b32_e32 v36, 3, v0
	s_movk_i32 s51, 0x2000
	s_cselect_b64 s[54:55], -1, 0
	v_and_b32_e32 v40, 12, v0
	s_add_u32 s64, s24, s8
	v_cmp_eq_u32_e64 s[6:7], 15, v1
	v_and_b32_e32 v1, 63, v0
	v_lshl_or_b32 v45, v0, 2, v23
	v_or_b32_e32 v51, 0xffffff00, v0
	v_lshlrev_b32_e32 v0, 7, v6
	s_addc_u32 s65, s25, s9
	s_and_b64 s[66:67], s[10:11], vcc
	v_or3_b32 v52, v0, v7, s51
	v_mov_b32_e32 v0, s69
	v_add_co_u32_e32 v14, vcc, s68, v14
	v_addc_co_u32_e32 v15, vcc, v0, v15, vcc
	s_add_u32 s87, s40, 8
	v_add_co_u32_e32 v16, vcc, s68, v16
	s_mov_b32 s63, 0
	v_lshlrev_b32_e32 v19, 2, v1
	v_add_co_u32_e64 v22, s[8:9], -1, v1
	v_cmp_ne_u32_e64 s[10:11], 0, v1
	v_cmp_lt_u32_e64 s[12:13], 1, v1
	v_cmp_lt_u32_e64 s[14:15], 3, v1
	;; [unrolled: 1-line block ×5, first 2 shown]
	v_cndmask_b32_e64 v1, v17, v9, s[22:23]
	s_addc_u32 s88, s41, 0
	v_addc_co_u32_e32 v17, vcc, 0, v0, vcc
	s_mul_i32 s62, s50, s50
	s_add_u32 s89, s52, -4
	s_mov_b32 s51, s63
	v_and_b32_e32 v0, 0x7e0, v36
	v_add_co_u32_e32 v54, vcc, 16, v41
	v_or_b32_e32 v37, 0x2000, v36
	s_mov_b32 s33, s45
	s_mov_b32 s86, s63
	;; [unrolled: 1-line block ×3, first 2 shown]
	v_or_b32_e32 v43, 0x2800, v19
	v_lshl_add_u32 v44, v22, 2, v23
	v_add_u32_e32 v46, 0x27f8, v19
	v_add_u32_e32 v47, 0x27f0, v19
	;; [unrolled: 1-line block ×5, first 2 shown]
	v_cndmask_b32_e64 v10, v10, v18, s[22:23]
	v_cndmask_b32_e64 v13, v21, v13, s[22:23]
	;; [unrolled: 1-line block ×3, first 2 shown]
	s_addc_u32 s90, s53, -1
	s_lshl_b64 s[52:53], s[62:63], 3
	s_lshl_b64 s[68:69], s[50:51], 3
	v_or_b32_e32 v53, 0x2000, v0
	s_lshl_b64 s[70:71], s[62:63], 7
	v_addc_co_u32_e32 v55, vcc, 0, v42, vcc
	v_lshl_or_b32 v56, v6, 2, v23
	v_mov_b32_e32 v0, 64
	v_pk_mov_b32 v[18:19], s[30:31], s[30:31] op_sel:[0,1]
	s_movk_i32 s51, 0x2ff
	v_mov_b32_e32 v57, 1
	v_mov_b32_e32 v9, v8
	s_branch .LBB198_13
.LBB198_12:                             ;   in Loop: Header=BB198_13 Depth=1
	s_or_b64 exec, exec, s[22:23]
	s_barrier
	ds_read_b32 v7, v8 offset:10496
	v_ashrrev_i32_e32 v0, 31, v20
	v_add_co_u32_e32 v18, vcc, v18, v20
	v_addc_co_u32_e32 v19, vcc, v19, v0, vcc
	s_waitcnt lgkmcnt(0)
	v_cmp_le_i32_e32 vcc, s49, v7
	v_readfirstlane_b32 s63, v7
	v_add_u32_e32 v0, 64, v7
	s_barrier
	s_cbranch_vccnz .LBB198_93
.LBB198_13:                             ; =>This Loop Header: Depth=1
                                        ;     Child Loop BB198_16 Depth 2
                                        ;     Child Loop BB198_22 Depth 2
                                        ;       Child Loop BB198_35 Depth 3
                                        ;         Child Loop BB198_44 Depth 4
                                        ;         Child Loop BB198_49 Depth 4
                                        ;     Child Loop BB198_60 Depth 2
                                        ;     Child Loop BB198_69 Depth 2
	;; [unrolled: 1-line block ×3, first 2 shown]
	s_and_saveexec_b64 s[22:23], s[0:1]
	s_cbranch_execz .LBB198_15
; %bb.14:                               ;   in Loop: Header=BB198_13 Depth=1
	ds_write_b32 v45, v8
.LBB198_15:                             ;   in Loop: Header=BB198_13 Depth=1
	s_or_b64 exec, exec, s[22:23]
	s_mov_b64 s[22:23], 0
	v_mov_b32_e32 v7, v36
	v_mov_b32_e32 v20, v51
.LBB198_16:                             ;   Parent Loop BB198_13 Depth=1
                                        ; =>  This Inner Loop Header: Depth=2
	v_add_u32_e32 v20, 0x100, v20
	v_cmp_lt_u32_e32 vcc, s51, v20
	ds_write_b64 v7, v[8:9]
	s_or_b64 s[22:23], vcc, s[22:23]
	v_add_u32_e32 v7, 0x800, v7
	s_andn2_b64 exec, exec, s[22:23]
	s_cbranch_execnz .LBB198_16
; %bb.17:                               ;   in Loop: Header=BB198_13 Depth=1
	s_or_b64 exec, exec, s[22:23]
	s_and_saveexec_b64 s[22:23], s[2:3]
	s_cbranch_execz .LBB198_19
; %bb.18:                               ;   in Loop: Header=BB198_13 Depth=1
	v_mov_b32_e32 v7, s49
	ds_write_b32 v8, v7 offset:10496
.LBB198_19:                             ;   in Loop: Header=BB198_13 Depth=1
	s_or_b64 exec, exec, s[22:23]
	s_andn2_b64 vcc, exec, s[66:67]
	v_mov_b32_e32 v7, s49
	s_waitcnt lgkmcnt(0)
	s_barrier
	s_cbranch_vccnz .LBB198_55
; %bb.20:                               ;   in Loop: Header=BB198_13 Depth=1
	s_cmp_lg_u32 s63, 0
	s_cselect_b64 s[28:29], -1, 0
	v_mov_b32_e32 v7, s49
	s_mov_b64 s[30:31], s[56:57]
	s_branch .LBB198_22
.LBB198_21:                             ;   in Loop: Header=BB198_22 Depth=2
	s_or_b64 exec, exec, s[24:25]
	s_add_u32 s30, s30, 16
	s_addc_u32 s31, s31, 0
	v_pk_mov_b32 v[20:21], s[58:59], s[58:59] op_sel:[0,1]
	v_cmp_lt_i64_e32 vcc, s[30:31], v[20:21]
	s_cbranch_vccz .LBB198_55
.LBB198_22:                             ;   Parent Loop BB198_13 Depth=1
                                        ; =>  This Loop Header: Depth=2
                                        ;       Child Loop BB198_35 Depth 3
                                        ;         Child Loop BB198_44 Depth 4
                                        ;         Child Loop BB198_49 Depth 4
	v_mov_b32_e32 v21, s31
	v_add_co_u32_e32 v20, vcc, s30, v6
	v_addc_co_u32_e32 v21, vcc, 0, v21, vcc
	v_cmp_gt_i64_e64 s[22:23], s[58:59], v[20:21]
	s_barrier
	s_and_saveexec_b64 s[24:25], s[22:23]
	s_cbranch_execz .LBB198_26
; %bb.23:                               ;   in Loop: Header=BB198_22 Depth=2
	v_pk_mov_b32 v[22:23], 0, 0
	s_and_saveexec_b64 s[72:73], s[4:5]
	s_cbranch_execz .LBB198_25
; %bb.24:                               ;   in Loop: Header=BB198_22 Depth=2
	v_mad_u64_u32 v[22:23], s[74:75], v20, s62, 0
	v_mov_b32_e32 v24, v23
	v_mad_u64_u32 v[24:25], s[74:75], v21, s62, v[24:25]
	v_mov_b32_e32 v23, v24
	v_lshlrev_b64 v[22:23], 3, v[22:23]
	v_add_co_u32_e32 v22, vcc, v38, v22
	v_addc_co_u32_e32 v23, vcc, v39, v23, vcc
	global_load_dwordx2 v[22:23], v[22:23], off
.LBB198_25:                             ;   in Loop: Header=BB198_22 Depth=2
	s_or_b64 exec, exec, s[72:73]
	s_waitcnt vmcnt(0)
	ds_write_b64 v37, v[22:23]
.LBB198_26:                             ;   in Loop: Header=BB198_22 Depth=2
	s_or_b64 exec, exec, s[24:25]
	v_pk_mov_b32 v[22:23], 0, 0
	s_waitcnt lgkmcnt(0)
	s_barrier
	s_and_saveexec_b64 s[72:73], s[22:23]
	s_cbranch_execz .LBB198_52
; %bb.27:                               ;   in Loop: Header=BB198_22 Depth=2
	v_lshlrev_b64 v[22:23], 2, v[20:21]
	v_mov_b32_e32 v24, s37
	v_add_co_u32_e32 v22, vcc, s36, v22
	v_addc_co_u32_e32 v23, vcc, v24, v23, vcc
	global_load_dword v22, v[22:23], off
	s_and_b64 vcc, exec, s[28:29]
	s_waitcnt vmcnt(0)
	v_subrev_u32_e32 v24, s44, v22
	v_ashrrev_i32_e32 v25, 31, v24
	s_cbranch_vccz .LBB198_54
; %bb.28:                               ;   in Loop: Header=BB198_22 Depth=2
	v_lshlrev_b64 v[22:23], 3, v[20:21]
	v_mov_b32_e32 v26, s61
	v_add_co_u32_e32 v22, vcc, s60, v22
	v_addc_co_u32_e32 v23, vcc, v26, v23, vcc
	global_load_dwordx2 v[22:23], v[22:23], off
	s_cbranch_execnz .LBB198_30
.LBB198_29:                             ;   in Loop: Header=BB198_22 Depth=2
	s_waitcnt vmcnt(0)
	v_lshlrev_b64 v[22:23], 3, v[24:25]
	v_mov_b32_e32 v26, s41
	v_add_co_u32_e32 v22, vcc, s40, v22
	v_addc_co_u32_e32 v23, vcc, v26, v23, vcc
	global_load_dwordx2 v[22:23], v[22:23], off
	v_mov_b32_e32 v26, s86
	s_waitcnt vmcnt(0)
	v_subrev_co_u32_e32 v22, vcc, s33, v22
	v_subb_co_u32_e32 v23, vcc, v23, v26, vcc
.LBB198_30:                             ;   in Loop: Header=BB198_22 Depth=2
	v_lshlrev_b64 v[24:25], 3, v[24:25]
	v_mov_b32_e32 v26, s88
	v_add_co_u32_e32 v24, vcc, s87, v24
	v_addc_co_u32_e32 v25, vcc, v26, v25, vcc
	global_load_dwordx2 v[24:25], v[24:25], off
	v_mov_b32_e32 v26, s86
	s_waitcnt vmcnt(0)
	v_subrev_co_u32_e32 v24, vcc, s33, v24
	v_subb_co_u32_e32 v25, vcc, v25, v26, vcc
	v_cmp_lt_i64_e32 vcc, v[22:23], v[24:25]
	s_and_saveexec_b64 s[74:75], vcc
	s_cbranch_execz .LBB198_51
; %bb.31:                               ;   in Loop: Header=BB198_22 Depth=2
	v_mad_u64_u32 v[26:27], s[24:25], s52, v22, v[14:15]
	v_mul_lo_u32 v30, s52, v23
	v_mul_lo_u32 v31, s53, v22
	v_mad_u64_u32 v[28:29], s[24:25], s52, v22, v[16:17]
	v_add3_u32 v27, v31, v27, v30
	v_add3_u32 v29, v31, v29, v30
	s_mov_b64 s[76:77], 0
	v_pk_mov_b32 v[30:31], v[22:23], v[22:23] op_sel:[0,1]
	s_branch .LBB198_35
.LBB198_32:                             ;   in Loop: Header=BB198_35 Depth=3
	v_lshlrev_b32_e32 v34, 4, v58
	v_or3_b32 v34, v34, v40, v11
	v_lshlrev_b32_e32 v34, 3, v34
	v_mul_f64 v[32:33], v[2:3], v[32:33]
	ds_add_f64 v34, v[32:33]
.LBB198_33:                             ;   in Loop: Header=BB198_35 Depth=3
	s_or_b64 exec, exec, s[82:83]
	s_or_b64 s[78:79], s[78:79], exec
.LBB198_34:                             ;   in Loop: Header=BB198_35 Depth=3
	s_or_b64 exec, exec, s[80:81]
	v_add_co_u32_e32 v22, vcc, 1, v22
	v_addc_co_u32_e32 v23, vcc, 0, v23, vcc
	v_cmp_ge_i64_e32 vcc, v[22:23], v[24:25]
	s_xor_b64 s[24:25], s[78:79], -1
	s_or_b64 s[24:25], s[24:25], vcc
	v_mov_b32_e32 v32, s53
	v_add_co_u32_e32 v26, vcc, s52, v26
	v_addc_co_u32_e32 v27, vcc, v27, v32, vcc
	s_and_b64 s[24:25], exec, s[24:25]
	v_add_co_u32_e32 v28, vcc, s52, v28
	s_or_b64 s[76:77], s[24:25], s[76:77]
	v_addc_co_u32_e32 v29, vcc, v29, v32, vcc
	s_andn2_b64 exec, exec, s[76:77]
	s_cbranch_execz .LBB198_50
.LBB198_35:                             ;   Parent Loop BB198_13 Depth=1
                                        ;     Parent Loop BB198_22 Depth=2
                                        ; =>    This Loop Header: Depth=3
                                        ;         Child Loop BB198_44 Depth 4
                                        ;         Child Loop BB198_49 Depth 4
	v_lshlrev_b64 v[32:33], 2, v[22:23]
	v_mov_b32_e32 v34, s43
	v_add_co_u32_e32 v32, vcc, s42, v32
	v_addc_co_u32_e32 v33, vcc, v34, v33, vcc
	global_load_dword v32, v[32:33], off
                                        ; implicit-def: $sgpr78_sgpr79
	s_waitcnt vmcnt(0)
	v_subrev_u32_e32 v32, s45, v32
	v_cmp_gt_i32_e64 s[24:25], s63, v32
	v_cmp_ge_i32_e32 vcc, v32, v0
	s_or_b64 s[24:25], s[24:25], vcc
	s_and_saveexec_b64 s[80:81], s[24:25]
	s_xor_b64 s[24:25], exec, s[80:81]
	s_cbranch_execz .LBB198_39
; %bb.36:                               ;   in Loop: Header=BB198_35 Depth=3
	s_mov_b64 s[78:79], -1
	s_and_saveexec_b64 s[80:81], vcc
; %bb.37:                               ;   in Loop: Header=BB198_35 Depth=3
	v_min_i32_e32 v7, v32, v7
	s_xor_b64 s[78:79], exec, -1
	v_pk_mov_b32 v[30:31], v[22:23], v[22:23] op_sel:[0,1]
; %bb.38:                               ;   in Loop: Header=BB198_35 Depth=3
	s_or_b64 exec, exec, s[80:81]
	s_and_b64 s[78:79], s[78:79], exec
                                        ; implicit-def: $vgpr32
.LBB198_39:                             ;   in Loop: Header=BB198_35 Depth=3
	s_andn2_saveexec_b64 s[80:81], s[24:25]
	s_cbranch_execz .LBB198_34
; %bb.40:                               ;   in Loop: Header=BB198_35 Depth=3
	v_subrev_u32_e32 v58, s63, v32
	v_lshlrev_b32_e32 v32, 2, v58
	ds_write_b32 v32, v57 offset:10240
	s_and_saveexec_b64 s[82:83], s[4:5]
	s_cbranch_execz .LBB198_33
; %bb.41:                               ;   in Loop: Header=BB198_35 Depth=3
	v_cndmask_b32_e64 v32, 0, 1, s[54:55]
	s_andn2_b64 vcc, exec, s[38:39]
	v_cmp_ne_u32_e64 s[24:25], 1, v32
	s_cbranch_vccnz .LBB198_46
; %bb.42:                               ;   in Loop: Header=BB198_35 Depth=3
	v_pk_mov_b32 v[32:33], 0, 0
	s_and_b64 vcc, exec, s[24:25]
	s_cbranch_vccnz .LBB198_45
; %bb.43:                               ;   in Loop: Header=BB198_35 Depth=3
	v_pk_mov_b32 v[34:35], v[26:27], v[26:27] op_sel:[0,1]
	s_mov_b32 s84, s50
	v_mov_b32_e32 v59, v52
.LBB198_44:                             ;   Parent Loop BB198_13 Depth=1
                                        ;     Parent Loop BB198_22 Depth=2
                                        ;       Parent Loop BB198_35 Depth=3
                                        ; =>      This Inner Loop Header: Depth=4
	global_load_dwordx2 v[60:61], v[34:35], off
	ds_read_b64 v[62:63], v59
	s_add_i32 s84, s84, -1
	v_add_co_u32_e32 v34, vcc, 8, v34
	v_add_u32_e32 v59, 32, v59
	v_addc_co_u32_e32 v35, vcc, 0, v35, vcc
	s_cmp_lg_u32 s84, 0
	s_waitcnt vmcnt(0) lgkmcnt(0)
	v_fmac_f64_e32 v[32:33], v[62:63], v[60:61]
	s_cbranch_scc1 .LBB198_44
.LBB198_45:                             ;   in Loop: Header=BB198_35 Depth=3
	s_cbranch_execnz .LBB198_32
	s_branch .LBB198_47
.LBB198_46:                             ;   in Loop: Header=BB198_35 Depth=3
                                        ; implicit-def: $vgpr32_vgpr33
.LBB198_47:                             ;   in Loop: Header=BB198_35 Depth=3
	v_pk_mov_b32 v[32:33], 0, 0
	s_and_b64 vcc, exec, s[24:25]
	s_cbranch_vccnz .LBB198_32
; %bb.48:                               ;   in Loop: Header=BB198_35 Depth=3
	v_mov_b32_e32 v59, v53
	v_pk_mov_b32 v[34:35], v[28:29], v[28:29] op_sel:[0,1]
	s_mov_b32 s24, s50
.LBB198_49:                             ;   Parent Loop BB198_13 Depth=1
                                        ;     Parent Loop BB198_22 Depth=2
                                        ;       Parent Loop BB198_35 Depth=3
                                        ; =>      This Inner Loop Header: Depth=4
	global_load_dwordx2 v[60:61], v[34:35], off
	ds_read_b64 v[62:63], v59
	s_add_i32 s24, s24, -1
	v_mov_b32_e32 v64, s69
	v_add_co_u32_e32 v34, vcc, s68, v34
	v_add_u32_e32 v59, 8, v59
	v_addc_co_u32_e32 v35, vcc, v35, v64, vcc
	s_cmp_eq_u32 s24, 0
	s_waitcnt vmcnt(0) lgkmcnt(0)
	v_fmac_f64_e32 v[32:33], v[62:63], v[60:61]
	s_cbranch_scc0 .LBB198_49
	s_branch .LBB198_32
.LBB198_50:                             ;   in Loop: Header=BB198_22 Depth=2
	s_or_b64 exec, exec, s[76:77]
	v_pk_mov_b32 v[22:23], v[30:31], v[30:31] op_sel:[0,1]
.LBB198_51:                             ;   in Loop: Header=BB198_22 Depth=2
	s_or_b64 exec, exec, s[74:75]
.LBB198_52:                             ;   in Loop: Header=BB198_22 Depth=2
	s_or_b64 exec, exec, s[72:73]
	s_waitcnt lgkmcnt(0)
	s_barrier
	s_and_saveexec_b64 s[24:25], s[22:23]
	s_cbranch_execz .LBB198_21
; %bb.53:                               ;   in Loop: Header=BB198_22 Depth=2
	v_lshlrev_b64 v[20:21], 3, v[20:21]
	v_mov_b32_e32 v24, s61
	v_add_co_u32_e32 v20, vcc, s60, v20
	v_addc_co_u32_e32 v21, vcc, v24, v21, vcc
	global_store_dwordx2 v[20:21], v[22:23], off
	s_branch .LBB198_21
.LBB198_54:                             ;   in Loop: Header=BB198_22 Depth=2
                                        ; implicit-def: $vgpr22_vgpr23
	s_branch .LBB198_29
.LBB198_55:                             ;   in Loop: Header=BB198_13 Depth=1
	s_andn2_b64 vcc, exec, s[34:35]
	s_cbranch_vccnz .LBB198_67
; %bb.56:                               ;   in Loop: Header=BB198_13 Depth=1
	s_load_dwordx4 s[28:31], s[64:65], 0x0
	s_waitcnt lgkmcnt(0)
	s_sub_u32 s30, s30, s48
	v_mov_b32_e32 v20, s29
	v_add_co_u32_e32 v24, vcc, s28, v41
	s_subb_u32 s31, s31, 0
	v_addc_co_u32_e32 v25, vcc, v20, v42, vcc
	v_cmp_gt_i64_e32 vcc, s[30:31], v[24:25]
	s_and_saveexec_b64 s[72:73], vcc
	s_cbranch_execz .LBB198_66
; %bb.57:                               ;   in Loop: Header=BB198_13 Depth=1
	v_lshlrev_b64 v[20:21], 2, v[24:25]
	v_mov_b32_e32 v22, s27
	v_add_co_u32_e32 v20, vcc, s26, v20
	v_addc_co_u32_e32 v21, vcc, v22, v21, vcc
	v_mad_u64_u32 v[22:23], s[22:23], s52, v24, v[12:13]
	v_mul_lo_u32 v25, s52, v25
	v_mul_lo_u32 v24, s53, v24
	v_add3_u32 v23, v24, v23, v25
	v_mov_b32_e32 v25, s29
	v_add_co_u32_e32 v24, vcc, s28, v54
	v_addc_co_u32_e32 v25, vcc, v55, v25, vcc
	s_mov_b64 s[28:29], 0
	s_branch .LBB198_60
.LBB198_58:                             ;   in Loop: Header=BB198_60 Depth=2
	s_or_b64 exec, exec, s[74:75]
	s_or_b64 s[22:23], s[22:23], exec
.LBB198_59:                             ;   in Loop: Header=BB198_60 Depth=2
	s_or_b64 exec, exec, s[24:25]
	v_cmp_le_i64_e32 vcc, s[30:31], v[24:25]
	s_xor_b64 s[22:23], s[22:23], -1
	s_or_b64 s[22:23], s[22:23], vcc
	v_add_co_u32_e32 v20, vcc, 64, v20
	v_addc_co_u32_e32 v21, vcc, 0, v21, vcc
	v_mov_b32_e32 v26, s71
	v_add_co_u32_e32 v22, vcc, s70, v22
	v_addc_co_u32_e32 v23, vcc, v23, v26, vcc
	s_and_b64 s[22:23], exec, s[22:23]
	v_add_co_u32_e32 v24, vcc, 16, v24
	s_or_b64 s[28:29], s[22:23], s[28:29]
	v_addc_co_u32_e32 v25, vcc, 0, v25, vcc
	s_andn2_b64 exec, exec, s[28:29]
	s_cbranch_execz .LBB198_65
.LBB198_60:                             ;   Parent Loop BB198_13 Depth=1
                                        ; =>  This Inner Loop Header: Depth=2
	global_load_dword v26, v[20:21], off
	s_waitcnt vmcnt(0)
	v_subrev_u32_e32 v26, s47, v26
	v_cmp_gt_i32_e64 s[22:23], s63, v26
	v_cmp_ge_i32_e64 s[24:25], v26, v0
	v_cmp_lt_i32_e32 vcc, v26, v0
	s_or_b64 s[24:25], s[22:23], s[24:25]
                                        ; implicit-def: $sgpr22_sgpr23
	s_and_saveexec_b64 s[74:75], s[24:25]
	s_xor_b64 s[24:25], exec, s[74:75]
; %bb.61:                               ;   in Loop: Header=BB198_60 Depth=2
	v_min_i32_e32 v26, v26, v7
	v_cndmask_b32_e32 v7, v26, v7, vcc
	s_and_b64 s[22:23], vcc, exec
                                        ; implicit-def: $vgpr26
; %bb.62:                               ;   in Loop: Header=BB198_60 Depth=2
	s_andn2_saveexec_b64 s[24:25], s[24:25]
	s_cbranch_execz .LBB198_59
; %bb.63:                               ;   in Loop: Header=BB198_60 Depth=2
	v_subrev_u32_e32 v26, s63, v26
	v_lshlrev_b32_e32 v27, 2, v26
	ds_write_b32 v27, v57 offset:10240
	s_and_saveexec_b64 s[74:75], s[4:5]
	s_cbranch_execz .LBB198_58
; %bb.64:                               ;   in Loop: Header=BB198_60 Depth=2
	global_load_dwordx2 v[28:29], v[22:23], off
	v_lshlrev_b32_e32 v26, 4, v26
	v_or3_b32 v30, v26, v40, v11
	s_waitcnt vmcnt(0)
	v_mul_f64 v[26:27], v[4:5], v[28:29]
	v_lshlrev_b32_e32 v28, 3, v30
	ds_add_f64 v28, v[26:27]
	s_branch .LBB198_58
.LBB198_65:                             ;   in Loop: Header=BB198_13 Depth=1
	s_or_b64 exec, exec, s[28:29]
.LBB198_66:                             ;   in Loop: Header=BB198_13 Depth=1
	s_or_b64 exec, exec, s[72:73]
.LBB198_67:                             ;   in Loop: Header=BB198_13 Depth=1
	s_and_saveexec_b64 s[22:23], s[6:7]
	s_cbranch_execz .LBB198_72
; %bb.68:                               ;   in Loop: Header=BB198_13 Depth=1
	s_mov_b64 s[24:25], exec
	s_brev_b32 s28, -2
.LBB198_69:                             ;   Parent Loop BB198_13 Depth=1
                                        ; =>  This Inner Loop Header: Depth=2
	s_ff1_i32_b64 s29, s[24:25]
	v_readlane_b32 s72, v7, s29
	s_lshl_b64 s[30:31], 1, s29
	s_min_i32 s28, s28, s72
	s_andn2_b64 s[24:25], s[24:25], s[30:31]
	s_cmp_lg_u64 s[24:25], 0
	s_cbranch_scc1 .LBB198_69
; %bb.70:                               ;   in Loop: Header=BB198_13 Depth=1
	v_mbcnt_lo_u32_b32 v0, exec_lo, 0
	v_mbcnt_hi_u32_b32 v0, exec_hi, v0
	v_cmp_eq_u32_e32 vcc, 0, v0
	s_and_saveexec_b64 s[24:25], vcc
	s_xor_b64 s[24:25], exec, s[24:25]
	s_cbranch_execz .LBB198_72
; %bb.71:                               ;   in Loop: Header=BB198_13 Depth=1
	v_mov_b32_e32 v0, s28
	ds_min_i32 v8, v0 offset:10496
.LBB198_72:                             ;   in Loop: Header=BB198_13 Depth=1
	s_or_b64 exec, exec, s[22:23]
	s_waitcnt lgkmcnt(0)
	s_barrier
	ds_read_b32 v0, v43
	s_waitcnt lgkmcnt(0)
	s_barrier
	s_and_saveexec_b64 s[22:23], s[10:11]
	s_cbranch_execz .LBB198_74
; %bb.73:                               ;   in Loop: Header=BB198_13 Depth=1
	ds_read_b32 v7, v44
	s_waitcnt lgkmcnt(0)
	v_add_u32_e32 v0, v7, v0
.LBB198_74:                             ;   in Loop: Header=BB198_13 Depth=1
	s_or_b64 exec, exec, s[22:23]
	s_barrier
	ds_write_b32 v43, v0
	s_waitcnt lgkmcnt(0)
	s_barrier
	s_and_saveexec_b64 s[22:23], s[12:13]
	s_cbranch_execz .LBB198_76
; %bb.75:                               ;   in Loop: Header=BB198_13 Depth=1
	ds_read_b32 v7, v46
	s_waitcnt lgkmcnt(0)
	v_add_u32_e32 v0, v7, v0
.LBB198_76:                             ;   in Loop: Header=BB198_13 Depth=1
	s_or_b64 exec, exec, s[22:23]
	s_barrier
	ds_write_b32 v43, v0
	;; [unrolled: 12-line block ×6, first 2 shown]
	s_waitcnt lgkmcnt(0)
	s_barrier
	ds_read_b32 v20, v8 offset:10492
	v_mov_b32_e32 v7, 0
	s_and_saveexec_b64 s[22:23], s[8:9]
	s_cbranch_execz .LBB198_86
; %bb.85:                               ;   in Loop: Header=BB198_13 Depth=1
	ds_read_b32 v7, v44
.LBB198_86:                             ;   in Loop: Header=BB198_13 Depth=1
	s_or_b64 exec, exec, s[22:23]
	s_waitcnt lgkmcnt(0)
	v_cmp_eq_u32_e32 vcc, v0, v7
	s_and_b64 s[24:25], s[8:9], vcc
	s_barrier
	s_and_saveexec_b64 s[22:23], s[24:25]
	s_cbranch_execz .LBB198_88
; %bb.87:                               ;   in Loop: Header=BB198_13 Depth=1
	ds_write_b32 v43, v8
.LBB198_88:                             ;   in Loop: Header=BB198_13 Depth=1
	s_or_b64 exec, exec, s[22:23]
	v_add_co_u32_e32 v21, vcc, -1, v18
	v_addc_co_u32_e32 v22, vcc, -1, v19, vcc
	s_add_i32 s28, s46, s63
	s_mov_b64 s[22:23], 0
	v_mov_b32_e32 v23, v56
	v_mov_b32_e32 v24, v36
	v_mov_b32_e32 v25, v6
	s_waitcnt lgkmcnt(0)
	s_barrier
	s_branch .LBB198_90
.LBB198_89:                             ;   in Loop: Header=BB198_90 Depth=2
	s_or_b64 exec, exec, s[24:25]
	v_add_u32_e32 v0, 16, v25
	v_cmp_lt_u32_e32 vcc, 47, v25
	v_add_u32_e32 v24, 0x800, v24
	v_add_u32_e32 v23, 64, v23
	s_or_b64 s[22:23], vcc, s[22:23]
	v_mov_b32_e32 v25, v0
	s_andn2_b64 exec, exec, s[22:23]
	s_cbranch_execz .LBB198_12
.LBB198_90:                             ;   Parent Loop BB198_13 Depth=1
                                        ; =>  This Inner Loop Header: Depth=2
	ds_read_b32 v0, v23
	s_waitcnt lgkmcnt(0)
	v_cmp_ne_u32_e32 vcc, 0, v0
	s_and_saveexec_b64 s[24:25], vcc
	s_cbranch_execz .LBB198_89
; %bb.91:                               ;   in Loop: Header=BB198_90 Depth=2
	v_ashrrev_i32_e32 v7, 31, v0
	v_add_co_u32_e32 v26, vcc, v18, v0
	v_addc_co_u32_e32 v27, vcc, v19, v7, vcc
	v_lshlrev_b64 v[26:27], 2, v[26:27]
	v_mov_b32_e32 v29, s90
	v_add_co_u32_e32 v26, vcc, s89, v26
	v_add_u32_e32 v28, s28, v25
	v_addc_co_u32_e32 v27, vcc, v29, v27, vcc
	global_store_dword v[26:27], v28, off
	s_and_b64 exec, exec, s[4:5]
	s_cbranch_execz .LBB198_89
; %bb.92:                               ;   in Loop: Header=BB198_90 Depth=2
	v_add_co_u32_e32 v0, vcc, v21, v0
	v_mad_u64_u32 v[28:29], s[30:31], v0, s62, 0
	v_addc_co_u32_e32 v7, vcc, v22, v7, vcc
	v_mov_b32_e32 v0, v29
	ds_read_b64 v[26:27], v24
	v_mad_u64_u32 v[30:31], s[30:31], v7, s62, v[0:1]
	v_mov_b32_e32 v29, v30
	v_lshlrev_b64 v[28:29], 3, v[28:29]
	v_add_co_u32_e32 v28, vcc, v10, v28
	v_addc_co_u32_e32 v29, vcc, v1, v29, vcc
	s_waitcnt lgkmcnt(0)
	global_store_dwordx2 v[28:29], v[26:27], off
	s_branch .LBB198_89
.LBB198_93:
	s_endpgm
	.section	.rodata,"a",@progbits
	.p2align	6, 0x0
	.amdhsa_kernel _ZN9rocsparseL38bsrgemm_block_per_row_atomic_multipassILj256ELj64ELj4ElidEEv20rocsparse_direction_T3_S2_PKS2_S4_NS_24const_host_device_scalarIT4_EEPKT2_S4_PKS6_SA_S4_SC_S7_SA_S4_SC_SA_PS2_PS6_PS8_21rocsparse_index_base_SG_SG_SG_bbb
		.amdhsa_group_segment_fixed_size 10504
		.amdhsa_private_segment_fixed_size 0
		.amdhsa_kernarg_size 172
		.amdhsa_user_sgpr_count 6
		.amdhsa_user_sgpr_private_segment_buffer 1
		.amdhsa_user_sgpr_dispatch_ptr 0
		.amdhsa_user_sgpr_queue_ptr 0
		.amdhsa_user_sgpr_kernarg_segment_ptr 1
		.amdhsa_user_sgpr_dispatch_id 0
		.amdhsa_user_sgpr_flat_scratch_init 0
		.amdhsa_user_sgpr_kernarg_preload_length 0
		.amdhsa_user_sgpr_kernarg_preload_offset 0
		.amdhsa_user_sgpr_private_segment_size 0
		.amdhsa_uses_dynamic_stack 0
		.amdhsa_system_sgpr_private_segment_wavefront_offset 0
		.amdhsa_system_sgpr_workgroup_id_x 1
		.amdhsa_system_sgpr_workgroup_id_y 0
		.amdhsa_system_sgpr_workgroup_id_z 0
		.amdhsa_system_sgpr_workgroup_info 0
		.amdhsa_system_vgpr_workitem_id 0
		.amdhsa_next_free_vgpr 65
		.amdhsa_next_free_sgpr 91
		.amdhsa_accum_offset 68
		.amdhsa_reserve_vcc 1
		.amdhsa_reserve_flat_scratch 0
		.amdhsa_float_round_mode_32 0
		.amdhsa_float_round_mode_16_64 0
		.amdhsa_float_denorm_mode_32 3
		.amdhsa_float_denorm_mode_16_64 3
		.amdhsa_dx10_clamp 1
		.amdhsa_ieee_mode 1
		.amdhsa_fp16_overflow 0
		.amdhsa_tg_split 0
		.amdhsa_exception_fp_ieee_invalid_op 0
		.amdhsa_exception_fp_denorm_src 0
		.amdhsa_exception_fp_ieee_div_zero 0
		.amdhsa_exception_fp_ieee_overflow 0
		.amdhsa_exception_fp_ieee_underflow 0
		.amdhsa_exception_fp_ieee_inexact 0
		.amdhsa_exception_int_div_zero 0
	.end_amdhsa_kernel
	.section	.text._ZN9rocsparseL38bsrgemm_block_per_row_atomic_multipassILj256ELj64ELj4ElidEEv20rocsparse_direction_T3_S2_PKS2_S4_NS_24const_host_device_scalarIT4_EEPKT2_S4_PKS6_SA_S4_SC_S7_SA_S4_SC_SA_PS2_PS6_PS8_21rocsparse_index_base_SG_SG_SG_bbb,"axG",@progbits,_ZN9rocsparseL38bsrgemm_block_per_row_atomic_multipassILj256ELj64ELj4ElidEEv20rocsparse_direction_T3_S2_PKS2_S4_NS_24const_host_device_scalarIT4_EEPKT2_S4_PKS6_SA_S4_SC_S7_SA_S4_SC_SA_PS2_PS6_PS8_21rocsparse_index_base_SG_SG_SG_bbb,comdat
.Lfunc_end198:
	.size	_ZN9rocsparseL38bsrgemm_block_per_row_atomic_multipassILj256ELj64ELj4ElidEEv20rocsparse_direction_T3_S2_PKS2_S4_NS_24const_host_device_scalarIT4_EEPKT2_S4_PKS6_SA_S4_SC_S7_SA_S4_SC_SA_PS2_PS6_PS8_21rocsparse_index_base_SG_SG_SG_bbb, .Lfunc_end198-_ZN9rocsparseL38bsrgemm_block_per_row_atomic_multipassILj256ELj64ELj4ElidEEv20rocsparse_direction_T3_S2_PKS2_S4_NS_24const_host_device_scalarIT4_EEPKT2_S4_PKS6_SA_S4_SC_S7_SA_S4_SC_SA_PS2_PS6_PS8_21rocsparse_index_base_SG_SG_SG_bbb
                                        ; -- End function
	.section	.AMDGPU.csdata,"",@progbits
; Kernel info:
; codeLenInByte = 3344
; NumSgprs: 95
; NumVgprs: 65
; NumAgprs: 0
; TotalNumVgprs: 65
; ScratchSize: 0
; MemoryBound: 0
; FloatMode: 240
; IeeeMode: 1
; LDSByteSize: 10504 bytes/workgroup (compile time only)
; SGPRBlocks: 11
; VGPRBlocks: 8
; NumSGPRsForWavesPerEU: 95
; NumVGPRsForWavesPerEU: 65
; AccumOffset: 68
; Occupancy: 6
; WaveLimiterHint : 1
; COMPUTE_PGM_RSRC2:SCRATCH_EN: 0
; COMPUTE_PGM_RSRC2:USER_SGPR: 6
; COMPUTE_PGM_RSRC2:TRAP_HANDLER: 0
; COMPUTE_PGM_RSRC2:TGID_X_EN: 1
; COMPUTE_PGM_RSRC2:TGID_Y_EN: 0
; COMPUTE_PGM_RSRC2:TGID_Z_EN: 0
; COMPUTE_PGM_RSRC2:TIDIG_COMP_CNT: 0
; COMPUTE_PGM_RSRC3_GFX90A:ACCUM_OFFSET: 16
; COMPUTE_PGM_RSRC3_GFX90A:TG_SPLIT: 0
	.section	.text._ZN9rocsparseL38bsrgemm_block_per_row_atomic_multipassILj256ELj128ELj4ElidEEv20rocsparse_direction_T3_S2_PKS2_S4_NS_24const_host_device_scalarIT4_EEPKT2_S4_PKS6_SA_S4_SC_S7_SA_S4_SC_SA_PS2_PS6_PS8_21rocsparse_index_base_SG_SG_SG_bbb,"axG",@progbits,_ZN9rocsparseL38bsrgemm_block_per_row_atomic_multipassILj256ELj128ELj4ElidEEv20rocsparse_direction_T3_S2_PKS2_S4_NS_24const_host_device_scalarIT4_EEPKT2_S4_PKS6_SA_S4_SC_S7_SA_S4_SC_SA_PS2_PS6_PS8_21rocsparse_index_base_SG_SG_SG_bbb,comdat
	.globl	_ZN9rocsparseL38bsrgemm_block_per_row_atomic_multipassILj256ELj128ELj4ElidEEv20rocsparse_direction_T3_S2_PKS2_S4_NS_24const_host_device_scalarIT4_EEPKT2_S4_PKS6_SA_S4_SC_S7_SA_S4_SC_SA_PS2_PS6_PS8_21rocsparse_index_base_SG_SG_SG_bbb ; -- Begin function _ZN9rocsparseL38bsrgemm_block_per_row_atomic_multipassILj256ELj128ELj4ElidEEv20rocsparse_direction_T3_S2_PKS2_S4_NS_24const_host_device_scalarIT4_EEPKT2_S4_PKS6_SA_S4_SC_S7_SA_S4_SC_SA_PS2_PS6_PS8_21rocsparse_index_base_SG_SG_SG_bbb
	.p2align	8
	.type	_ZN9rocsparseL38bsrgemm_block_per_row_atomic_multipassILj256ELj128ELj4ElidEEv20rocsparse_direction_T3_S2_PKS2_S4_NS_24const_host_device_scalarIT4_EEPKT2_S4_PKS6_SA_S4_SC_S7_SA_S4_SC_SA_PS2_PS6_PS8_21rocsparse_index_base_SG_SG_SG_bbb,@function
_ZN9rocsparseL38bsrgemm_block_per_row_atomic_multipassILj256ELj128ELj4ElidEEv20rocsparse_direction_T3_S2_PKS2_S4_NS_24const_host_device_scalarIT4_EEPKT2_S4_PKS6_SA_S4_SC_S7_SA_S4_SC_SA_PS2_PS6_PS8_21rocsparse_index_base_SG_SG_SG_bbb: ; @_ZN9rocsparseL38bsrgemm_block_per_row_atomic_multipassILj256ELj128ELj4ElidEEv20rocsparse_direction_T3_S2_PKS2_S4_NS_24const_host_device_scalarIT4_EEPKT2_S4_PKS6_SA_S4_SC_S7_SA_S4_SC_SA_PS2_PS6_PS8_21rocsparse_index_base_SG_SG_SG_bbb
; %bb.0:
	s_load_dword s7, s[4:5], 0xa8
	s_load_dwordx4 s[52:55], s[4:5], 0x98
	s_load_dwordx2 s[8:9], s[4:5], 0x20
	s_waitcnt lgkmcnt(0)
	s_and_b32 s0, 1, s7
	s_bitcmp1_b32 s7, 16
	s_cselect_b64 s[2:3], -1, 0
	s_cmp_eq_u32 s0, 1
	s_load_dwordx2 s[0:1], s[4:5], 0x58
	s_cselect_b64 s[10:11], -1, 0
	s_and_b64 s[12:13], s[10:11], exec
	s_cselect_b32 s13, s9, 0
	s_cselect_b32 s12, s8, 0
	s_xor_b64 s[14:15], s[10:11], -1
	s_or_b64 s[14:15], s[14:15], s[2:3]
	s_and_b64 vcc, exec, s[14:15]
	v_pk_mov_b32 v[2:3], s[12:13], s[12:13] op_sel:[0,1]
	s_cbranch_vccnz .LBB199_2
; %bb.1:
	v_pk_mov_b32 v[2:3], s[8:9], s[8:9] op_sel:[0,1]
	flat_load_dwordx2 v[2:3], v[2:3]
.LBB199_2:
	s_bitcmp1_b32 s7, 8
	s_load_dwordx2 s[8:9], s[4:5], 0x18
	s_cselect_b64 s[64:65], -1, 0
	s_and_b64 s[12:13], s[64:65], exec
	s_waitcnt lgkmcnt(0)
	s_cselect_b32 s13, s1, 0
	s_cselect_b32 s12, s0, 0
	s_xor_b64 s[14:15], s[64:65], -1
	s_or_b64 s[2:3], s[14:15], s[2:3]
	s_and_b64 vcc, exec, s[2:3]
	v_pk_mov_b32 v[4:5], s[12:13], s[12:13] op_sel:[0,1]
	s_cbranch_vccnz .LBB199_4
; %bb.3:
	v_pk_mov_b32 v[4:5], s[0:1], s[0:1] op_sel:[0,1]
	flat_load_dwordx2 v[4:5], v[4:5]
.LBB199_4:
	s_load_dwordx2 s[2:3], s[4:5], 0x28
	s_cmp_eq_u64 s[8:9], 0
	s_mov_b64 s[66:67], 0
	s_cbranch_scc1 .LBB199_6
; %bb.5:
	s_load_dwordx2 s[0:1], s[4:5], 0x10
	s_waitcnt lgkmcnt(0)
	s_load_dword s0, s[0:1], 0x0
	s_mov_b32 s1, 0
	s_waitcnt lgkmcnt(0)
	s_add_i32 s0, s0, s6
	s_lshl_b64 s[0:1], s[0:1], 2
	s_add_u32 s0, s8, s0
	s_addc_u32 s1, s9, s1
	s_load_dword s6, s[0:1], 0x0
.LBB199_6:
	v_cndmask_b32_e64 v1, 0, 1, s[10:11]
	v_cmp_ne_u32_e64 s[0:1], 1, v1
	s_andn2_b64 vcc, exec, s[10:11]
	s_cbranch_vccz .LBB199_9
; %bb.7:
	s_and_b64 vcc, exec, s[0:1]
	s_mov_b64 s[68:69], 0
	s_cbranch_vccz .LBB199_10
.LBB199_8:
	s_load_dwordx4 s[56:59], s[4:5], 0x0
	s_waitcnt lgkmcnt(0)
	s_cmp_lt_i32 s57, 1
	s_cbranch_scc0 .LBB199_11
	s_branch .LBB199_99
.LBB199_9:
	s_waitcnt lgkmcnt(0)
	s_ashr_i32 s7, s6, 31
	s_lshl_b64 s[8:9], s[6:7], 3
	s_add_u32 s8, s2, s8
	s_addc_u32 s9, s3, s9
	s_load_dwordx2 s[8:9], s[8:9], 0x0
	s_waitcnt lgkmcnt(0)
	s_sub_u32 s66, s8, s52
	s_subb_u32 s67, s9, 0
	s_and_b64 vcc, exec, s[0:1]
	s_mov_b64 s[68:69], 0
	s_cbranch_vccnz .LBB199_8
.LBB199_10:
	s_waitcnt lgkmcnt(0)
	s_ashr_i32 s7, s6, 31
	s_lshl_b64 s[0:1], s[6:7], 3
	s_add_u32 s0, s2, s0
	s_addc_u32 s1, s3, s1
	s_load_dwordx2 s[0:1], s[0:1], 0x8
	s_waitcnt lgkmcnt(0)
	s_sub_u32 s68, s0, s52
	s_subb_u32 s69, s1, 0
	s_load_dwordx4 s[56:59], s[4:5], 0x0
	s_waitcnt lgkmcnt(0)
	s_cmp_lt_i32 s57, 1
	s_cbranch_scc1 .LBB199_99
.LBB199_11:
	s_load_dwordx2 s[70:71], s[4:5], 0x90
	s_load_dwordx4 s[60:63], s[4:5], 0x80
	s_load_dwordx8 s[36:43], s[4:5], 0x60
	s_load_dwordx2 s[30:31], s[4:5], 0x50
	s_load_dwordx8 s[44:51], s[4:5], 0x30
	v_pk_mov_b32 v[8:9], s[68:69], s[68:69] op_sel:[0,1]
	v_bfe_u32 v7, v0, 2, 2
	v_cmp_lt_i64_e32 vcc, s[66:67], v[8:9]
	v_mov_b32_e32 v8, 0
	v_and_b32_e32 v11, 3, v0
	v_mul_lo_u32 v12, v7, s58
	v_mov_b32_e32 v13, v8
	s_ashr_i32 s7, s6, 31
	v_max_i32_e32 v9, v11, v7
	v_lshlrev_b64 v[12:13], 3, v[12:13]
	s_lshl_b64 s[8:9], s[6:7], 3
	v_cmp_gt_i32_e64 s[4:5], s58, v9
	s_waitcnt lgkmcnt(0)
	v_mov_b32_e32 v9, s47
	v_add_co_u32_e64 v10, s[6:7], s46, v12
	v_addc_co_u32_e64 v9, s[6:7], v9, v13, s[6:7]
	v_lshlrev_b32_e32 v16, 3, v11
	v_add_co_u32_e64 v40, s[6:7], v10, v16
	v_mul_lo_u32 v14, v11, s58
	v_mov_b32_e32 v15, v8
	v_addc_co_u32_e64 v41, s[6:7], 0, v9, s[6:7]
	v_lshlrev_b64 v[14:15], 3, v[14:15]
	v_mov_b32_e32 v9, s63
	v_add_co_u32_e64 v10, s[6:7], s62, v14
	v_lshlrev_b32_e32 v7, 3, v7
	v_addc_co_u32_e64 v17, s[6:7], v9, v15, s[6:7]
	v_add_co_u32_e64 v10, s[6:7], v10, v7
	v_addc_co_u32_e64 v17, s[6:7], 0, v17, s[6:7]
	v_add_co_u32_e64 v18, s[6:7], s62, v12
	v_addc_co_u32_e64 v9, s[6:7], v9, v13, s[6:7]
	s_add_u32 s0, s42, s8
	v_add_co_u32_e64 v18, s[6:7], v18, v16
	s_addc_u32 s1, s43, s9
	v_lshrrev_b32_e32 v6, 4, v0
	v_addc_co_u32_e64 v9, s[6:7], 0, v9, s[6:7]
	s_load_dwordx2 s[0:1], s[0:1], 0x0
	v_subrev_co_u32_e64 v43, s[6:7], s55, v6
	v_subb_co_u32_e64 v44, s[6:7], 0, 0, s[6:7]
	v_mov_b32_e32 v19, s41
	v_add_co_u32_e64 v20, s[6:7], s40, v14
	v_addc_co_u32_e64 v21, s[6:7], v19, v15, s[6:7]
	v_add_co_u32_e64 v20, s[6:7], v20, v7
	s_waitcnt lgkmcnt(0)
	s_sub_u32 s34, s0, s54
	v_addc_co_u32_e64 v21, s[6:7], 0, v21, s[6:7]
	s_subb_u32 s35, s1, 0
	v_add_co_u32_e64 v12, s[6:7], s40, v12
	s_cmp_eq_u32 s56, 0
	v_addc_co_u32_e64 v13, s[6:7], v19, v13, s[6:7]
	s_cselect_b64 s[24:25], -1, 0
	s_cmp_lg_u32 s56, 0
	v_add_co_u32_e64 v12, s[6:7], v12, v16
	v_and_b32_e32 v1, 15, v0
	s_cselect_b64 s[46:47], -1, 0
	s_cmp_gt_i32 s58, 0
	v_addc_co_u32_e64 v13, s[6:7], 0, v13, s[6:7]
	s_movk_i32 s0, 0x80
	s_cselect_b64 s[42:43], -1, 0
	s_add_u32 s36, s36, s8
	v_cmp_eq_u32_e64 s[6:7], 15, v1
	v_and_b32_e32 v1, 0x7f, v0
	v_mov_b32_e32 v23, 0x4800
	s_movk_i32 s26, 0x200
	s_movk_i32 s28, 0x100
	v_cmp_gt_u32_e64 s[0:1], s0, v0
	v_cmp_eq_u32_e64 s[2:3], 0, v0
	v_lshlrev_b32_e32 v38, 3, v0
	s_movk_i32 s29, 0x4000
	v_and_b32_e32 v42, 12, v0
	s_addc_u32 s37, s37, s9
	v_lshlrev_b32_e32 v19, 2, v1
	v_add_co_u32_e64 v22, s[8:9], -1, v1
	v_lshl_or_b32 v47, v0, 2, v23
	s_and_b64 s[62:63], s[10:11], vcc
	v_cmp_ne_u32_e64 s[10:11], 0, v1
	v_cmp_lt_u32_e64 s[12:13], 1, v1
	v_cmp_lt_u32_e64 s[14:15], 3, v1
	;; [unrolled: 1-line block ×6, first 2 shown]
	v_cndmask_b32_e64 v1, v17, v9, s[24:25]
	v_or_b32_e32 v9, 0x400, v0
	v_cmp_gt_u32_e64 s[26:27], s26, v0
	v_cmp_gt_u32_e64 s[40:41], s28, v0
	v_lshlrev_b32_e32 v0, 7, v6
	v_or3_b32 v54, v0, v7, s29
	v_mov_b32_e32 v0, s31
	v_add_co_u32_e32 v14, vcc, s30, v14
	v_addc_co_u32_e32 v15, vcc, v0, v15, vcc
	s_add_u32 s93, s48, 8
	v_add_co_u32_e32 v16, vcc, s30, v16
	s_mov_b32 s73, 0
	s_addc_u32 s94, s49, 0
	v_addc_co_u32_e32 v17, vcc, 0, v0, vcc
	s_mul_i32 s72, s58, s58
	v_cndmask_b32_e64 v10, v10, v18, s[24:25]
	v_cndmask_b32_e64 v13, v21, v13, s[24:25]
	;; [unrolled: 1-line block ×3, first 2 shown]
	s_movk_i32 s24, 0x700
                                        ; implicit-def: $vgpr67 : SGPR spill to VGPR lane
	s_add_u32 s95, s60, -4
	s_mov_b32 s59, s73
	v_and_b32_e32 v0, 0x7e0, v38
	v_add_co_u32_e32 v56, vcc, 16, v43
	s_mov_b32 s30, s73
	s_mov_b32 s31, s73
	v_or_b32_e32 v39, 0x4000, v38
	s_mov_b32 s33, s53
	s_mov_b32 s92, s73
	;; [unrolled: 1-line block ×3, first 2 shown]
	v_or_b32_e32 v45, 0x4800, v19
	v_lshl_add_u32 v46, v22, 2, v23
	v_add_u32_e32 v48, 0x47f8, v19
	v_add_u32_e32 v49, 0x47f0, v19
	;; [unrolled: 1-line block ×6, first 2 shown]
	v_cmp_gt_u32_e64 s[24:25], s24, v9
	v_writelane_b32 v67, s40, 0
	s_addc_u32 s28, s61, -1
	s_lshl_b64 s[60:61], s[72:73], 3
	s_lshl_b64 s[74:75], s[58:59], 3
	v_or_b32_e32 v55, 0x4000, v0
	s_lshl_b64 s[76:77], s[72:73], 7
	v_addc_co_u32_e32 v57, vcc, 0, v44, vcc
	v_lshl_or_b32 v58, v6, 2, v23
	v_mov_b32_e32 v0, 0x80
	v_pk_mov_b32 v[18:19], s[34:35], s[34:35] op_sel:[0,1]
	v_pk_mov_b32 v[20:21], s[30:31], s[30:31] op_sel:[0,1]
	v_mov_b32_e32 v59, 1
	s_movk_i32 s29, 0x6f
	v_cndmask_b32_e64 v60, 0, 1, s[42:43]
	v_writelane_b32 v67, s41, 1
	s_branch .LBB199_13
.LBB199_12:                             ;   in Loop: Header=BB199_13 Depth=1
	s_or_b64 exec, exec, s[30:31]
	s_barrier
	ds_read_b32 v7, v8 offset:18944
	v_ashrrev_i32_e32 v0, 31, v9
	v_add_co_u32_e32 v18, vcc, v18, v9
	v_addc_co_u32_e32 v19, vcc, v19, v0, vcc
	s_waitcnt lgkmcnt(0)
	v_cmp_le_i32_e32 vcc, s57, v7
	v_readfirstlane_b32 s73, v7
	v_add_u32_e32 v0, 0x80, v7
	s_barrier
	s_cbranch_vccnz .LBB199_99
.LBB199_13:                             ; =>This Loop Header: Depth=1
                                        ;     Child Loop BB199_26 Depth 2
                                        ;       Child Loop BB199_39 Depth 3
                                        ;         Child Loop BB199_48 Depth 4
                                        ;         Child Loop BB199_53 Depth 4
                                        ;     Child Loop BB199_64 Depth 2
                                        ;     Child Loop BB199_73 Depth 2
	;; [unrolled: 1-line block ×3, first 2 shown]
	s_and_saveexec_b64 s[30:31], s[0:1]
	s_cbranch_execz .LBB199_15
; %bb.14:                               ;   in Loop: Header=BB199_13 Depth=1
	ds_write_b32 v47, v8
.LBB199_15:                             ;   in Loop: Header=BB199_13 Depth=1
	s_or_b64 exec, exec, s[30:31]
	ds_write2st64_b64 v38, v[20:21], v[20:21] offset1:4
	ds_write2st64_b64 v38, v[20:21], v[20:21] offset0:8 offset1:12
	ds_write_b64 v38, v[20:21] offset:8192
	s_and_saveexec_b64 s[30:31], s[24:25]
	s_xor_b64 s[30:31], exec, s[30:31]
	s_cbranch_execz .LBB199_21
; %bb.16:                               ;   in Loop: Header=BB199_13 Depth=1
	v_mov_b32_e32 v9, v8
	ds_write_b64 v38, v[8:9] offset:10240
	s_and_saveexec_b64 s[34:35], s[26:27]
	s_xor_b64 s[34:35], exec, s[34:35]
	s_cbranch_execz .LBB199_20
; %bb.17:                               ;   in Loop: Header=BB199_13 Depth=1
	ds_write_b64 v38, v[8:9] offset:12288
	s_mov_b64 s[40:41], exec
	v_readlane_b32 s42, v67, 0
	v_readlane_b32 s43, v67, 1
	s_and_b64 s[42:43], s[40:41], s[42:43]
	s_xor_b64 s[40:41], s[42:43], s[40:41]
	s_mov_b64 exec, s[42:43]
	s_cbranch_execz .LBB199_19
; %bb.18:                               ;   in Loop: Header=BB199_13 Depth=1
	v_mov_b32_e32 v9, v8
	ds_write_b64 v38, v[8:9] offset:14336
.LBB199_19:                             ;   in Loop: Header=BB199_13 Depth=1
	s_or_b64 exec, exec, s[40:41]
.LBB199_20:                             ;   in Loop: Header=BB199_13 Depth=1
	s_or_b64 exec, exec, s[34:35]
.LBB199_21:                             ;   in Loop: Header=BB199_13 Depth=1
	s_or_b64 exec, exec, s[30:31]
	s_and_saveexec_b64 s[30:31], s[2:3]
	s_cbranch_execz .LBB199_23
; %bb.22:                               ;   in Loop: Header=BB199_13 Depth=1
	v_mov_b32_e32 v7, s57
	ds_write_b32 v8, v7 offset:18944
.LBB199_23:                             ;   in Loop: Header=BB199_13 Depth=1
	s_or_b64 exec, exec, s[30:31]
	s_andn2_b64 vcc, exec, s[62:63]
	v_mov_b32_e32 v7, s57
	s_waitcnt lgkmcnt(0)
	s_barrier
	s_cbranch_vccnz .LBB199_59
; %bb.24:                               ;   in Loop: Header=BB199_13 Depth=1
	s_cmp_lg_u32 s73, 0
	s_cselect_b64 s[40:41], -1, 0
	v_mov_b32_e32 v7, s57
	s_mov_b64 s[42:43], s[66:67]
	s_branch .LBB199_26
.LBB199_25:                             ;   in Loop: Header=BB199_26 Depth=2
	s_or_b64 exec, exec, s[34:35]
	s_add_u32 s42, s42, 16
	s_addc_u32 s43, s43, 0
	v_pk_mov_b32 v[22:23], s[68:69], s[68:69] op_sel:[0,1]
	v_cmp_lt_i64_e32 vcc, s[42:43], v[22:23]
	s_cbranch_vccz .LBB199_59
.LBB199_26:                             ;   Parent Loop BB199_13 Depth=1
                                        ; =>  This Loop Header: Depth=2
                                        ;       Child Loop BB199_39 Depth 3
                                        ;         Child Loop BB199_48 Depth 4
                                        ;         Child Loop BB199_53 Depth 4
	v_mov_b32_e32 v9, s43
	v_add_co_u32_e32 v22, vcc, s42, v6
	v_addc_co_u32_e32 v23, vcc, 0, v9, vcc
	v_cmp_gt_i64_e64 s[30:31], s[68:69], v[22:23]
	s_barrier
	s_and_saveexec_b64 s[34:35], s[30:31]
	s_cbranch_execz .LBB199_30
; %bb.27:                               ;   in Loop: Header=BB199_26 Depth=2
	v_pk_mov_b32 v[24:25], 0, 0
	s_and_saveexec_b64 s[78:79], s[4:5]
	s_cbranch_execz .LBB199_29
; %bb.28:                               ;   in Loop: Header=BB199_26 Depth=2
	v_mad_u64_u32 v[24:25], s[80:81], v22, s72, 0
	v_mov_b32_e32 v26, v25
	v_mad_u64_u32 v[26:27], s[80:81], v23, s72, v[26:27]
	v_mov_b32_e32 v25, v26
	v_lshlrev_b64 v[24:25], 3, v[24:25]
	v_add_co_u32_e32 v24, vcc, v40, v24
	v_addc_co_u32_e32 v25, vcc, v41, v25, vcc
	global_load_dwordx2 v[24:25], v[24:25], off
.LBB199_29:                             ;   in Loop: Header=BB199_26 Depth=2
	s_or_b64 exec, exec, s[78:79]
	s_waitcnt vmcnt(0)
	ds_write_b64 v39, v[24:25]
.LBB199_30:                             ;   in Loop: Header=BB199_26 Depth=2
	s_or_b64 exec, exec, s[34:35]
	v_pk_mov_b32 v[24:25], 0, 0
	s_waitcnt lgkmcnt(0)
	s_barrier
	s_and_saveexec_b64 s[78:79], s[30:31]
	s_cbranch_execz .LBB199_56
; %bb.31:                               ;   in Loop: Header=BB199_26 Depth=2
	v_lshlrev_b64 v[24:25], 2, v[22:23]
	v_mov_b32_e32 v9, s45
	v_add_co_u32_e32 v24, vcc, s44, v24
	v_addc_co_u32_e32 v25, vcc, v9, v25, vcc
	global_load_dword v9, v[24:25], off
	s_and_b64 vcc, exec, s[40:41]
	s_waitcnt vmcnt(0)
	v_subrev_u32_e32 v26, s52, v9
	v_ashrrev_i32_e32 v27, 31, v26
	s_cbranch_vccz .LBB199_58
; %bb.32:                               ;   in Loop: Header=BB199_26 Depth=2
	v_lshlrev_b64 v[24:25], 3, v[22:23]
	v_mov_b32_e32 v9, s71
	v_add_co_u32_e32 v24, vcc, s70, v24
	v_addc_co_u32_e32 v25, vcc, v9, v25, vcc
	global_load_dwordx2 v[24:25], v[24:25], off
	s_cbranch_execnz .LBB199_34
.LBB199_33:                             ;   in Loop: Header=BB199_26 Depth=2
	s_waitcnt vmcnt(0)
	v_lshlrev_b64 v[24:25], 3, v[26:27]
	v_mov_b32_e32 v9, s49
	v_add_co_u32_e32 v24, vcc, s48, v24
	v_addc_co_u32_e32 v25, vcc, v9, v25, vcc
	global_load_dwordx2 v[24:25], v[24:25], off
	v_mov_b32_e32 v9, s92
	s_waitcnt vmcnt(0)
	v_subrev_co_u32_e32 v24, vcc, s33, v24
	v_subb_co_u32_e32 v25, vcc, v25, v9, vcc
.LBB199_34:                             ;   in Loop: Header=BB199_26 Depth=2
	v_lshlrev_b64 v[26:27], 3, v[26:27]
	v_mov_b32_e32 v9, s94
	v_add_co_u32_e32 v26, vcc, s93, v26
	v_addc_co_u32_e32 v27, vcc, v9, v27, vcc
	global_load_dwordx2 v[26:27], v[26:27], off
	v_mov_b32_e32 v9, s92
	s_waitcnt vmcnt(0)
	v_subrev_co_u32_e32 v26, vcc, s33, v26
	v_subb_co_u32_e32 v27, vcc, v27, v9, vcc
	v_cmp_lt_i64_e32 vcc, v[24:25], v[26:27]
	s_and_saveexec_b64 s[80:81], vcc
	s_cbranch_execz .LBB199_55
; %bb.35:                               ;   in Loop: Header=BB199_26 Depth=2
	v_mad_u64_u32 v[28:29], s[34:35], s60, v24, v[14:15]
	v_mul_lo_u32 v9, s60, v25
	v_mul_lo_u32 v32, s61, v24
	v_mad_u64_u32 v[30:31], s[34:35], s60, v24, v[16:17]
	v_add3_u32 v29, v32, v29, v9
	v_add3_u32 v31, v32, v31, v9
	s_mov_b64 s[82:83], 0
	v_pk_mov_b32 v[32:33], v[24:25], v[24:25] op_sel:[0,1]
	s_branch .LBB199_39
.LBB199_36:                             ;   in Loop: Header=BB199_39 Depth=3
	v_lshlrev_b32_e32 v9, 4, v9
	v_or3_b32 v9, v9, v42, v11
	v_lshlrev_b32_e32 v9, 3, v9
	v_mul_f64 v[34:35], v[2:3], v[34:35]
	ds_add_f64 v9, v[34:35]
.LBB199_37:                             ;   in Loop: Header=BB199_39 Depth=3
	s_or_b64 exec, exec, s[88:89]
	s_or_b64 s[84:85], s[84:85], exec
.LBB199_38:                             ;   in Loop: Header=BB199_39 Depth=3
	s_or_b64 exec, exec, s[86:87]
	v_add_co_u32_e32 v24, vcc, 1, v24
	v_addc_co_u32_e32 v25, vcc, 0, v25, vcc
	v_cmp_ge_i64_e32 vcc, v[24:25], v[26:27]
	s_xor_b64 s[34:35], s[84:85], -1
	s_or_b64 s[34:35], s[34:35], vcc
	v_mov_b32_e32 v9, s61
	v_add_co_u32_e32 v28, vcc, s60, v28
	v_addc_co_u32_e32 v29, vcc, v29, v9, vcc
	s_and_b64 s[34:35], exec, s[34:35]
	v_add_co_u32_e32 v30, vcc, s60, v30
	s_or_b64 s[82:83], s[34:35], s[82:83]
	v_addc_co_u32_e32 v31, vcc, v31, v9, vcc
	s_andn2_b64 exec, exec, s[82:83]
	s_cbranch_execz .LBB199_54
.LBB199_39:                             ;   Parent Loop BB199_13 Depth=1
                                        ;     Parent Loop BB199_26 Depth=2
                                        ; =>    This Loop Header: Depth=3
                                        ;         Child Loop BB199_48 Depth 4
                                        ;         Child Loop BB199_53 Depth 4
	v_lshlrev_b64 v[34:35], 2, v[24:25]
	v_mov_b32_e32 v9, s51
	v_add_co_u32_e32 v34, vcc, s50, v34
	v_addc_co_u32_e32 v35, vcc, v9, v35, vcc
	global_load_dword v9, v[34:35], off
                                        ; implicit-def: $sgpr84_sgpr85
	s_waitcnt vmcnt(0)
	v_subrev_u32_e32 v9, s53, v9
	v_cmp_gt_i32_e64 s[34:35], s73, v9
	v_cmp_ge_i32_e32 vcc, v9, v0
	s_or_b64 s[34:35], s[34:35], vcc
	s_and_saveexec_b64 s[86:87], s[34:35]
	s_xor_b64 s[34:35], exec, s[86:87]
	s_cbranch_execz .LBB199_43
; %bb.40:                               ;   in Loop: Header=BB199_39 Depth=3
	s_mov_b64 s[84:85], -1
	s_and_saveexec_b64 s[86:87], vcc
; %bb.41:                               ;   in Loop: Header=BB199_39 Depth=3
	v_min_i32_e32 v7, v9, v7
	s_xor_b64 s[84:85], exec, -1
	v_pk_mov_b32 v[32:33], v[24:25], v[24:25] op_sel:[0,1]
; %bb.42:                               ;   in Loop: Header=BB199_39 Depth=3
	s_or_b64 exec, exec, s[86:87]
	s_and_b64 s[84:85], s[84:85], exec
                                        ; implicit-def: $vgpr9
.LBB199_43:                             ;   in Loop: Header=BB199_39 Depth=3
	s_andn2_saveexec_b64 s[86:87], s[34:35]
	s_cbranch_execz .LBB199_38
; %bb.44:                               ;   in Loop: Header=BB199_39 Depth=3
	v_subrev_u32_e32 v9, s73, v9
	v_lshlrev_b32_e32 v34, 2, v9
	ds_write_b32 v34, v59 offset:18432
	s_and_saveexec_b64 s[88:89], s[4:5]
	s_cbranch_execz .LBB199_37
; %bb.45:                               ;   in Loop: Header=BB199_39 Depth=3
	s_andn2_b64 vcc, exec, s[46:47]
	v_cmp_ne_u32_e64 s[34:35], 1, v60
	s_cbranch_vccnz .LBB199_50
; %bb.46:                               ;   in Loop: Header=BB199_39 Depth=3
	v_pk_mov_b32 v[34:35], 0, 0
	s_and_b64 vcc, exec, s[34:35]
	s_cbranch_vccnz .LBB199_49
; %bb.47:                               ;   in Loop: Header=BB199_39 Depth=3
	v_pk_mov_b32 v[36:37], v[28:29], v[28:29] op_sel:[0,1]
	s_mov_b32 s59, s58
	v_mov_b32_e32 v61, v54
.LBB199_48:                             ;   Parent Loop BB199_13 Depth=1
                                        ;     Parent Loop BB199_26 Depth=2
                                        ;       Parent Loop BB199_39 Depth=3
                                        ; =>      This Inner Loop Header: Depth=4
	global_load_dwordx2 v[62:63], v[36:37], off
	ds_read_b64 v[64:65], v61
	s_add_i32 s59, s59, -1
	v_add_co_u32_e32 v36, vcc, 8, v36
	v_add_u32_e32 v61, 32, v61
	v_addc_co_u32_e32 v37, vcc, 0, v37, vcc
	s_cmp_lg_u32 s59, 0
	s_waitcnt vmcnt(0) lgkmcnt(0)
	v_fmac_f64_e32 v[34:35], v[64:65], v[62:63]
	s_cbranch_scc1 .LBB199_48
.LBB199_49:                             ;   in Loop: Header=BB199_39 Depth=3
	s_cbranch_execnz .LBB199_36
	s_branch .LBB199_51
.LBB199_50:                             ;   in Loop: Header=BB199_39 Depth=3
                                        ; implicit-def: $vgpr34_vgpr35
.LBB199_51:                             ;   in Loop: Header=BB199_39 Depth=3
	v_pk_mov_b32 v[34:35], 0, 0
	s_and_b64 vcc, exec, s[34:35]
	s_cbranch_vccnz .LBB199_36
; %bb.52:                               ;   in Loop: Header=BB199_39 Depth=3
	v_mov_b32_e32 v61, v55
	v_pk_mov_b32 v[36:37], v[30:31], v[30:31] op_sel:[0,1]
	s_mov_b32 s34, s58
.LBB199_53:                             ;   Parent Loop BB199_13 Depth=1
                                        ;     Parent Loop BB199_26 Depth=2
                                        ;       Parent Loop BB199_39 Depth=3
                                        ; =>      This Inner Loop Header: Depth=4
	global_load_dwordx2 v[62:63], v[36:37], off
	ds_read_b64 v[64:65], v61
	s_add_i32 s34, s34, -1
	v_mov_b32_e32 v66, s75
	v_add_co_u32_e32 v36, vcc, s74, v36
	v_add_u32_e32 v61, 8, v61
	v_addc_co_u32_e32 v37, vcc, v37, v66, vcc
	s_cmp_eq_u32 s34, 0
	s_waitcnt vmcnt(0) lgkmcnt(0)
	v_fmac_f64_e32 v[34:35], v[64:65], v[62:63]
	s_cbranch_scc0 .LBB199_53
	s_branch .LBB199_36
.LBB199_54:                             ;   in Loop: Header=BB199_26 Depth=2
	s_or_b64 exec, exec, s[82:83]
	v_pk_mov_b32 v[24:25], v[32:33], v[32:33] op_sel:[0,1]
.LBB199_55:                             ;   in Loop: Header=BB199_26 Depth=2
	s_or_b64 exec, exec, s[80:81]
.LBB199_56:                             ;   in Loop: Header=BB199_26 Depth=2
	s_or_b64 exec, exec, s[78:79]
	s_waitcnt lgkmcnt(0)
	s_barrier
	s_and_saveexec_b64 s[34:35], s[30:31]
	s_cbranch_execz .LBB199_25
; %bb.57:                               ;   in Loop: Header=BB199_26 Depth=2
	v_lshlrev_b64 v[22:23], 3, v[22:23]
	v_mov_b32_e32 v9, s71
	v_add_co_u32_e32 v22, vcc, s70, v22
	v_addc_co_u32_e32 v23, vcc, v9, v23, vcc
	global_store_dwordx2 v[22:23], v[24:25], off
	s_branch .LBB199_25
.LBB199_58:                             ;   in Loop: Header=BB199_26 Depth=2
                                        ; implicit-def: $vgpr24_vgpr25
	s_branch .LBB199_33
.LBB199_59:                             ;   in Loop: Header=BB199_13 Depth=1
	s_andn2_b64 vcc, exec, s[64:65]
	s_cbranch_vccnz .LBB199_71
; %bb.60:                               ;   in Loop: Header=BB199_13 Depth=1
	s_load_dwordx4 s[40:43], s[36:37], 0x0
	s_waitcnt lgkmcnt(0)
	s_sub_u32 s42, s42, s56
	v_mov_b32_e32 v9, s41
	v_add_co_u32_e32 v26, vcc, s40, v43
	s_subb_u32 s43, s43, 0
	v_addc_co_u32_e32 v27, vcc, v9, v44, vcc
	v_cmp_gt_i64_e32 vcc, s[42:43], v[26:27]
	s_and_saveexec_b64 s[78:79], vcc
	s_cbranch_execz .LBB199_70
; %bb.61:                               ;   in Loop: Header=BB199_13 Depth=1
	v_lshlrev_b64 v[22:23], 2, v[26:27]
	v_mov_b32_e32 v9, s39
	v_add_co_u32_e32 v22, vcc, s38, v22
	v_addc_co_u32_e32 v23, vcc, v9, v23, vcc
	v_mad_u64_u32 v[24:25], s[30:31], s60, v26, v[12:13]
	v_mul_lo_u32 v9, s60, v27
	v_mul_lo_u32 v26, s61, v26
	v_add3_u32 v25, v26, v25, v9
	v_mov_b32_e32 v9, s41
	v_add_co_u32_e32 v26, vcc, s40, v56
	v_addc_co_u32_e32 v27, vcc, v57, v9, vcc
	s_mov_b64 s[40:41], 0
	s_branch .LBB199_64
.LBB199_62:                             ;   in Loop: Header=BB199_64 Depth=2
	s_or_b64 exec, exec, s[80:81]
	s_or_b64 s[30:31], s[30:31], exec
.LBB199_63:                             ;   in Loop: Header=BB199_64 Depth=2
	s_or_b64 exec, exec, s[34:35]
	v_cmp_le_i64_e32 vcc, s[42:43], v[26:27]
	s_xor_b64 s[30:31], s[30:31], -1
	s_or_b64 s[30:31], s[30:31], vcc
	v_add_co_u32_e32 v22, vcc, 64, v22
	v_addc_co_u32_e32 v23, vcc, 0, v23, vcc
	v_mov_b32_e32 v9, s77
	v_add_co_u32_e32 v24, vcc, s76, v24
	v_addc_co_u32_e32 v25, vcc, v25, v9, vcc
	s_and_b64 s[30:31], exec, s[30:31]
	v_add_co_u32_e32 v26, vcc, 16, v26
	s_or_b64 s[40:41], s[30:31], s[40:41]
	v_addc_co_u32_e32 v27, vcc, 0, v27, vcc
	s_andn2_b64 exec, exec, s[40:41]
	s_cbranch_execz .LBB199_69
.LBB199_64:                             ;   Parent Loop BB199_13 Depth=1
                                        ; =>  This Inner Loop Header: Depth=2
	global_load_dword v9, v[22:23], off
	s_waitcnt vmcnt(0)
	v_subrev_u32_e32 v9, s55, v9
	v_cmp_gt_i32_e64 s[30:31], s73, v9
	v_cmp_ge_i32_e64 s[34:35], v9, v0
	v_cmp_lt_i32_e32 vcc, v9, v0
	s_or_b64 s[34:35], s[30:31], s[34:35]
                                        ; implicit-def: $sgpr30_sgpr31
	s_and_saveexec_b64 s[80:81], s[34:35]
	s_xor_b64 s[34:35], exec, s[80:81]
; %bb.65:                               ;   in Loop: Header=BB199_64 Depth=2
	v_min_i32_e32 v9, v9, v7
	v_cndmask_b32_e32 v7, v9, v7, vcc
	s_and_b64 s[30:31], vcc, exec
                                        ; implicit-def: $vgpr9
; %bb.66:                               ;   in Loop: Header=BB199_64 Depth=2
	s_andn2_saveexec_b64 s[34:35], s[34:35]
	s_cbranch_execz .LBB199_63
; %bb.67:                               ;   in Loop: Header=BB199_64 Depth=2
	v_subrev_u32_e32 v9, s73, v9
	v_lshlrev_b32_e32 v28, 2, v9
	ds_write_b32 v28, v59 offset:18432
	s_and_saveexec_b64 s[80:81], s[4:5]
	s_cbranch_execz .LBB199_62
; %bb.68:                               ;   in Loop: Header=BB199_64 Depth=2
	global_load_dwordx2 v[28:29], v[24:25], off
	v_lshlrev_b32_e32 v9, 4, v9
	v_or3_b32 v9, v9, v42, v11
	v_lshlrev_b32_e32 v9, 3, v9
	s_waitcnt vmcnt(0)
	v_mul_f64 v[28:29], v[4:5], v[28:29]
	ds_add_f64 v9, v[28:29]
	s_branch .LBB199_62
.LBB199_69:                             ;   in Loop: Header=BB199_13 Depth=1
	s_or_b64 exec, exec, s[40:41]
.LBB199_70:                             ;   in Loop: Header=BB199_13 Depth=1
	s_or_b64 exec, exec, s[78:79]
.LBB199_71:                             ;   in Loop: Header=BB199_13 Depth=1
	s_and_saveexec_b64 s[30:31], s[6:7]
	s_cbranch_execz .LBB199_76
; %bb.72:                               ;   in Loop: Header=BB199_13 Depth=1
	s_mov_b64 s[34:35], exec
	s_brev_b32 s40, -2
.LBB199_73:                             ;   Parent Loop BB199_13 Depth=1
                                        ; =>  This Inner Loop Header: Depth=2
	s_ff1_i32_b64 s41, s[34:35]
	v_readlane_b32 s59, v7, s41
	s_lshl_b64 s[42:43], 1, s41
	s_min_i32 s40, s40, s59
	s_andn2_b64 s[34:35], s[34:35], s[42:43]
	s_cmp_lg_u64 s[34:35], 0
	s_cbranch_scc1 .LBB199_73
; %bb.74:                               ;   in Loop: Header=BB199_13 Depth=1
	v_mbcnt_lo_u32_b32 v0, exec_lo, 0
	v_mbcnt_hi_u32_b32 v0, exec_hi, v0
	v_cmp_eq_u32_e32 vcc, 0, v0
	s_and_saveexec_b64 s[34:35], vcc
	s_xor_b64 s[34:35], exec, s[34:35]
	s_cbranch_execz .LBB199_76
; %bb.75:                               ;   in Loop: Header=BB199_13 Depth=1
	v_mov_b32_e32 v0, s40
	ds_min_i32 v8, v0 offset:18944
.LBB199_76:                             ;   in Loop: Header=BB199_13 Depth=1
	s_or_b64 exec, exec, s[30:31]
	s_waitcnt lgkmcnt(0)
	s_barrier
	ds_read_b32 v0, v45
	s_waitcnt lgkmcnt(0)
	s_barrier
	s_and_saveexec_b64 s[30:31], s[10:11]
	s_cbranch_execz .LBB199_78
; %bb.77:                               ;   in Loop: Header=BB199_13 Depth=1
	ds_read_b32 v7, v46
	s_waitcnt lgkmcnt(0)
	v_add_u32_e32 v0, v7, v0
.LBB199_78:                             ;   in Loop: Header=BB199_13 Depth=1
	s_or_b64 exec, exec, s[30:31]
	s_barrier
	ds_write_b32 v45, v0
	s_waitcnt lgkmcnt(0)
	s_barrier
	s_and_saveexec_b64 s[30:31], s[12:13]
	s_cbranch_execz .LBB199_80
; %bb.79:                               ;   in Loop: Header=BB199_13 Depth=1
	ds_read_b32 v7, v48
	s_waitcnt lgkmcnt(0)
	v_add_u32_e32 v0, v7, v0
.LBB199_80:                             ;   in Loop: Header=BB199_13 Depth=1
	s_or_b64 exec, exec, s[30:31]
	s_barrier
	ds_write_b32 v45, v0
	;; [unrolled: 12-line block ×7, first 2 shown]
	s_waitcnt lgkmcnt(0)
	s_barrier
	ds_read_b32 v9, v8 offset:18940
	v_mov_b32_e32 v7, 0
	s_and_saveexec_b64 s[30:31], s[8:9]
	s_cbranch_execz .LBB199_92
; %bb.91:                               ;   in Loop: Header=BB199_13 Depth=1
	ds_read_b32 v7, v46
.LBB199_92:                             ;   in Loop: Header=BB199_13 Depth=1
	s_or_b64 exec, exec, s[30:31]
	s_waitcnt lgkmcnt(0)
	v_cmp_eq_u32_e32 vcc, v0, v7
	s_and_b64 s[34:35], s[8:9], vcc
	s_barrier
	s_and_saveexec_b64 s[30:31], s[34:35]
	s_cbranch_execz .LBB199_94
; %bb.93:                               ;   in Loop: Header=BB199_13 Depth=1
	ds_write_b32 v45, v8
.LBB199_94:                             ;   in Loop: Header=BB199_13 Depth=1
	s_or_b64 exec, exec, s[30:31]
	v_add_co_u32_e32 v22, vcc, -1, v18
	v_addc_co_u32_e32 v23, vcc, -1, v19, vcc
	s_add_i32 s40, s54, s73
	s_mov_b64 s[30:31], 0
	v_mov_b32_e32 v24, v58
	v_mov_b32_e32 v25, v38
	;; [unrolled: 1-line block ×3, first 2 shown]
	s_waitcnt lgkmcnt(0)
	s_barrier
	s_branch .LBB199_96
.LBB199_95:                             ;   in Loop: Header=BB199_96 Depth=2
	s_or_b64 exec, exec, s[34:35]
	v_add_u32_e32 v0, 16, v26
	v_cmp_lt_u32_e32 vcc, s29, v26
	v_add_u32_e32 v25, 0x800, v25
	v_add_u32_e32 v24, 64, v24
	s_or_b64 s[30:31], vcc, s[30:31]
	v_mov_b32_e32 v26, v0
	s_andn2_b64 exec, exec, s[30:31]
	s_cbranch_execz .LBB199_12
.LBB199_96:                             ;   Parent Loop BB199_13 Depth=1
                                        ; =>  This Inner Loop Header: Depth=2
	ds_read_b32 v0, v24
	s_waitcnt lgkmcnt(0)
	v_cmp_ne_u32_e32 vcc, 0, v0
	s_and_saveexec_b64 s[34:35], vcc
	s_cbranch_execz .LBB199_95
; %bb.97:                               ;   in Loop: Header=BB199_96 Depth=2
	v_ashrrev_i32_e32 v7, 31, v0
	v_add_co_u32_e32 v28, vcc, v18, v0
	v_addc_co_u32_e32 v29, vcc, v19, v7, vcc
	v_lshlrev_b64 v[28:29], 2, v[28:29]
	v_mov_b32_e32 v30, s28
	v_add_co_u32_e32 v28, vcc, s95, v28
	v_add_u32_e32 v27, s40, v26
	v_addc_co_u32_e32 v29, vcc, v30, v29, vcc
	global_store_dword v[28:29], v27, off
	s_and_b64 exec, exec, s[4:5]
	s_cbranch_execz .LBB199_95
; %bb.98:                               ;   in Loop: Header=BB199_96 Depth=2
	v_add_co_u32_e32 v0, vcc, v22, v0
	v_mad_u64_u32 v[30:31], s[42:43], v0, s72, 0
	v_addc_co_u32_e32 v7, vcc, v23, v7, vcc
	v_mov_b32_e32 v0, v31
	ds_read_b64 v[28:29], v25
	v_mad_u64_u32 v[32:33], s[42:43], v7, s72, v[0:1]
	v_mov_b32_e32 v31, v32
	v_lshlrev_b64 v[30:31], 3, v[30:31]
	v_add_co_u32_e32 v30, vcc, v10, v30
	v_addc_co_u32_e32 v31, vcc, v1, v31, vcc
	s_waitcnt lgkmcnt(0)
	global_store_dwordx2 v[30:31], v[28:29], off
	s_branch .LBB199_95
.LBB199_99:
	s_endpgm
	.section	.rodata,"a",@progbits
	.p2align	6, 0x0
	.amdhsa_kernel _ZN9rocsparseL38bsrgemm_block_per_row_atomic_multipassILj256ELj128ELj4ElidEEv20rocsparse_direction_T3_S2_PKS2_S4_NS_24const_host_device_scalarIT4_EEPKT2_S4_PKS6_SA_S4_SC_S7_SA_S4_SC_SA_PS2_PS6_PS8_21rocsparse_index_base_SG_SG_SG_bbb
		.amdhsa_group_segment_fixed_size 18952
		.amdhsa_private_segment_fixed_size 0
		.amdhsa_kernarg_size 172
		.amdhsa_user_sgpr_count 6
		.amdhsa_user_sgpr_private_segment_buffer 1
		.amdhsa_user_sgpr_dispatch_ptr 0
		.amdhsa_user_sgpr_queue_ptr 0
		.amdhsa_user_sgpr_kernarg_segment_ptr 1
		.amdhsa_user_sgpr_dispatch_id 0
		.amdhsa_user_sgpr_flat_scratch_init 0
		.amdhsa_user_sgpr_kernarg_preload_length 0
		.amdhsa_user_sgpr_kernarg_preload_offset 0
		.amdhsa_user_sgpr_private_segment_size 0
		.amdhsa_uses_dynamic_stack 0
		.amdhsa_system_sgpr_private_segment_wavefront_offset 0
		.amdhsa_system_sgpr_workgroup_id_x 1
		.amdhsa_system_sgpr_workgroup_id_y 0
		.amdhsa_system_sgpr_workgroup_id_z 0
		.amdhsa_system_sgpr_workgroup_info 0
		.amdhsa_system_vgpr_workitem_id 0
		.amdhsa_next_free_vgpr 68
		.amdhsa_next_free_sgpr 96
		.amdhsa_accum_offset 68
		.amdhsa_reserve_vcc 1
		.amdhsa_reserve_flat_scratch 0
		.amdhsa_float_round_mode_32 0
		.amdhsa_float_round_mode_16_64 0
		.amdhsa_float_denorm_mode_32 3
		.amdhsa_float_denorm_mode_16_64 3
		.amdhsa_dx10_clamp 1
		.amdhsa_ieee_mode 1
		.amdhsa_fp16_overflow 0
		.amdhsa_tg_split 0
		.amdhsa_exception_fp_ieee_invalid_op 0
		.amdhsa_exception_fp_denorm_src 0
		.amdhsa_exception_fp_ieee_div_zero 0
		.amdhsa_exception_fp_ieee_overflow 0
		.amdhsa_exception_fp_ieee_underflow 0
		.amdhsa_exception_fp_ieee_inexact 0
		.amdhsa_exception_int_div_zero 0
	.end_amdhsa_kernel
	.section	.text._ZN9rocsparseL38bsrgemm_block_per_row_atomic_multipassILj256ELj128ELj4ElidEEv20rocsparse_direction_T3_S2_PKS2_S4_NS_24const_host_device_scalarIT4_EEPKT2_S4_PKS6_SA_S4_SC_S7_SA_S4_SC_SA_PS2_PS6_PS8_21rocsparse_index_base_SG_SG_SG_bbb,"axG",@progbits,_ZN9rocsparseL38bsrgemm_block_per_row_atomic_multipassILj256ELj128ELj4ElidEEv20rocsparse_direction_T3_S2_PKS2_S4_NS_24const_host_device_scalarIT4_EEPKT2_S4_PKS6_SA_S4_SC_S7_SA_S4_SC_SA_PS2_PS6_PS8_21rocsparse_index_base_SG_SG_SG_bbb,comdat
.Lfunc_end199:
	.size	_ZN9rocsparseL38bsrgemm_block_per_row_atomic_multipassILj256ELj128ELj4ElidEEv20rocsparse_direction_T3_S2_PKS2_S4_NS_24const_host_device_scalarIT4_EEPKT2_S4_PKS6_SA_S4_SC_S7_SA_S4_SC_SA_PS2_PS6_PS8_21rocsparse_index_base_SG_SG_SG_bbb, .Lfunc_end199-_ZN9rocsparseL38bsrgemm_block_per_row_atomic_multipassILj256ELj128ELj4ElidEEv20rocsparse_direction_T3_S2_PKS2_S4_NS_24const_host_device_scalarIT4_EEPKT2_S4_PKS6_SA_S4_SC_S7_SA_S4_SC_SA_PS2_PS6_PS8_21rocsparse_index_base_SG_SG_SG_bbb
                                        ; -- End function
	.section	.AMDGPU.csdata,"",@progbits
; Kernel info:
; codeLenInByte = 3560
; NumSgprs: 100
; NumVgprs: 68
; NumAgprs: 0
; TotalNumVgprs: 68
; ScratchSize: 0
; MemoryBound: 0
; FloatMode: 240
; IeeeMode: 1
; LDSByteSize: 18952 bytes/workgroup (compile time only)
; SGPRBlocks: 12
; VGPRBlocks: 8
; NumSGPRsForWavesPerEU: 100
; NumVGPRsForWavesPerEU: 68
; AccumOffset: 68
; Occupancy: 3
; WaveLimiterHint : 1
; COMPUTE_PGM_RSRC2:SCRATCH_EN: 0
; COMPUTE_PGM_RSRC2:USER_SGPR: 6
; COMPUTE_PGM_RSRC2:TRAP_HANDLER: 0
; COMPUTE_PGM_RSRC2:TGID_X_EN: 1
; COMPUTE_PGM_RSRC2:TGID_Y_EN: 0
; COMPUTE_PGM_RSRC2:TGID_Z_EN: 0
; COMPUTE_PGM_RSRC2:TIDIG_COMP_CNT: 0
; COMPUTE_PGM_RSRC3_GFX90A:ACCUM_OFFSET: 16
; COMPUTE_PGM_RSRC3_GFX90A:TG_SPLIT: 0
	.section	.text._ZN9rocsparseL23bsrgemm_fill_wf_per_rowILj256ELj64ELj8ELj137ELj8ElidEEv20rocsparse_direction_T5_S2_S2_PKS2_S4_NS_24const_host_device_scalarIT6_EEPKT4_S4_PKS6_SA_S4_SC_S7_SA_S4_SC_SA_PS2_PS6_21rocsparse_index_base_SF_SF_SF_bbb,"axG",@progbits,_ZN9rocsparseL23bsrgemm_fill_wf_per_rowILj256ELj64ELj8ELj137ELj8ElidEEv20rocsparse_direction_T5_S2_S2_PKS2_S4_NS_24const_host_device_scalarIT6_EEPKT4_S4_PKS6_SA_S4_SC_S7_SA_S4_SC_SA_PS2_PS6_21rocsparse_index_base_SF_SF_SF_bbb,comdat
	.globl	_ZN9rocsparseL23bsrgemm_fill_wf_per_rowILj256ELj64ELj8ELj137ELj8ElidEEv20rocsparse_direction_T5_S2_S2_PKS2_S4_NS_24const_host_device_scalarIT6_EEPKT4_S4_PKS6_SA_S4_SC_S7_SA_S4_SC_SA_PS2_PS6_21rocsparse_index_base_SF_SF_SF_bbb ; -- Begin function _ZN9rocsparseL23bsrgemm_fill_wf_per_rowILj256ELj64ELj8ELj137ELj8ElidEEv20rocsparse_direction_T5_S2_S2_PKS2_S4_NS_24const_host_device_scalarIT6_EEPKT4_S4_PKS6_SA_S4_SC_S7_SA_S4_SC_SA_PS2_PS6_21rocsparse_index_base_SF_SF_SF_bbb
	.p2align	8
	.type	_ZN9rocsparseL23bsrgemm_fill_wf_per_rowILj256ELj64ELj8ELj137ELj8ElidEEv20rocsparse_direction_T5_S2_S2_PKS2_S4_NS_24const_host_device_scalarIT6_EEPKT4_S4_PKS6_SA_S4_SC_S7_SA_S4_SC_SA_PS2_PS6_21rocsparse_index_base_SF_SF_SF_bbb,@function
_ZN9rocsparseL23bsrgemm_fill_wf_per_rowILj256ELj64ELj8ELj137ELj8ElidEEv20rocsparse_direction_T5_S2_S2_PKS2_S4_NS_24const_host_device_scalarIT6_EEPKT4_S4_PKS6_SA_S4_SC_S7_SA_S4_SC_SA_PS2_PS6_21rocsparse_index_base_SF_SF_SF_bbb: ; @_ZN9rocsparseL23bsrgemm_fill_wf_per_rowILj256ELj64ELj8ELj137ELj8ElidEEv20rocsparse_direction_T5_S2_S2_PKS2_S4_NS_24const_host_device_scalarIT6_EEPKT4_S4_PKS6_SA_S4_SC_S7_SA_S4_SC_SA_PS2_PS6_21rocsparse_index_base_SF_SF_SF_bbb
; %bb.0:
	s_load_dword s7, s[4:5], 0xa0
	s_load_dwordx2 s[10:11], s[4:5], 0x20
	s_load_dwordx2 s[2:3], s[4:5], 0x58
	s_waitcnt lgkmcnt(0)
	s_and_b32 s0, 1, s7
	s_bitcmp1_b32 s7, 16
	s_cselect_b64 s[8:9], -1, 0
	s_cmp_eq_u32 s0, 1
	s_cselect_b64 s[0:1], -1, 0
	s_and_b64 s[12:13], s[0:1], exec
	s_cselect_b32 s13, s11, 0
	s_cselect_b32 s12, s10, 0
	s_xor_b64 s[14:15], s[0:1], -1
	s_or_b64 s[14:15], s[14:15], s[8:9]
	s_and_b64 vcc, exec, s[14:15]
	v_pk_mov_b32 v[10:11], s[12:13], s[12:13] op_sel:[0,1]
	s_cbranch_vccnz .LBB200_2
; %bb.1:
	v_pk_mov_b32 v[2:3], s[10:11], s[10:11] op_sel:[0,1]
	flat_load_dwordx2 v[10:11], v[2:3]
.LBB200_2:
	s_bitcmp1_b32 s7, 8
	s_load_dwordx4 s[36:39], s[4:5], 0x90
	s_cselect_b64 s[34:35], -1, 0
	s_and_b64 s[10:11], s[34:35], exec
	s_cselect_b32 s11, s3, 0
	s_cselect_b32 s10, s2, 0
	s_xor_b64 s[12:13], s[34:35], -1
	s_or_b64 s[8:9], s[12:13], s[8:9]
	s_and_b64 vcc, exec, s[8:9]
	v_pk_mov_b32 v[6:7], s[10:11], s[10:11] op_sel:[0,1]
	s_cbranch_vccnz .LBB200_4
; %bb.3:
	v_pk_mov_b32 v[2:3], s[2:3], s[2:3] op_sel:[0,1]
	flat_load_dwordx2 v[6:7], v[2:3]
.LBB200_4:
	s_load_dwordx4 s[40:43], s[4:5], 0x80
	s_load_dwordx8 s[16:23], s[4:5], 0x60
	s_load_dwordx4 s[44:47], s[4:5], 0x48
	s_load_dwordx8 s[8:15], s[4:5], 0x0
	s_load_dwordx8 s[24:31], s[4:5], 0x28
	v_and_b32_e32 v40, 63, v0
	v_lshrrev_b32_e32 v35, 6, v0
	v_mov_b32_e32 v1, 0x4000
	v_lshl_or_b32 v34, v35, 5, v1
	v_cmp_gt_u32_e32 vcc, 8, v40
	s_and_saveexec_b64 s[2:3], vcc
	s_cbranch_execz .LBB200_6
; %bb.5:
	v_lshl_add_u32 v1, v40, 2, v34
	s_waitcnt lgkmcnt(0)
	v_mov_b32_e32 v2, s10
	ds_write_b32 v1, v2
.LBB200_6:
	s_or_b64 exec, exec, s[2:3]
	v_lshlrev_b32_e32 v36, 12, v35
	v_mov_b32_e32 v2, 0
	v_or_b32_e32 v1, 0xffffffc0, v40
	v_lshl_or_b32 v4, v40, 3, v36
	s_mov_b64 s[2:3], 0
	v_mov_b32_e32 v3, v2
	s_movk_i32 s4, 0x1bf
.LBB200_7:                              ; =>This Inner Loop Header: Depth=1
	v_add_u32_e32 v1, 64, v1
	v_cmp_lt_u32_e32 vcc, s4, v1
	ds_write_b64 v4, v[2:3]
	s_or_b64 s[2:3], vcc, s[2:3]
	v_add_u32_e32 v4, 0x200, v4
	s_andn2_b64 exec, exec, s[2:3]
	s_cbranch_execnz .LBB200_7
; %bb.8:
	s_or_b64 exec, exec, s[2:3]
	v_lshl_or_b32 v2, s6, 2, v35
	s_waitcnt lgkmcnt(0)
	v_cmp_gt_i32_e32 vcc, s9, v2
	s_barrier
	s_and_saveexec_b64 s[2:3], vcc
	s_cbranch_execz .LBB200_64
; %bb.9:
	s_cmp_eq_u64 s[14:15], 0
	s_cbranch_scc1 .LBB200_11
; %bb.10:
	s_load_dword s2, s[12:13], 0x0
	v_mov_b32_e32 v1, s15
	s_waitcnt lgkmcnt(0)
	v_add_u32_e32 v2, s2, v2
	v_ashrrev_i32_e32 v3, 31, v2
	v_lshlrev_b64 v[2:3], 2, v[2:3]
	v_add_co_u32_e32 v2, vcc, s14, v2
	v_addc_co_u32_e32 v3, vcc, v1, v3, vcc
	global_load_dword v2, v[2:3], off
.LBB200_11:
	v_lshlrev_b32_e32 v1, 6, v0
	s_waitcnt vmcnt(0)
	v_ashrrev_i32_e32 v3, 31, v2
	v_and_b32_e32 v37, 7, v0
	v_lshrrev_b32_e32 v38, 3, v40
	v_and_b32_e32 v39, 0x3000, v1
	s_andn2_b64 vcc, exec, s[0:1]
	s_mul_i32 s6, s11, s11
	v_lshlrev_b64 v[8:9], 3, v[2:3]
	s_cbranch_vccnz .LBB200_41
; %bb.12:
	v_mov_b32_e32 v1, s25
	v_add_co_u32_e32 v2, vcc, s24, v8
	v_addc_co_u32_e32 v3, vcc, v1, v9, vcc
	global_load_dwordx4 v[2:5], v[2:3], off
	s_waitcnt vmcnt(0)
	v_cmp_lt_i64_e32 vcc, v[2:3], v[4:5]
	s_and_saveexec_b64 s[12:13], vcc
	s_cbranch_execz .LBB200_40
; %bb.13:
	v_subrev_co_u32_e32 v12, vcc, s36, v4
	v_subbrev_co_u32_e32 v13, vcc, 0, v5, vcc
	v_subrev_co_u32_e32 v14, vcc, s36, v2
	v_subbrev_co_u32_e32 v15, vcc, 0, v3, vcc
	v_mul_lo_u32 v2, v37, s11
	v_mov_b32_e32 v3, 0
	v_max_i32_e32 v1, v37, v38
	v_mov_b32_e32 v5, v3
	v_lshlrev_b64 v[2:3], 3, v[2:3]
	v_cmp_gt_i32_e64 s[0:1], s11, v1
	v_mov_b32_e32 v1, s47
	v_add_co_u32_e32 v16, vcc, s46, v2
	v_addc_co_u32_e32 v17, vcc, v1, v3, vcc
	v_mad_u64_u32 v[2:3], s[24:25], v14, s6, 0
	v_mov_b32_e32 v18, v3
	v_mad_u64_u32 v[18:19], s[24:25], v15, s6, v[18:19]
	v_mov_b32_e32 v3, v18
	v_lshlrev_b64 v[2:3], 3, v[2:3]
	v_lshlrev_b32_e32 v18, 3, v38
	v_add_co_u32_e32 v18, vcc, v2, v18
	v_addc_co_u32_e32 v19, vcc, 0, v3, vcc
	v_mov_b32_e32 v23, s29
	v_add_co_u32_e32 v18, vcc, s28, v18
	v_addc_co_u32_e32 v19, vcc, v23, v19, vcc
	v_lshlrev_b32_e32 v20, 3, v37
	v_mul_lo_u32 v4, v38, s11
	v_add_co_u32_e32 v20, vcc, s46, v20
	v_addc_co_u32_e32 v21, vcc, 0, v1, vcc
	v_lshlrev_b64 v[4:5], 3, v[4:5]
	v_add_co_u32_e32 v1, vcc, v2, v4
	s_cmp_lg_u32 s8, 0
	v_addc_co_u32_e32 v2, vcc, v3, v5, vcc
	s_mov_b32 s9, 0
	s_cselect_b64 s[2:3], -1, 0
	s_cmp_gt_i32 s11, 0
	v_add_co_u32_e32 v22, vcc, s28, v1
	s_cselect_b64 s[4:5], -1, 0
	s_mov_b32 s24, s11
	s_mov_b32 s25, s9
	v_addc_co_u32_e32 v23, vcc, v23, v2, vcc
	v_cndmask_b32_e64 v2, 0, 1, s[2:3]
	s_mov_b32 s7, s9
	s_lshl_b64 s[24:25], s[24:25], 3
	v_cmp_ne_u32_e64 s[2:3], 1, v2
	v_cndmask_b32_e64 v2, 0, 1, s[4:5]
	s_mov_b32 s33, s37
	s_lshl_b64 s[14:15], s[6:7], 3
	s_mov_b64 s[28:29], 0
	v_mov_b32_e32 v1, s27
	v_mov_b32_e32 v41, s31
	v_cmp_ne_u32_e64 s[4:5], 1, v2
	v_mov_b32_e32 v42, s25
	v_lshlrev_b32_e32 v43, 3, v40
	s_branch .LBB200_15
.LBB200_14:                             ;   in Loop: Header=BB200_15 Depth=1
	s_or_b64 exec, exec, s[46:47]
	v_add_co_u32_e32 v14, vcc, 1, v14
	v_addc_co_u32_e32 v15, vcc, 0, v15, vcc
	v_mov_b32_e32 v2, s15
	v_add_co_u32_e32 v18, vcc, s14, v18
	v_addc_co_u32_e32 v19, vcc, v19, v2, vcc
	v_cmp_ge_i64_e32 vcc, v[14:15], v[12:13]
	s_or_b64 s[28:29], vcc, s[28:29]
	v_add_co_u32_e32 v22, vcc, s14, v22
	v_addc_co_u32_e32 v23, vcc, v23, v2, vcc
	s_andn2_b64 exec, exec, s[28:29]
	s_cbranch_execz .LBB200_40
.LBB200_15:                             ; =>This Loop Header: Depth=1
                                        ;     Child Loop BB200_18 Depth 2
                                        ;       Child Loop BB200_22 Depth 3
                                        ;       Child Loop BB200_27 Depth 3
	;; [unrolled: 1-line block ×3, first 2 shown]
	v_lshlrev_b64 v[2:3], 2, v[14:15]
	v_add_co_u32_e32 v2, vcc, s26, v2
	v_addc_co_u32_e32 v3, vcc, v1, v3, vcc
	global_load_dword v2, v[2:3], off
	s_waitcnt vmcnt(0)
	v_subrev_u32_e32 v2, s36, v2
	v_ashrrev_i32_e32 v3, 31, v2
	v_lshlrev_b64 v[2:3], 3, v[2:3]
	v_add_co_u32_e32 v2, vcc, s30, v2
	v_addc_co_u32_e32 v3, vcc, v41, v3, vcc
	global_load_dwordx4 v[2:5], v[2:3], off
	s_waitcnt vmcnt(0)
	v_cmp_lt_i64_e32 vcc, v[2:3], v[4:5]
	s_and_saveexec_b64 s[46:47], vcc
	s_cbranch_execz .LBB200_14
; %bb.16:                               ;   in Loop: Header=BB200_15 Depth=1
	v_mov_b32_e32 v24, s9
	v_subrev_co_u32_e32 v4, vcc, s33, v4
	v_subb_co_u32_e32 v5, vcc, v5, v24, vcc
	v_subrev_co_u32_e32 v2, vcc, s33, v2
	v_subb_co_u32_e32 v3, vcc, v3, v24, vcc
	v_mad_u64_u32 v[24:25], s[48:49], s14, v2, v[16:17]
	v_mul_lo_u32 v28, s14, v3
	v_mul_lo_u32 v29, s15, v2
	v_mad_u64_u32 v[26:27], s[48:49], s14, v2, v[20:21]
	v_add3_u32 v25, v29, v25, v28
	v_add3_u32 v27, v29, v27, v28
	s_mov_b64 s[48:49], 0
	s_branch .LBB200_18
.LBB200_17:                             ;   in Loop: Header=BB200_18 Depth=2
	s_or_b64 exec, exec, s[50:51]
	v_add_co_u32_e32 v2, vcc, 1, v2
	v_addc_co_u32_e32 v3, vcc, 0, v3, vcc
	v_mov_b32_e32 v28, s15
	v_add_co_u32_e32 v24, vcc, s14, v24
	v_addc_co_u32_e32 v25, vcc, v25, v28, vcc
	v_cmp_ge_i64_e32 vcc, v[2:3], v[4:5]
	s_or_b64 s[48:49], vcc, s[48:49]
	v_add_co_u32_e32 v26, vcc, s14, v26
	v_addc_co_u32_e32 v27, vcc, v27, v28, vcc
	s_andn2_b64 exec, exec, s[48:49]
	s_cbranch_execz .LBB200_14
.LBB200_18:                             ;   Parent Loop BB200_15 Depth=1
                                        ; =>  This Loop Header: Depth=2
                                        ;       Child Loop BB200_22 Depth 3
                                        ;       Child Loop BB200_27 Depth 3
	;; [unrolled: 1-line block ×3, first 2 shown]
	s_and_saveexec_b64 s[50:51], s[0:1]
	s_cbranch_execz .LBB200_17
; %bb.19:                               ;   in Loop: Header=BB200_18 Depth=2
	v_lshlrev_b64 v[28:29], 2, v[2:3]
	v_mov_b32_e32 v30, s45
	v_add_co_u32_e32 v28, vcc, s44, v28
	v_addc_co_u32_e32 v29, vcc, v30, v29, vcc
	global_load_dword v44, v[28:29], off
	s_and_b64 vcc, exec, s[2:3]
	s_cbranch_vccnz .LBB200_24
; %bb.20:                               ;   in Loop: Header=BB200_18 Depth=2
	v_pk_mov_b32 v[28:29], 0, 0
	s_and_b64 vcc, exec, s[4:5]
	s_cbranch_vccnz .LBB200_23
; %bb.21:                               ;   in Loop: Header=BB200_18 Depth=2
	v_pk_mov_b32 v[30:31], v[18:19], v[18:19] op_sel:[0,1]
	v_pk_mov_b32 v[32:33], v[24:25], v[24:25] op_sel:[0,1]
	s_mov_b32 s7, s11
.LBB200_22:                             ;   Parent Loop BB200_15 Depth=1
                                        ;     Parent Loop BB200_18 Depth=2
                                        ; =>    This Inner Loop Header: Depth=3
	global_load_dwordx2 v[46:47], v[30:31], off
	global_load_dwordx2 v[48:49], v[32:33], off
	v_add_co_u32_e32 v32, vcc, 8, v32
	v_addc_co_u32_e32 v33, vcc, 0, v33, vcc
	s_add_i32 s7, s7, -1
	v_add_co_u32_e32 v30, vcc, s24, v30
	v_addc_co_u32_e32 v31, vcc, v31, v42, vcc
	s_cmp_lg_u32 s7, 0
	s_waitcnt vmcnt(0)
	v_fmac_f64_e32 v[28:29], v[46:47], v[48:49]
	s_cbranch_scc1 .LBB200_22
.LBB200_23:                             ;   in Loop: Header=BB200_18 Depth=2
	s_cbranch_execz .LBB200_25
	s_branch .LBB200_28
.LBB200_24:                             ;   in Loop: Header=BB200_18 Depth=2
                                        ; implicit-def: $vgpr28_vgpr29
.LBB200_25:                             ;   in Loop: Header=BB200_18 Depth=2
	v_pk_mov_b32 v[28:29], 0, 0
	s_and_b64 vcc, exec, s[4:5]
	s_cbranch_vccnz .LBB200_28
; %bb.26:                               ;   in Loop: Header=BB200_18 Depth=2
	v_pk_mov_b32 v[30:31], v[22:23], v[22:23] op_sel:[0,1]
	v_pk_mov_b32 v[32:33], v[26:27], v[26:27] op_sel:[0,1]
	s_mov_b32 s7, s11
.LBB200_27:                             ;   Parent Loop BB200_15 Depth=1
                                        ;     Parent Loop BB200_18 Depth=2
                                        ; =>    This Inner Loop Header: Depth=3
	global_load_dwordx2 v[46:47], v[30:31], off
	global_load_dwordx2 v[48:49], v[32:33], off
	v_add_co_u32_e32 v32, vcc, s24, v32
	v_addc_co_u32_e32 v33, vcc, v33, v42, vcc
	s_add_i32 s7, s7, -1
	v_add_co_u32_e32 v30, vcc, 8, v30
	v_addc_co_u32_e32 v31, vcc, 0, v31, vcc
	s_cmp_eq_u32 s7, 0
	s_waitcnt vmcnt(0)
	v_fmac_f64_e32 v[28:29], v[46:47], v[48:49]
	s_cbranch_scc0 .LBB200_27
.LBB200_28:                             ;   in Loop: Header=BB200_18 Depth=2
	s_waitcnt vmcnt(0)
	v_subrev_u32_e32 v30, s37, v44
	v_mul_f64 v[28:29], v[10:11], v[28:29]
	v_and_b32_e32 v31, 7, v30
	s_mov_b64 s[52:53], 0
	s_branch .LBB200_30
.LBB200_29:                             ;   in Loop: Header=BB200_30 Depth=3
	s_or_b64 exec, exec, s[54:55]
	s_xor_b64 s[54:55], s[56:57], -1
	s_and_b64 s[54:55], exec, s[54:55]
	s_or_b64 s[52:53], s[54:55], s[52:53]
	s_andn2_b64 exec, exec, s[52:53]
	s_cbranch_execz .LBB200_17
.LBB200_30:                             ;   Parent Loop BB200_15 Depth=1
                                        ;     Parent Loop BB200_18 Depth=2
                                        ; =>    This Inner Loop Header: Depth=3
	v_lshl_add_u32 v32, v31, 2, v34
	ds_read_b32 v33, v32
                                        ; implicit-def: $sgpr56_sgpr57
	s_waitcnt lgkmcnt(0)
	v_cmp_ne_u32_e32 vcc, v33, v30
	s_and_saveexec_b64 s[54:55], vcc
	s_xor_b64 s[54:55], exec, s[54:55]
	s_cbranch_execz .LBB200_38
; %bb.31:                               ;   in Loop: Header=BB200_30 Depth=3
	v_cmp_ne_u32_e32 vcc, s10, v33
                                        ; implicit-def: $sgpr56_sgpr57
	s_and_saveexec_b64 s[58:59], vcc
	s_xor_b64 s[58:59], exec, s[58:59]
; %bb.32:                               ;   in Loop: Header=BB200_30 Depth=3
	v_add_u32_e32 v31, 1, v31
	v_and_b32_e32 v31, 7, v31
	s_mov_b64 s[56:57], -1
                                        ; implicit-def: $vgpr32
; %bb.33:                               ;   in Loop: Header=BB200_30 Depth=3
	s_andn2_saveexec_b64 s[58:59], s[58:59]
	s_cbranch_execz .LBB200_37
; %bb.34:                               ;   in Loop: Header=BB200_30 Depth=3
	v_mov_b32_e32 v33, s10
	ds_cmpst_rtn_b32 v32, v32, v33, v30
	s_mov_b64 s[60:61], -1
	s_waitcnt lgkmcnt(0)
	v_cmp_eq_u32_e32 vcc, s10, v32
	s_and_saveexec_b64 s[62:63], vcc
	s_cbranch_execz .LBB200_36
; %bb.35:                               ;   in Loop: Header=BB200_30 Depth=3
	v_lshl_or_b32 v32, v31, 9, v43
	v_add_u32_e32 v32, v39, v32
	ds_add_f64 v32, v[28:29]
	s_xor_b64 s[60:61], exec, -1
.LBB200_36:                             ;   in Loop: Header=BB200_30 Depth=3
	s_or_b64 exec, exec, s[62:63]
	s_andn2_b64 s[56:57], s[56:57], exec
	s_and_b64 s[60:61], s[60:61], exec
	s_or_b64 s[56:57], s[56:57], s[60:61]
.LBB200_37:                             ;   in Loop: Header=BB200_30 Depth=3
	s_or_b64 exec, exec, s[58:59]
	s_and_b64 s[56:57], s[56:57], exec
.LBB200_38:                             ;   in Loop: Header=BB200_30 Depth=3
	s_andn2_saveexec_b64 s[54:55], s[54:55]
	s_cbranch_execz .LBB200_29
; %bb.39:                               ;   in Loop: Header=BB200_30 Depth=3
	v_lshl_or_b32 v32, v31, 9, v43
	v_add_u32_e32 v32, v39, v32
	ds_add_f64 v32, v[28:29]
	s_andn2_b64 s[56:57], s[56:57], exec
	s_branch .LBB200_29
.LBB200_40:
	s_or_b64 exec, exec, s[12:13]
.LBB200_41:
	s_andn2_b64 vcc, exec, s[34:35]
	s_waitcnt lgkmcnt(0)
	s_barrier
	s_cbranch_vccnz .LBB200_59
; %bb.42:
	v_mov_b32_e32 v1, s17
	v_add_co_u32_e32 v2, vcc, s16, v8
	v_addc_co_u32_e32 v3, vcc, v1, v9, vcc
	global_load_dwordx4 v[2:5], v[2:3], off
	s_waitcnt vmcnt(0)
	v_cmp_lt_i64_e32 vcc, v[2:3], v[4:5]
	s_and_saveexec_b64 s[2:3], vcc
	s_cbranch_execz .LBB200_58
; %bb.43:
	v_subrev_co_u32_e32 v4, vcc, s39, v4
	v_subbrev_co_u32_e32 v5, vcc, 0, v5, vcc
	v_subrev_co_u32_e32 v2, vcc, s39, v2
	v_mul_lo_u32 v10, v37, s11
	v_mov_b32_e32 v11, 0
	v_subbrev_co_u32_e32 v3, vcc, 0, v3, vcc
	v_max_i32_e32 v1, v37, v38
	v_lshlrev_b64 v[12:13], 3, v[10:11]
	v_cmp_gt_i32_e32 vcc, s11, v1
	v_mov_b32_e32 v1, s21
	v_add_co_u32_e64 v10, s[0:1], s20, v12
	v_addc_co_u32_e64 v12, s[0:1], v1, v13, s[0:1]
	v_lshlrev_b32_e32 v13, 3, v38
	v_add_co_u32_e64 v13, s[0:1], v10, v13
	v_mul_lo_u32 v10, v38, s11
	v_addc_co_u32_e64 v12, s[0:1], 0, v12, s[0:1]
	v_lshlrev_b64 v[10:11], 3, v[10:11]
	v_add_co_u32_e64 v10, s[0:1], s20, v10
	v_addc_co_u32_e64 v1, s[0:1], v1, v11, s[0:1]
	v_lshlrev_b32_e32 v11, 3, v37
	v_add_co_u32_e64 v10, s[0:1], v10, v11
	s_cmp_eq_u32 s8, 0
	v_addc_co_u32_e64 v1, s[0:1], 0, v1, s[0:1]
	s_cselect_b64 s[0:1], -1, 0
	v_cndmask_b32_e64 v1, v12, v1, s[0:1]
	v_cndmask_b32_e64 v10, v13, v10, s[0:1]
	s_mov_b64 s[4:5], 0
	v_lshlrev_b32_e32 v11, 3, v40
	s_branch .LBB200_45
.LBB200_44:                             ;   in Loop: Header=BB200_45 Depth=1
	s_or_b64 exec, exec, s[12:13]
	v_add_co_u32_e64 v2, s[0:1], 1, v2
	v_addc_co_u32_e64 v3, s[0:1], 0, v3, s[0:1]
	v_cmp_ge_i64_e64 s[0:1], v[2:3], v[4:5]
	s_or_b64 s[4:5], s[0:1], s[4:5]
	s_andn2_b64 exec, exec, s[4:5]
	s_cbranch_execz .LBB200_58
.LBB200_45:                             ; =>This Loop Header: Depth=1
                                        ;     Child Loop BB200_48 Depth 2
	s_and_saveexec_b64 s[12:13], vcc
	s_cbranch_execz .LBB200_44
; %bb.46:                               ;   in Loop: Header=BB200_45 Depth=1
	v_lshlrev_b64 v[12:13], 2, v[2:3]
	v_mov_b32_e32 v14, s19
	v_add_co_u32_e64 v12, s[0:1], s18, v12
	v_addc_co_u32_e64 v13, s[0:1], v14, v13, s[0:1]
	global_load_dword v16, v[12:13], off
	v_mad_u64_u32 v[12:13], s[0:1], v2, s6, 0
	v_mov_b32_e32 v14, v13
	v_mad_u64_u32 v[14:15], s[0:1], v3, s6, v[14:15]
	v_mov_b32_e32 v13, v14
	v_lshlrev_b64 v[12:13], 3, v[12:13]
	v_add_co_u32_e64 v12, s[0:1], v10, v12
	v_addc_co_u32_e64 v13, s[0:1], v1, v13, s[0:1]
	global_load_dwordx2 v[12:13], v[12:13], off
	s_mov_b64 s[14:15], 0
	s_waitcnt vmcnt(1)
	v_subrev_u32_e32 v14, s39, v16
	v_and_b32_e32 v15, 7, v14
	s_waitcnt vmcnt(0)
	v_mul_f64 v[12:13], v[6:7], v[12:13]
	s_branch .LBB200_48
.LBB200_47:                             ;   in Loop: Header=BB200_48 Depth=2
	s_or_b64 exec, exec, s[0:1]
	s_xor_b64 s[0:1], s[20:21], -1
	s_and_b64 s[0:1], exec, s[0:1]
	s_or_b64 s[14:15], s[0:1], s[14:15]
	s_andn2_b64 exec, exec, s[14:15]
	s_cbranch_execz .LBB200_44
.LBB200_48:                             ;   Parent Loop BB200_45 Depth=1
                                        ; =>  This Inner Loop Header: Depth=2
	v_lshl_add_u32 v16, v15, 2, v34
	ds_read_b32 v17, v16
                                        ; implicit-def: $sgpr20_sgpr21
	s_waitcnt lgkmcnt(0)
	v_cmp_ne_u32_e64 s[0:1], v17, v14
	s_and_saveexec_b64 s[16:17], s[0:1]
	s_xor_b64 s[16:17], exec, s[16:17]
	s_cbranch_execz .LBB200_56
; %bb.49:                               ;   in Loop: Header=BB200_48 Depth=2
	v_cmp_ne_u32_e64 s[0:1], s10, v17
                                        ; implicit-def: $sgpr20_sgpr21
	s_and_saveexec_b64 s[24:25], s[0:1]
	s_xor_b64 s[0:1], exec, s[24:25]
; %bb.50:                               ;   in Loop: Header=BB200_48 Depth=2
	v_add_u32_e32 v15, 1, v15
	v_and_b32_e32 v15, 7, v15
	s_mov_b64 s[20:21], -1
                                        ; implicit-def: $vgpr16
; %bb.51:                               ;   in Loop: Header=BB200_48 Depth=2
	s_andn2_saveexec_b64 s[24:25], s[0:1]
	s_cbranch_execz .LBB200_55
; %bb.52:                               ;   in Loop: Header=BB200_48 Depth=2
	v_mov_b32_e32 v17, s10
	ds_cmpst_rtn_b32 v16, v16, v17, v14
	s_mov_b64 s[26:27], -1
	s_waitcnt lgkmcnt(0)
	v_cmp_eq_u32_e64 s[0:1], s10, v16
	s_and_saveexec_b64 s[28:29], s[0:1]
	s_cbranch_execz .LBB200_54
; %bb.53:                               ;   in Loop: Header=BB200_48 Depth=2
	v_lshl_or_b32 v16, v15, 9, v11
	v_add_u32_e32 v16, v39, v16
	ds_add_f64 v16, v[12:13]
	s_xor_b64 s[26:27], exec, -1
.LBB200_54:                             ;   in Loop: Header=BB200_48 Depth=2
	s_or_b64 exec, exec, s[28:29]
	s_andn2_b64 s[0:1], s[20:21], exec
	s_and_b64 s[20:21], s[26:27], exec
	s_or_b64 s[20:21], s[0:1], s[20:21]
.LBB200_55:                             ;   in Loop: Header=BB200_48 Depth=2
	s_or_b64 exec, exec, s[24:25]
	s_and_b64 s[20:21], s[20:21], exec
.LBB200_56:                             ;   in Loop: Header=BB200_48 Depth=2
	s_andn2_saveexec_b64 s[0:1], s[16:17]
	s_cbranch_execz .LBB200_47
; %bb.57:                               ;   in Loop: Header=BB200_48 Depth=2
	v_lshl_or_b32 v16, v15, 9, v11
	v_add_u32_e32 v16, v39, v16
	ds_add_f64 v16, v[12:13]
	s_andn2_b64 s[20:21], s[20:21], exec
	s_branch .LBB200_47
.LBB200_58:
	s_or_b64 exec, exec, s[2:3]
.LBB200_59:
	v_mov_b32_e32 v1, s23
	v_add_co_u32_e32 v2, vcc, s22, v8
	v_addc_co_u32_e32 v3, vcc, v1, v9, vcc
	s_waitcnt lgkmcnt(0)
	s_barrier
	global_load_dwordx2 v[6:7], v[2:3], off
	v_max_i32_e32 v1, v37, v38
	v_mul_lo_u32 v2, v38, s11
	v_mov_b32_e32 v3, 0
	s_cmp_eq_u32 s8, 0
	v_and_b32_e32 v8, 56, v0
	v_cmp_gt_i32_e32 vcc, s11, v1
	v_lshlrev_b64 v[0:1], 3, v[2:3]
	v_lshlrev_b32_e32 v4, 3, v37
	v_mov_b32_e32 v5, s43
	s_cselect_b64 s[0:1], -1, 0
	v_add_co_u32_e64 v0, s[2:3], s42, v0
	v_cndmask_b32_e64 v8, v4, v8, s[0:1]
	v_addc_co_u32_e64 v1, s[2:3], v5, v1, s[2:3]
	v_cndmask_b32_e64 v5, v38, v37, s[0:1]
	v_add_co_u32_e64 v2, s[0:1], v0, v4
	v_addc_co_u32_e64 v3, s[0:1], 0, v1, s[0:1]
	v_mov_b32_e32 v9, 0x4000
	v_or_b32_e32 v0, v5, v8
	s_mov_b32 s4, 0
	v_lshl_add_u32 v4, v0, 3, v36
	s_waitcnt vmcnt(0)
	v_subrev_co_u32_e64 v5, s[0:1], s38, v6
	v_subbrev_co_u32_e64 v6, s[0:1], 0, v7, s[0:1]
	v_lshl_or_b32 v7, v35, 5, v9
	s_branch .LBB200_61
.LBB200_60:                             ;   in Loop: Header=BB200_61 Depth=1
	s_or_b64 exec, exec, s[2:3]
	s_add_i32 s4, s4, 4
	s_cmp_lg_u32 s4, 32
	v_add_u32_e32 v4, 0x200, v4
	s_cbranch_scc0 .LBB200_64
.LBB200_61:                             ; =>This Inner Loop Header: Depth=1
	v_add_u32_e32 v0, s4, v7
	ds_read_b32 v8, v0
	s_waitcnt lgkmcnt(0)
	v_cmp_gt_i32_e64 s[0:1], s10, v8
	s_and_saveexec_b64 s[2:3], s[0:1]
	s_cbranch_execz .LBB200_60
; %bb.62:                               ;   in Loop: Header=BB200_61 Depth=1
	ds_read_b128 v[10:13], v34
	ds_read_b128 v[14:17], v34 offset:16
	s_waitcnt lgkmcnt(1)
	v_cmp_gt_i32_e64 s[0:1], v8, v10
	v_cndmask_b32_e64 v0, 0, 1, s[0:1]
	v_add_co_u32_e64 v0, s[0:1], v5, v0
	v_addc_co_u32_e64 v1, s[0:1], 0, v6, s[0:1]
	v_cmp_gt_i32_e64 s[0:1], v8, v11
	v_cndmask_b32_e64 v9, 0, 1, s[0:1]
	v_add_co_u32_e64 v0, s[0:1], v0, v9
	v_addc_co_u32_e64 v1, s[0:1], 0, v1, s[0:1]
	;; [unrolled: 4-line block ×4, first 2 shown]
	s_waitcnt lgkmcnt(0)
	v_cmp_gt_i32_e64 s[0:1], v8, v14
	v_cndmask_b32_e64 v9, 0, 1, s[0:1]
	v_add_co_u32_e64 v0, s[0:1], v0, v9
	v_addc_co_u32_e64 v1, s[0:1], 0, v1, s[0:1]
	v_cmp_gt_i32_e64 s[0:1], v8, v15
	v_cndmask_b32_e64 v9, 0, 1, s[0:1]
	v_add_co_u32_e64 v0, s[0:1], v0, v9
	v_addc_co_u32_e64 v1, s[0:1], 0, v1, s[0:1]
	;; [unrolled: 4-line block ×4, first 2 shown]
	v_add_u32_e32 v10, s38, v8
	v_lshlrev_b64 v[8:9], 2, v[0:1]
	v_mov_b32_e32 v11, s41
	v_add_co_u32_e64 v8, s[0:1], s40, v8
	v_addc_co_u32_e64 v9, s[0:1], v11, v9, s[0:1]
	global_store_dword v[8:9], v10, off
	s_and_b64 exec, exec, vcc
	s_cbranch_execz .LBB200_60
; %bb.63:                               ;   in Loop: Header=BB200_61 Depth=1
	v_mad_u64_u32 v[8:9], s[0:1], v0, s6, 0
	v_mov_b32_e32 v0, v9
	v_mad_u64_u32 v[0:1], s[0:1], v1, s6, v[0:1]
	v_mov_b32_e32 v9, v0
	v_lshlrev_b64 v[0:1], 3, v[8:9]
	ds_read_b64 v[8:9], v4
	v_add_co_u32_e64 v0, s[0:1], v2, v0
	v_addc_co_u32_e64 v1, s[0:1], v3, v1, s[0:1]
	s_waitcnt lgkmcnt(0)
	global_store_dwordx2 v[0:1], v[8:9], off
	s_branch .LBB200_60
.LBB200_64:
	s_endpgm
	.section	.rodata,"a",@progbits
	.p2align	6, 0x0
	.amdhsa_kernel _ZN9rocsparseL23bsrgemm_fill_wf_per_rowILj256ELj64ELj8ELj137ELj8ElidEEv20rocsparse_direction_T5_S2_S2_PKS2_S4_NS_24const_host_device_scalarIT6_EEPKT4_S4_PKS6_SA_S4_SC_S7_SA_S4_SC_SA_PS2_PS6_21rocsparse_index_base_SF_SF_SF_bbb
		.amdhsa_group_segment_fixed_size 16512
		.amdhsa_private_segment_fixed_size 0
		.amdhsa_kernarg_size 164
		.amdhsa_user_sgpr_count 6
		.amdhsa_user_sgpr_private_segment_buffer 1
		.amdhsa_user_sgpr_dispatch_ptr 0
		.amdhsa_user_sgpr_queue_ptr 0
		.amdhsa_user_sgpr_kernarg_segment_ptr 1
		.amdhsa_user_sgpr_dispatch_id 0
		.amdhsa_user_sgpr_flat_scratch_init 0
		.amdhsa_user_sgpr_kernarg_preload_length 0
		.amdhsa_user_sgpr_kernarg_preload_offset 0
		.amdhsa_user_sgpr_private_segment_size 0
		.amdhsa_uses_dynamic_stack 0
		.amdhsa_system_sgpr_private_segment_wavefront_offset 0
		.amdhsa_system_sgpr_workgroup_id_x 1
		.amdhsa_system_sgpr_workgroup_id_y 0
		.amdhsa_system_sgpr_workgroup_id_z 0
		.amdhsa_system_sgpr_workgroup_info 0
		.amdhsa_system_vgpr_workitem_id 0
		.amdhsa_next_free_vgpr 50
		.amdhsa_next_free_sgpr 64
		.amdhsa_accum_offset 52
		.amdhsa_reserve_vcc 1
		.amdhsa_reserve_flat_scratch 0
		.amdhsa_float_round_mode_32 0
		.amdhsa_float_round_mode_16_64 0
		.amdhsa_float_denorm_mode_32 3
		.amdhsa_float_denorm_mode_16_64 3
		.amdhsa_dx10_clamp 1
		.amdhsa_ieee_mode 1
		.amdhsa_fp16_overflow 0
		.amdhsa_tg_split 0
		.amdhsa_exception_fp_ieee_invalid_op 0
		.amdhsa_exception_fp_denorm_src 0
		.amdhsa_exception_fp_ieee_div_zero 0
		.amdhsa_exception_fp_ieee_overflow 0
		.amdhsa_exception_fp_ieee_underflow 0
		.amdhsa_exception_fp_ieee_inexact 0
		.amdhsa_exception_int_div_zero 0
	.end_amdhsa_kernel
	.section	.text._ZN9rocsparseL23bsrgemm_fill_wf_per_rowILj256ELj64ELj8ELj137ELj8ElidEEv20rocsparse_direction_T5_S2_S2_PKS2_S4_NS_24const_host_device_scalarIT6_EEPKT4_S4_PKS6_SA_S4_SC_S7_SA_S4_SC_SA_PS2_PS6_21rocsparse_index_base_SF_SF_SF_bbb,"axG",@progbits,_ZN9rocsparseL23bsrgemm_fill_wf_per_rowILj256ELj64ELj8ELj137ELj8ElidEEv20rocsparse_direction_T5_S2_S2_PKS2_S4_NS_24const_host_device_scalarIT6_EEPKT4_S4_PKS6_SA_S4_SC_S7_SA_S4_SC_SA_PS2_PS6_21rocsparse_index_base_SF_SF_SF_bbb,comdat
.Lfunc_end200:
	.size	_ZN9rocsparseL23bsrgemm_fill_wf_per_rowILj256ELj64ELj8ELj137ELj8ElidEEv20rocsparse_direction_T5_S2_S2_PKS2_S4_NS_24const_host_device_scalarIT6_EEPKT4_S4_PKS6_SA_S4_SC_S7_SA_S4_SC_SA_PS2_PS6_21rocsparse_index_base_SF_SF_SF_bbb, .Lfunc_end200-_ZN9rocsparseL23bsrgemm_fill_wf_per_rowILj256ELj64ELj8ELj137ELj8ElidEEv20rocsparse_direction_T5_S2_S2_PKS2_S4_NS_24const_host_device_scalarIT6_EEPKT4_S4_PKS6_SA_S4_SC_S7_SA_S4_SC_SA_PS2_PS6_21rocsparse_index_base_SF_SF_SF_bbb
                                        ; -- End function
	.section	.AMDGPU.csdata,"",@progbits
; Kernel info:
; codeLenInByte = 2756
; NumSgprs: 68
; NumVgprs: 50
; NumAgprs: 0
; TotalNumVgprs: 50
; ScratchSize: 0
; MemoryBound: 0
; FloatMode: 240
; IeeeMode: 1
; LDSByteSize: 16512 bytes/workgroup (compile time only)
; SGPRBlocks: 8
; VGPRBlocks: 6
; NumSGPRsForWavesPerEU: 68
; NumVGPRsForWavesPerEU: 50
; AccumOffset: 52
; Occupancy: 3
; WaveLimiterHint : 1
; COMPUTE_PGM_RSRC2:SCRATCH_EN: 0
; COMPUTE_PGM_RSRC2:USER_SGPR: 6
; COMPUTE_PGM_RSRC2:TRAP_HANDLER: 0
; COMPUTE_PGM_RSRC2:TGID_X_EN: 1
; COMPUTE_PGM_RSRC2:TGID_Y_EN: 0
; COMPUTE_PGM_RSRC2:TGID_Z_EN: 0
; COMPUTE_PGM_RSRC2:TIDIG_COMP_CNT: 0
; COMPUTE_PGM_RSRC3_GFX90A:ACCUM_OFFSET: 12
; COMPUTE_PGM_RSRC3_GFX90A:TG_SPLIT: 0
	.section	.text._ZN9rocsparseL38bsrgemm_block_per_row_atomic_multipassILj256ELj16ELj8ElidEEv20rocsparse_direction_T3_S2_PKS2_S4_NS_24const_host_device_scalarIT4_EEPKT2_S4_PKS6_SA_S4_SC_S7_SA_S4_SC_SA_PS2_PS6_PS8_21rocsparse_index_base_SG_SG_SG_bbb,"axG",@progbits,_ZN9rocsparseL38bsrgemm_block_per_row_atomic_multipassILj256ELj16ELj8ElidEEv20rocsparse_direction_T3_S2_PKS2_S4_NS_24const_host_device_scalarIT4_EEPKT2_S4_PKS6_SA_S4_SC_S7_SA_S4_SC_SA_PS2_PS6_PS8_21rocsparse_index_base_SG_SG_SG_bbb,comdat
	.globl	_ZN9rocsparseL38bsrgemm_block_per_row_atomic_multipassILj256ELj16ELj8ElidEEv20rocsparse_direction_T3_S2_PKS2_S4_NS_24const_host_device_scalarIT4_EEPKT2_S4_PKS6_SA_S4_SC_S7_SA_S4_SC_SA_PS2_PS6_PS8_21rocsparse_index_base_SG_SG_SG_bbb ; -- Begin function _ZN9rocsparseL38bsrgemm_block_per_row_atomic_multipassILj256ELj16ELj8ElidEEv20rocsparse_direction_T3_S2_PKS2_S4_NS_24const_host_device_scalarIT4_EEPKT2_S4_PKS6_SA_S4_SC_S7_SA_S4_SC_SA_PS2_PS6_PS8_21rocsparse_index_base_SG_SG_SG_bbb
	.p2align	8
	.type	_ZN9rocsparseL38bsrgemm_block_per_row_atomic_multipassILj256ELj16ELj8ElidEEv20rocsparse_direction_T3_S2_PKS2_S4_NS_24const_host_device_scalarIT4_EEPKT2_S4_PKS6_SA_S4_SC_S7_SA_S4_SC_SA_PS2_PS6_PS8_21rocsparse_index_base_SG_SG_SG_bbb,@function
_ZN9rocsparseL38bsrgemm_block_per_row_atomic_multipassILj256ELj16ELj8ElidEEv20rocsparse_direction_T3_S2_PKS2_S4_NS_24const_host_device_scalarIT4_EEPKT2_S4_PKS6_SA_S4_SC_S7_SA_S4_SC_SA_PS2_PS6_PS8_21rocsparse_index_base_SG_SG_SG_bbb: ; @_ZN9rocsparseL38bsrgemm_block_per_row_atomic_multipassILj256ELj16ELj8ElidEEv20rocsparse_direction_T3_S2_PKS2_S4_NS_24const_host_device_scalarIT4_EEPKT2_S4_PKS6_SA_S4_SC_S7_SA_S4_SC_SA_PS2_PS6_PS8_21rocsparse_index_base_SG_SG_SG_bbb
; %bb.0:
	s_load_dword s7, s[4:5], 0xa8
	s_load_dwordx4 s[28:31], s[4:5], 0x98
	s_load_dwordx2 s[8:9], s[4:5], 0x20
	s_waitcnt lgkmcnt(0)
	s_and_b32 s0, 1, s7
	s_bitcmp1_b32 s7, 16
	s_cselect_b64 s[2:3], -1, 0
	s_cmp_eq_u32 s0, 1
	s_load_dwordx2 s[0:1], s[4:5], 0x58
	s_cselect_b64 s[10:11], -1, 0
	s_and_b64 s[12:13], s[10:11], exec
	s_cselect_b32 s13, s9, 0
	s_cselect_b32 s12, s8, 0
	s_xor_b64 s[14:15], s[10:11], -1
	s_or_b64 s[14:15], s[14:15], s[2:3]
	s_and_b64 vcc, exec, s[14:15]
	v_pk_mov_b32 v[2:3], s[12:13], s[12:13] op_sel:[0,1]
	s_cbranch_vccnz .LBB201_2
; %bb.1:
	v_pk_mov_b32 v[2:3], s[8:9], s[8:9] op_sel:[0,1]
	flat_load_dwordx2 v[2:3], v[2:3]
.LBB201_2:
	s_bitcmp1_b32 s7, 8
	s_load_dwordx2 s[8:9], s[4:5], 0x18
	s_cselect_b64 s[34:35], -1, 0
	s_and_b64 s[12:13], s[34:35], exec
	s_waitcnt lgkmcnt(0)
	s_cselect_b32 s13, s1, 0
	s_cselect_b32 s12, s0, 0
	s_xor_b64 s[14:15], s[34:35], -1
	s_or_b64 s[2:3], s[14:15], s[2:3]
	s_and_b64 vcc, exec, s[2:3]
	v_pk_mov_b32 v[4:5], s[12:13], s[12:13] op_sel:[0,1]
	s_cbranch_vccnz .LBB201_4
; %bb.3:
	v_pk_mov_b32 v[4:5], s[0:1], s[0:1] op_sel:[0,1]
	flat_load_dwordx2 v[4:5], v[4:5]
.LBB201_4:
	s_load_dwordx2 s[2:3], s[4:5], 0x28
	s_cmp_eq_u64 s[8:9], 0
	s_mov_b64 s[52:53], 0
	s_cbranch_scc1 .LBB201_6
; %bb.5:
	s_load_dwordx2 s[0:1], s[4:5], 0x10
	s_waitcnt lgkmcnt(0)
	s_load_dword s0, s[0:1], 0x0
	s_mov_b32 s1, 0
	s_waitcnt lgkmcnt(0)
	s_add_i32 s0, s0, s6
	s_lshl_b64 s[0:1], s[0:1], 2
	s_add_u32 s0, s8, s0
	s_addc_u32 s1, s9, s1
	s_load_dword s6, s[0:1], 0x0
.LBB201_6:
	v_cndmask_b32_e64 v1, 0, 1, s[10:11]
	v_cmp_ne_u32_e64 s[0:1], 1, v1
	s_andn2_b64 vcc, exec, s[10:11]
	s_cbranch_vccz .LBB201_9
; %bb.7:
	s_and_b64 vcc, exec, s[0:1]
	s_mov_b64 s[54:55], 0
	s_cbranch_vccz .LBB201_10
.LBB201_8:
	s_load_dwordx4 s[44:47], s[4:5], 0x0
	s_waitcnt lgkmcnt(0)
	s_cmp_lt_i32 s45, 1
	s_cbranch_scc0 .LBB201_11
	s_branch .LBB201_89
.LBB201_9:
	s_waitcnt lgkmcnt(0)
	s_ashr_i32 s7, s6, 31
	s_lshl_b64 s[8:9], s[6:7], 3
	s_add_u32 s8, s2, s8
	s_addc_u32 s9, s3, s9
	s_load_dwordx2 s[8:9], s[8:9], 0x0
	s_waitcnt lgkmcnt(0)
	s_sub_u32 s52, s8, s28
	s_subb_u32 s53, s9, 0
	s_and_b64 vcc, exec, s[0:1]
	s_mov_b64 s[54:55], 0
	s_cbranch_vccnz .LBB201_8
.LBB201_10:
	s_waitcnt lgkmcnt(0)
	s_ashr_i32 s7, s6, 31
	s_lshl_b64 s[0:1], s[6:7], 3
	s_add_u32 s0, s2, s0
	s_addc_u32 s1, s3, s1
	s_load_dwordx2 s[0:1], s[0:1], 0x8
	s_waitcnt lgkmcnt(0)
	s_sub_u32 s54, s0, s28
	s_subb_u32 s55, s1, 0
	s_load_dwordx4 s[44:47], s[4:5], 0x0
	s_waitcnt lgkmcnt(0)
	s_cmp_lt_i32 s45, 1
	s_cbranch_scc1 .LBB201_89
.LBB201_11:
	s_load_dwordx2 s[56:57], s[4:5], 0x90
	s_load_dwordx4 s[48:51], s[4:5], 0x80
	s_load_dwordx8 s[20:27], s[4:5], 0x60
	s_load_dwordx2 s[64:65], s[4:5], 0x50
	s_load_dwordx8 s[36:43], s[4:5], 0x30
	v_pk_mov_b32 v[8:9], s[54:55], s[54:55] op_sel:[0,1]
	v_bfe_u32 v7, v0, 3, 3
	v_cmp_lt_i64_e32 vcc, s[52:53], v[8:9]
	v_mov_b32_e32 v8, 0
	v_and_b32_e32 v11, 7, v0
	v_mul_lo_u32 v12, v7, s46
	v_mov_b32_e32 v13, v8
	s_ashr_i32 s7, s6, 31
	v_max_i32_e32 v9, v11, v7
	v_lshlrev_b64 v[12:13], 3, v[12:13]
	s_lshl_b64 s[8:9], s[6:7], 3
	v_cmp_gt_i32_e64 s[4:5], s46, v9
	s_waitcnt lgkmcnt(0)
	v_mov_b32_e32 v7, s39
	v_add_co_u32_e64 v9, s[6:7], s38, v12
	v_addc_co_u32_e64 v7, s[6:7], v7, v13, s[6:7]
	v_lshlrev_b32_e32 v16, 3, v11
	v_add_co_u32_e64 v38, s[6:7], v9, v16
	v_mul_lo_u32 v14, v11, s46
	v_mov_b32_e32 v15, v8
	v_addc_co_u32_e64 v39, s[6:7], 0, v7, s[6:7]
	v_lshlrev_b64 v[14:15], 3, v[14:15]
	v_mov_b32_e32 v7, s51
	v_add_co_u32_e64 v9, s[6:7], s50, v14
	v_and_b32_e32 v40, 56, v0
	v_addc_co_u32_e64 v10, s[6:7], v7, v15, s[6:7]
	v_add_co_u32_e64 v9, s[6:7], v9, v40
	v_addc_co_u32_e64 v10, s[6:7], 0, v10, s[6:7]
	v_add_co_u32_e64 v17, s[6:7], s50, v12
	v_addc_co_u32_e64 v7, s[6:7], v7, v13, s[6:7]
	s_add_u32 s0, s26, s8
	v_add_co_u32_e64 v17, s[6:7], v17, v16
	s_addc_u32 s1, s27, s9
	v_lshrrev_b32_e32 v6, 6, v0
	v_addc_co_u32_e64 v7, s[6:7], 0, v7, s[6:7]
	s_load_dwordx2 s[0:1], s[0:1], 0x0
	v_subrev_co_u32_e64 v41, s[6:7], s31, v6
	v_subb_co_u32_e64 v42, s[6:7], 0, 0, s[6:7]
	v_mov_b32_e32 v18, s25
	v_add_co_u32_e64 v19, s[6:7], s24, v14
	v_addc_co_u32_e64 v20, s[6:7], v18, v15, s[6:7]
	v_add_co_u32_e64 v19, s[6:7], v19, v40
	s_waitcnt lgkmcnt(0)
	s_sub_u32 s26, s0, s30
	v_addc_co_u32_e64 v20, s[6:7], 0, v20, s[6:7]
	s_subb_u32 s27, s1, 0
	v_add_co_u32_e64 v12, s[6:7], s24, v12
	s_cmp_eq_u32 s44, 0
	v_addc_co_u32_e64 v13, s[6:7], v18, v13, s[6:7]
	s_cselect_b64 s[18:19], -1, 0
	s_cmp_lg_u32 s44, 0
	v_add_co_u32_e64 v12, s[6:7], v12, v16
	v_and_b32_e32 v1, 63, v0
	s_cselect_b64 s[38:39], -1, 0
	s_cmp_gt_i32 s46, 0
	v_addc_co_u32_e64 v13, s[6:7], 0, v13, s[6:7]
	v_mov_b32_e32 v22, 0x2800
	v_cmp_gt_u32_e64 s[0:1], 16, v0
	v_cmp_eq_u32_e64 s[2:3], 0, v0
	v_lshlrev_b32_e32 v36, 3, v0
	s_movk_i32 s47, 0x2000
	s_cselect_b64 s[50:51], -1, 0
	s_add_u32 s60, s20, s8
	v_cmp_eq_u32_e64 s[6:7], 63, v1
	v_and_b32_e32 v1, 15, v0
	v_lshl_or_b32 v45, v0, 2, v22
	v_or_b32_e32 v49, 0xffffff00, v0
	v_lshlrev_b32_e32 v0, 9, v6
	s_addc_u32 s61, s21, s9
	s_and_b64 s[62:63], s[10:11], vcc
	v_or3_b32 v50, v0, v40, s47
	v_mov_b32_e32 v0, s65
	v_add_co_u32_e32 v14, vcc, s64, v14
	v_addc_co_u32_e32 v15, vcc, v0, v15, vcc
	s_add_u32 s83, s40, 8
	v_add_co_u32_e32 v16, vcc, s64, v16
	s_mov_b32 s59, 0
	v_lshlrev_b32_e32 v18, 2, v1
	v_add_co_u32_e64 v21, s[8:9], -1, v1
	v_cmp_ne_u32_e64 s[10:11], 0, v1
	v_cmp_lt_u32_e64 s[12:13], 1, v1
	v_cmp_lt_u32_e64 s[14:15], 3, v1
	;; [unrolled: 1-line block ×3, first 2 shown]
	v_cndmask_b32_e64 v1, v10, v7, s[18:19]
	v_cndmask_b32_e64 v10, v9, v17, s[18:19]
	s_addc_u32 s84, s41, 0
	v_addc_co_u32_e32 v17, vcc, 0, v0, vcc
	s_mul_i32 s58, s46, s46
	s_add_u32 s85, s48, -4
	s_mov_b32 s47, s59
	v_and_b32_e32 v0, 0x7c0, v36
	v_add_co_u32_e32 v52, vcc, 4, v41
	v_or_b32_e32 v37, 0x2000, v36
	s_mov_b32 s33, s29
	s_mov_b32 s82, s59
	;; [unrolled: 1-line block ×3, first 2 shown]
	v_or_b32_e32 v43, 0x2800, v18
	v_lshl_add_u32 v44, v21, 2, v22
	v_add_u32_e32 v46, 0x27f8, v18
	v_add_u32_e32 v47, 0x27f0, v18
	;; [unrolled: 1-line block ×3, first 2 shown]
	v_cndmask_b32_e64 v13, v20, v13, s[18:19]
	v_cndmask_b32_e64 v12, v19, v12, s[18:19]
	s_addc_u32 s86, s49, -1
	s_lshl_b64 s[48:49], s[58:59], 3
	s_lshl_b64 s[64:65], s[46:47], 3
	v_or_b32_e32 v51, 0x2000, v0
	s_lshl_b64 s[66:67], s[58:59], 5
	v_addc_co_u32_e32 v53, vcc, 0, v42, vcc
	v_lshl_or_b32 v54, v6, 2, v22
	v_mov_b32_e32 v0, 16
	v_pk_mov_b32 v[18:19], s[26:27], s[26:27] op_sel:[0,1]
	s_movk_i32 s47, 0x2ff
	v_mov_b32_e32 v55, 1
	v_mov_b32_e32 v9, v8
	s_branch .LBB201_13
.LBB201_12:                             ;   in Loop: Header=BB201_13 Depth=1
	s_or_b64 exec, exec, s[18:19]
	s_barrier
	ds_read_b32 v7, v8 offset:10304
	v_ashrrev_i32_e32 v0, 31, v20
	v_add_co_u32_e32 v18, vcc, v18, v20
	v_addc_co_u32_e32 v19, vcc, v19, v0, vcc
	s_waitcnt lgkmcnt(0)
	v_cmp_le_i32_e32 vcc, s45, v7
	v_readfirstlane_b32 s59, v7
	v_add_u32_e32 v0, 16, v7
	s_barrier
	s_cbranch_vccnz .LBB201_89
.LBB201_13:                             ; =>This Loop Header: Depth=1
                                        ;     Child Loop BB201_16 Depth 2
                                        ;     Child Loop BB201_22 Depth 2
                                        ;       Child Loop BB201_35 Depth 3
                                        ;         Child Loop BB201_44 Depth 4
                                        ;         Child Loop BB201_49 Depth 4
                                        ;     Child Loop BB201_60 Depth 2
                                        ;     Child Loop BB201_69 Depth 2
	;; [unrolled: 1-line block ×3, first 2 shown]
	s_and_saveexec_b64 s[18:19], s[0:1]
	s_cbranch_execz .LBB201_15
; %bb.14:                               ;   in Loop: Header=BB201_13 Depth=1
	ds_write_b32 v45, v8
.LBB201_15:                             ;   in Loop: Header=BB201_13 Depth=1
	s_or_b64 exec, exec, s[18:19]
	s_mov_b64 s[18:19], 0
	v_mov_b32_e32 v7, v36
	v_mov_b32_e32 v20, v49
.LBB201_16:                             ;   Parent Loop BB201_13 Depth=1
                                        ; =>  This Inner Loop Header: Depth=2
	v_add_u32_e32 v20, 0x100, v20
	v_cmp_lt_u32_e32 vcc, s47, v20
	ds_write_b64 v7, v[8:9]
	s_or_b64 s[18:19], vcc, s[18:19]
	v_add_u32_e32 v7, 0x800, v7
	s_andn2_b64 exec, exec, s[18:19]
	s_cbranch_execnz .LBB201_16
; %bb.17:                               ;   in Loop: Header=BB201_13 Depth=1
	s_or_b64 exec, exec, s[18:19]
	s_and_saveexec_b64 s[18:19], s[2:3]
	s_cbranch_execz .LBB201_19
; %bb.18:                               ;   in Loop: Header=BB201_13 Depth=1
	v_mov_b32_e32 v7, s45
	ds_write_b32 v8, v7 offset:10304
.LBB201_19:                             ;   in Loop: Header=BB201_13 Depth=1
	s_or_b64 exec, exec, s[18:19]
	s_andn2_b64 vcc, exec, s[62:63]
	v_mov_b32_e32 v7, s45
	s_waitcnt lgkmcnt(0)
	s_barrier
	s_cbranch_vccnz .LBB201_55
; %bb.20:                               ;   in Loop: Header=BB201_13 Depth=1
	s_cmp_lg_u32 s59, 0
	s_cselect_b64 s[24:25], -1, 0
	v_mov_b32_e32 v7, s45
	s_mov_b64 s[26:27], s[52:53]
	s_branch .LBB201_22
.LBB201_21:                             ;   in Loop: Header=BB201_22 Depth=2
	s_or_b64 exec, exec, s[20:21]
	s_add_u32 s26, s26, 4
	s_addc_u32 s27, s27, 0
	v_pk_mov_b32 v[20:21], s[54:55], s[54:55] op_sel:[0,1]
	v_cmp_lt_i64_e32 vcc, s[26:27], v[20:21]
	s_cbranch_vccz .LBB201_55
.LBB201_22:                             ;   Parent Loop BB201_13 Depth=1
                                        ; =>  This Loop Header: Depth=2
                                        ;       Child Loop BB201_35 Depth 3
                                        ;         Child Loop BB201_44 Depth 4
                                        ;         Child Loop BB201_49 Depth 4
	v_mov_b32_e32 v21, s27
	v_add_co_u32_e32 v20, vcc, s26, v6
	v_addc_co_u32_e32 v21, vcc, 0, v21, vcc
	v_cmp_gt_i64_e64 s[18:19], s[54:55], v[20:21]
	s_barrier
	s_and_saveexec_b64 s[20:21], s[18:19]
	s_cbranch_execz .LBB201_26
; %bb.23:                               ;   in Loop: Header=BB201_22 Depth=2
	v_pk_mov_b32 v[22:23], 0, 0
	s_and_saveexec_b64 s[68:69], s[4:5]
	s_cbranch_execz .LBB201_25
; %bb.24:                               ;   in Loop: Header=BB201_22 Depth=2
	v_mad_u64_u32 v[22:23], s[70:71], v20, s58, 0
	v_mov_b32_e32 v24, v23
	v_mad_u64_u32 v[24:25], s[70:71], v21, s58, v[24:25]
	v_mov_b32_e32 v23, v24
	v_lshlrev_b64 v[22:23], 3, v[22:23]
	v_add_co_u32_e32 v22, vcc, v38, v22
	v_addc_co_u32_e32 v23, vcc, v39, v23, vcc
	global_load_dwordx2 v[22:23], v[22:23], off
.LBB201_25:                             ;   in Loop: Header=BB201_22 Depth=2
	s_or_b64 exec, exec, s[68:69]
	s_waitcnt vmcnt(0)
	ds_write_b64 v37, v[22:23]
.LBB201_26:                             ;   in Loop: Header=BB201_22 Depth=2
	s_or_b64 exec, exec, s[20:21]
	v_pk_mov_b32 v[22:23], 0, 0
	s_waitcnt lgkmcnt(0)
	s_barrier
	s_and_saveexec_b64 s[68:69], s[18:19]
	s_cbranch_execz .LBB201_52
; %bb.27:                               ;   in Loop: Header=BB201_22 Depth=2
	v_lshlrev_b64 v[22:23], 2, v[20:21]
	v_mov_b32_e32 v24, s37
	v_add_co_u32_e32 v22, vcc, s36, v22
	v_addc_co_u32_e32 v23, vcc, v24, v23, vcc
	global_load_dword v22, v[22:23], off
	s_and_b64 vcc, exec, s[24:25]
	s_waitcnt vmcnt(0)
	v_subrev_u32_e32 v24, s28, v22
	v_ashrrev_i32_e32 v25, 31, v24
	s_cbranch_vccz .LBB201_54
; %bb.28:                               ;   in Loop: Header=BB201_22 Depth=2
	v_lshlrev_b64 v[22:23], 3, v[20:21]
	v_mov_b32_e32 v26, s57
	v_add_co_u32_e32 v22, vcc, s56, v22
	v_addc_co_u32_e32 v23, vcc, v26, v23, vcc
	global_load_dwordx2 v[22:23], v[22:23], off
	s_cbranch_execnz .LBB201_30
.LBB201_29:                             ;   in Loop: Header=BB201_22 Depth=2
	s_waitcnt vmcnt(0)
	v_lshlrev_b64 v[22:23], 3, v[24:25]
	v_mov_b32_e32 v26, s41
	v_add_co_u32_e32 v22, vcc, s40, v22
	v_addc_co_u32_e32 v23, vcc, v26, v23, vcc
	global_load_dwordx2 v[22:23], v[22:23], off
	v_mov_b32_e32 v26, s82
	s_waitcnt vmcnt(0)
	v_subrev_co_u32_e32 v22, vcc, s33, v22
	v_subb_co_u32_e32 v23, vcc, v23, v26, vcc
.LBB201_30:                             ;   in Loop: Header=BB201_22 Depth=2
	v_lshlrev_b64 v[24:25], 3, v[24:25]
	v_mov_b32_e32 v26, s84
	v_add_co_u32_e32 v24, vcc, s83, v24
	v_addc_co_u32_e32 v25, vcc, v26, v25, vcc
	global_load_dwordx2 v[24:25], v[24:25], off
	v_mov_b32_e32 v26, s82
	s_waitcnt vmcnt(0)
	v_subrev_co_u32_e32 v24, vcc, s33, v24
	v_subb_co_u32_e32 v25, vcc, v25, v26, vcc
	v_cmp_lt_i64_e32 vcc, v[22:23], v[24:25]
	s_and_saveexec_b64 s[70:71], vcc
	s_cbranch_execz .LBB201_51
; %bb.31:                               ;   in Loop: Header=BB201_22 Depth=2
	v_mad_u64_u32 v[26:27], s[20:21], s48, v22, v[14:15]
	v_mul_lo_u32 v30, s48, v23
	v_mul_lo_u32 v31, s49, v22
	v_mad_u64_u32 v[28:29], s[20:21], s48, v22, v[16:17]
	v_add3_u32 v27, v31, v27, v30
	v_add3_u32 v29, v31, v29, v30
	s_mov_b64 s[72:73], 0
	v_pk_mov_b32 v[30:31], v[22:23], v[22:23] op_sel:[0,1]
	s_branch .LBB201_35
.LBB201_32:                             ;   in Loop: Header=BB201_35 Depth=3
	v_lshlrev_b32_e32 v34, 6, v56
	v_or3_b32 v34, v34, v40, v11
	v_lshlrev_b32_e32 v34, 3, v34
	v_mul_f64 v[32:33], v[2:3], v[32:33]
	ds_add_f64 v34, v[32:33]
.LBB201_33:                             ;   in Loop: Header=BB201_35 Depth=3
	s_or_b64 exec, exec, s[78:79]
	s_or_b64 s[74:75], s[74:75], exec
.LBB201_34:                             ;   in Loop: Header=BB201_35 Depth=3
	s_or_b64 exec, exec, s[76:77]
	v_add_co_u32_e32 v22, vcc, 1, v22
	v_addc_co_u32_e32 v23, vcc, 0, v23, vcc
	v_cmp_ge_i64_e32 vcc, v[22:23], v[24:25]
	s_xor_b64 s[20:21], s[74:75], -1
	s_or_b64 s[20:21], s[20:21], vcc
	v_mov_b32_e32 v32, s49
	v_add_co_u32_e32 v26, vcc, s48, v26
	v_addc_co_u32_e32 v27, vcc, v27, v32, vcc
	s_and_b64 s[20:21], exec, s[20:21]
	v_add_co_u32_e32 v28, vcc, s48, v28
	s_or_b64 s[72:73], s[20:21], s[72:73]
	v_addc_co_u32_e32 v29, vcc, v29, v32, vcc
	s_andn2_b64 exec, exec, s[72:73]
	s_cbranch_execz .LBB201_50
.LBB201_35:                             ;   Parent Loop BB201_13 Depth=1
                                        ;     Parent Loop BB201_22 Depth=2
                                        ; =>    This Loop Header: Depth=3
                                        ;         Child Loop BB201_44 Depth 4
                                        ;         Child Loop BB201_49 Depth 4
	v_lshlrev_b64 v[32:33], 2, v[22:23]
	v_mov_b32_e32 v34, s43
	v_add_co_u32_e32 v32, vcc, s42, v32
	v_addc_co_u32_e32 v33, vcc, v34, v33, vcc
	global_load_dword v32, v[32:33], off
                                        ; implicit-def: $sgpr74_sgpr75
	s_waitcnt vmcnt(0)
	v_subrev_u32_e32 v32, s29, v32
	v_cmp_gt_i32_e64 s[20:21], s59, v32
	v_cmp_ge_i32_e32 vcc, v32, v0
	s_or_b64 s[20:21], s[20:21], vcc
	s_and_saveexec_b64 s[76:77], s[20:21]
	s_xor_b64 s[20:21], exec, s[76:77]
	s_cbranch_execz .LBB201_39
; %bb.36:                               ;   in Loop: Header=BB201_35 Depth=3
	s_mov_b64 s[74:75], -1
	s_and_saveexec_b64 s[76:77], vcc
; %bb.37:                               ;   in Loop: Header=BB201_35 Depth=3
	v_min_i32_e32 v7, v32, v7
	s_xor_b64 s[74:75], exec, -1
	v_pk_mov_b32 v[30:31], v[22:23], v[22:23] op_sel:[0,1]
; %bb.38:                               ;   in Loop: Header=BB201_35 Depth=3
	s_or_b64 exec, exec, s[76:77]
	s_and_b64 s[74:75], s[74:75], exec
                                        ; implicit-def: $vgpr32
.LBB201_39:                             ;   in Loop: Header=BB201_35 Depth=3
	s_andn2_saveexec_b64 s[76:77], s[20:21]
	s_cbranch_execz .LBB201_34
; %bb.40:                               ;   in Loop: Header=BB201_35 Depth=3
	v_subrev_u32_e32 v56, s59, v32
	v_lshlrev_b32_e32 v32, 2, v56
	ds_write_b32 v32, v55 offset:10240
	s_and_saveexec_b64 s[78:79], s[4:5]
	s_cbranch_execz .LBB201_33
; %bb.41:                               ;   in Loop: Header=BB201_35 Depth=3
	v_cndmask_b32_e64 v32, 0, 1, s[50:51]
	s_andn2_b64 vcc, exec, s[38:39]
	v_cmp_ne_u32_e64 s[20:21], 1, v32
	s_cbranch_vccnz .LBB201_46
; %bb.42:                               ;   in Loop: Header=BB201_35 Depth=3
	v_pk_mov_b32 v[32:33], 0, 0
	s_and_b64 vcc, exec, s[20:21]
	s_cbranch_vccnz .LBB201_45
; %bb.43:                               ;   in Loop: Header=BB201_35 Depth=3
	v_pk_mov_b32 v[34:35], v[26:27], v[26:27] op_sel:[0,1]
	s_mov_b32 s80, s46
	v_mov_b32_e32 v57, v50
.LBB201_44:                             ;   Parent Loop BB201_13 Depth=1
                                        ;     Parent Loop BB201_22 Depth=2
                                        ;       Parent Loop BB201_35 Depth=3
                                        ; =>      This Inner Loop Header: Depth=4
	global_load_dwordx2 v[58:59], v[34:35], off
	ds_read_b64 v[60:61], v57
	s_add_i32 s80, s80, -1
	v_add_co_u32_e32 v34, vcc, 8, v34
	v_add_u32_e32 v57, 64, v57
	v_addc_co_u32_e32 v35, vcc, 0, v35, vcc
	s_cmp_lg_u32 s80, 0
	s_waitcnt vmcnt(0) lgkmcnt(0)
	v_fmac_f64_e32 v[32:33], v[60:61], v[58:59]
	s_cbranch_scc1 .LBB201_44
.LBB201_45:                             ;   in Loop: Header=BB201_35 Depth=3
	s_cbranch_execnz .LBB201_32
	s_branch .LBB201_47
.LBB201_46:                             ;   in Loop: Header=BB201_35 Depth=3
                                        ; implicit-def: $vgpr32_vgpr33
.LBB201_47:                             ;   in Loop: Header=BB201_35 Depth=3
	v_pk_mov_b32 v[32:33], 0, 0
	s_and_b64 vcc, exec, s[20:21]
	s_cbranch_vccnz .LBB201_32
; %bb.48:                               ;   in Loop: Header=BB201_35 Depth=3
	v_mov_b32_e32 v57, v51
	v_pk_mov_b32 v[34:35], v[28:29], v[28:29] op_sel:[0,1]
	s_mov_b32 s20, s46
.LBB201_49:                             ;   Parent Loop BB201_13 Depth=1
                                        ;     Parent Loop BB201_22 Depth=2
                                        ;       Parent Loop BB201_35 Depth=3
                                        ; =>      This Inner Loop Header: Depth=4
	global_load_dwordx2 v[58:59], v[34:35], off
	ds_read_b64 v[60:61], v57
	s_add_i32 s20, s20, -1
	v_mov_b32_e32 v62, s65
	v_add_co_u32_e32 v34, vcc, s64, v34
	v_add_u32_e32 v57, 8, v57
	v_addc_co_u32_e32 v35, vcc, v35, v62, vcc
	s_cmp_eq_u32 s20, 0
	s_waitcnt vmcnt(0) lgkmcnt(0)
	v_fmac_f64_e32 v[32:33], v[60:61], v[58:59]
	s_cbranch_scc0 .LBB201_49
	s_branch .LBB201_32
.LBB201_50:                             ;   in Loop: Header=BB201_22 Depth=2
	s_or_b64 exec, exec, s[72:73]
	v_pk_mov_b32 v[22:23], v[30:31], v[30:31] op_sel:[0,1]
.LBB201_51:                             ;   in Loop: Header=BB201_22 Depth=2
	s_or_b64 exec, exec, s[70:71]
.LBB201_52:                             ;   in Loop: Header=BB201_22 Depth=2
	s_or_b64 exec, exec, s[68:69]
	s_waitcnt lgkmcnt(0)
	s_barrier
	s_and_saveexec_b64 s[20:21], s[18:19]
	s_cbranch_execz .LBB201_21
; %bb.53:                               ;   in Loop: Header=BB201_22 Depth=2
	v_lshlrev_b64 v[20:21], 3, v[20:21]
	v_mov_b32_e32 v24, s57
	v_add_co_u32_e32 v20, vcc, s56, v20
	v_addc_co_u32_e32 v21, vcc, v24, v21, vcc
	global_store_dwordx2 v[20:21], v[22:23], off
	s_branch .LBB201_21
.LBB201_54:                             ;   in Loop: Header=BB201_22 Depth=2
                                        ; implicit-def: $vgpr22_vgpr23
	s_branch .LBB201_29
.LBB201_55:                             ;   in Loop: Header=BB201_13 Depth=1
	s_andn2_b64 vcc, exec, s[34:35]
	s_cbranch_vccnz .LBB201_67
; %bb.56:                               ;   in Loop: Header=BB201_13 Depth=1
	s_load_dwordx4 s[24:27], s[60:61], 0x0
	s_waitcnt lgkmcnt(0)
	s_sub_u32 s26, s26, s44
	v_mov_b32_e32 v20, s25
	v_add_co_u32_e32 v24, vcc, s24, v41
	s_subb_u32 s27, s27, 0
	v_addc_co_u32_e32 v25, vcc, v20, v42, vcc
	v_cmp_gt_i64_e32 vcc, s[26:27], v[24:25]
	s_and_saveexec_b64 s[68:69], vcc
	s_cbranch_execz .LBB201_66
; %bb.57:                               ;   in Loop: Header=BB201_13 Depth=1
	v_lshlrev_b64 v[20:21], 2, v[24:25]
	v_mov_b32_e32 v22, s23
	v_add_co_u32_e32 v20, vcc, s22, v20
	v_addc_co_u32_e32 v21, vcc, v22, v21, vcc
	v_mad_u64_u32 v[22:23], s[18:19], s48, v24, v[12:13]
	v_mul_lo_u32 v25, s48, v25
	v_mul_lo_u32 v24, s49, v24
	v_add3_u32 v23, v24, v23, v25
	v_mov_b32_e32 v25, s25
	v_add_co_u32_e32 v24, vcc, s24, v52
	v_addc_co_u32_e32 v25, vcc, v53, v25, vcc
	s_mov_b64 s[24:25], 0
	s_branch .LBB201_60
.LBB201_58:                             ;   in Loop: Header=BB201_60 Depth=2
	s_or_b64 exec, exec, s[70:71]
	s_or_b64 s[18:19], s[18:19], exec
.LBB201_59:                             ;   in Loop: Header=BB201_60 Depth=2
	s_or_b64 exec, exec, s[20:21]
	v_cmp_le_i64_e32 vcc, s[26:27], v[24:25]
	s_xor_b64 s[18:19], s[18:19], -1
	s_or_b64 s[18:19], s[18:19], vcc
	v_add_co_u32_e32 v20, vcc, 16, v20
	v_addc_co_u32_e32 v21, vcc, 0, v21, vcc
	v_mov_b32_e32 v26, s67
	v_add_co_u32_e32 v22, vcc, s66, v22
	v_addc_co_u32_e32 v23, vcc, v23, v26, vcc
	s_and_b64 s[18:19], exec, s[18:19]
	v_add_co_u32_e32 v24, vcc, 4, v24
	s_or_b64 s[24:25], s[18:19], s[24:25]
	v_addc_co_u32_e32 v25, vcc, 0, v25, vcc
	s_andn2_b64 exec, exec, s[24:25]
	s_cbranch_execz .LBB201_65
.LBB201_60:                             ;   Parent Loop BB201_13 Depth=1
                                        ; =>  This Inner Loop Header: Depth=2
	global_load_dword v26, v[20:21], off
	s_waitcnt vmcnt(0)
	v_subrev_u32_e32 v26, s31, v26
	v_cmp_gt_i32_e64 s[18:19], s59, v26
	v_cmp_ge_i32_e64 s[20:21], v26, v0
	v_cmp_lt_i32_e32 vcc, v26, v0
	s_or_b64 s[20:21], s[18:19], s[20:21]
                                        ; implicit-def: $sgpr18_sgpr19
	s_and_saveexec_b64 s[70:71], s[20:21]
	s_xor_b64 s[20:21], exec, s[70:71]
; %bb.61:                               ;   in Loop: Header=BB201_60 Depth=2
	v_min_i32_e32 v26, v26, v7
	v_cndmask_b32_e32 v7, v26, v7, vcc
	s_and_b64 s[18:19], vcc, exec
                                        ; implicit-def: $vgpr26
; %bb.62:                               ;   in Loop: Header=BB201_60 Depth=2
	s_andn2_saveexec_b64 s[20:21], s[20:21]
	s_cbranch_execz .LBB201_59
; %bb.63:                               ;   in Loop: Header=BB201_60 Depth=2
	v_subrev_u32_e32 v26, s59, v26
	v_lshlrev_b32_e32 v27, 2, v26
	ds_write_b32 v27, v55 offset:10240
	s_and_saveexec_b64 s[70:71], s[4:5]
	s_cbranch_execz .LBB201_58
; %bb.64:                               ;   in Loop: Header=BB201_60 Depth=2
	global_load_dwordx2 v[28:29], v[22:23], off
	v_lshlrev_b32_e32 v26, 6, v26
	v_or3_b32 v30, v26, v40, v11
	s_waitcnt vmcnt(0)
	v_mul_f64 v[26:27], v[4:5], v[28:29]
	v_lshlrev_b32_e32 v28, 3, v30
	ds_add_f64 v28, v[26:27]
	s_branch .LBB201_58
.LBB201_65:                             ;   in Loop: Header=BB201_13 Depth=1
	s_or_b64 exec, exec, s[24:25]
.LBB201_66:                             ;   in Loop: Header=BB201_13 Depth=1
	s_or_b64 exec, exec, s[68:69]
.LBB201_67:                             ;   in Loop: Header=BB201_13 Depth=1
	s_and_saveexec_b64 s[18:19], s[6:7]
	s_cbranch_execz .LBB201_72
; %bb.68:                               ;   in Loop: Header=BB201_13 Depth=1
	s_mov_b64 s[20:21], exec
	s_brev_b32 s24, -2
.LBB201_69:                             ;   Parent Loop BB201_13 Depth=1
                                        ; =>  This Inner Loop Header: Depth=2
	s_ff1_i32_b64 s25, s[20:21]
	v_readlane_b32 s68, v7, s25
	s_lshl_b64 s[26:27], 1, s25
	s_min_i32 s24, s24, s68
	s_andn2_b64 s[20:21], s[20:21], s[26:27]
	s_cmp_lg_u64 s[20:21], 0
	s_cbranch_scc1 .LBB201_69
; %bb.70:                               ;   in Loop: Header=BB201_13 Depth=1
	v_mbcnt_lo_u32_b32 v0, exec_lo, 0
	v_mbcnt_hi_u32_b32 v0, exec_hi, v0
	v_cmp_eq_u32_e32 vcc, 0, v0
	s_and_saveexec_b64 s[20:21], vcc
	s_xor_b64 s[20:21], exec, s[20:21]
	s_cbranch_execz .LBB201_72
; %bb.71:                               ;   in Loop: Header=BB201_13 Depth=1
	v_mov_b32_e32 v0, s24
	ds_min_i32 v8, v0 offset:10304
.LBB201_72:                             ;   in Loop: Header=BB201_13 Depth=1
	s_or_b64 exec, exec, s[18:19]
	s_waitcnt lgkmcnt(0)
	s_barrier
	ds_read_b32 v0, v43
	s_waitcnt lgkmcnt(0)
	s_barrier
	s_and_saveexec_b64 s[18:19], s[10:11]
	s_cbranch_execz .LBB201_74
; %bb.73:                               ;   in Loop: Header=BB201_13 Depth=1
	ds_read_b32 v7, v44
	s_waitcnt lgkmcnt(0)
	v_add_u32_e32 v0, v7, v0
.LBB201_74:                             ;   in Loop: Header=BB201_13 Depth=1
	s_or_b64 exec, exec, s[18:19]
	s_barrier
	ds_write_b32 v43, v0
	s_waitcnt lgkmcnt(0)
	s_barrier
	s_and_saveexec_b64 s[18:19], s[12:13]
	s_cbranch_execz .LBB201_76
; %bb.75:                               ;   in Loop: Header=BB201_13 Depth=1
	ds_read_b32 v7, v46
	s_waitcnt lgkmcnt(0)
	v_add_u32_e32 v0, v7, v0
.LBB201_76:                             ;   in Loop: Header=BB201_13 Depth=1
	s_or_b64 exec, exec, s[18:19]
	s_barrier
	ds_write_b32 v43, v0
	;; [unrolled: 12-line block ×4, first 2 shown]
	s_waitcnt lgkmcnt(0)
	s_barrier
	ds_read_b32 v20, v8 offset:10300
	v_mov_b32_e32 v7, 0
	s_and_saveexec_b64 s[18:19], s[8:9]
	s_cbranch_execz .LBB201_82
; %bb.81:                               ;   in Loop: Header=BB201_13 Depth=1
	ds_read_b32 v7, v44
.LBB201_82:                             ;   in Loop: Header=BB201_13 Depth=1
	s_or_b64 exec, exec, s[18:19]
	s_waitcnt lgkmcnt(0)
	v_cmp_eq_u32_e32 vcc, v0, v7
	s_and_b64 s[20:21], s[8:9], vcc
	s_barrier
	s_and_saveexec_b64 s[18:19], s[20:21]
	s_cbranch_execz .LBB201_84
; %bb.83:                               ;   in Loop: Header=BB201_13 Depth=1
	ds_write_b32 v43, v8
.LBB201_84:                             ;   in Loop: Header=BB201_13 Depth=1
	s_or_b64 exec, exec, s[18:19]
	v_add_co_u32_e32 v21, vcc, -1, v18
	v_addc_co_u32_e32 v22, vcc, -1, v19, vcc
	s_add_i32 s24, s30, s59
	s_mov_b64 s[18:19], 0
	v_mov_b32_e32 v23, v54
	v_mov_b32_e32 v24, v36
	;; [unrolled: 1-line block ×3, first 2 shown]
	s_waitcnt lgkmcnt(0)
	s_barrier
	s_branch .LBB201_86
.LBB201_85:                             ;   in Loop: Header=BB201_86 Depth=2
	s_or_b64 exec, exec, s[20:21]
	v_add_u32_e32 v0, 4, v25
	v_cmp_lt_u32_e32 vcc, 11, v25
	v_add_u32_e32 v24, 0x800, v24
	v_add_u32_e32 v23, 16, v23
	s_or_b64 s[18:19], vcc, s[18:19]
	v_mov_b32_e32 v25, v0
	s_andn2_b64 exec, exec, s[18:19]
	s_cbranch_execz .LBB201_12
.LBB201_86:                             ;   Parent Loop BB201_13 Depth=1
                                        ; =>  This Inner Loop Header: Depth=2
	ds_read_b32 v0, v23
	s_waitcnt lgkmcnt(0)
	v_cmp_ne_u32_e32 vcc, 0, v0
	s_and_saveexec_b64 s[20:21], vcc
	s_cbranch_execz .LBB201_85
; %bb.87:                               ;   in Loop: Header=BB201_86 Depth=2
	v_ashrrev_i32_e32 v7, 31, v0
	v_add_co_u32_e32 v26, vcc, v18, v0
	v_addc_co_u32_e32 v27, vcc, v19, v7, vcc
	v_lshlrev_b64 v[26:27], 2, v[26:27]
	v_mov_b32_e32 v29, s86
	v_add_co_u32_e32 v26, vcc, s85, v26
	v_add_u32_e32 v28, s24, v25
	v_addc_co_u32_e32 v27, vcc, v29, v27, vcc
	global_store_dword v[26:27], v28, off
	s_and_b64 exec, exec, s[4:5]
	s_cbranch_execz .LBB201_85
; %bb.88:                               ;   in Loop: Header=BB201_86 Depth=2
	v_add_co_u32_e32 v0, vcc, v21, v0
	v_mad_u64_u32 v[28:29], s[26:27], v0, s58, 0
	v_addc_co_u32_e32 v7, vcc, v22, v7, vcc
	v_mov_b32_e32 v0, v29
	ds_read_b64 v[26:27], v24
	v_mad_u64_u32 v[30:31], s[26:27], v7, s58, v[0:1]
	v_mov_b32_e32 v29, v30
	v_lshlrev_b64 v[28:29], 3, v[28:29]
	v_add_co_u32_e32 v28, vcc, v10, v28
	v_addc_co_u32_e32 v29, vcc, v1, v29, vcc
	s_waitcnt lgkmcnt(0)
	global_store_dwordx2 v[28:29], v[26:27], off
	s_branch .LBB201_85
.LBB201_89:
	s_endpgm
	.section	.rodata,"a",@progbits
	.p2align	6, 0x0
	.amdhsa_kernel _ZN9rocsparseL38bsrgemm_block_per_row_atomic_multipassILj256ELj16ELj8ElidEEv20rocsparse_direction_T3_S2_PKS2_S4_NS_24const_host_device_scalarIT4_EEPKT2_S4_PKS6_SA_S4_SC_S7_SA_S4_SC_SA_PS2_PS6_PS8_21rocsparse_index_base_SG_SG_SG_bbb
		.amdhsa_group_segment_fixed_size 10312
		.amdhsa_private_segment_fixed_size 0
		.amdhsa_kernarg_size 172
		.amdhsa_user_sgpr_count 6
		.amdhsa_user_sgpr_private_segment_buffer 1
		.amdhsa_user_sgpr_dispatch_ptr 0
		.amdhsa_user_sgpr_queue_ptr 0
		.amdhsa_user_sgpr_kernarg_segment_ptr 1
		.amdhsa_user_sgpr_dispatch_id 0
		.amdhsa_user_sgpr_flat_scratch_init 0
		.amdhsa_user_sgpr_kernarg_preload_length 0
		.amdhsa_user_sgpr_kernarg_preload_offset 0
		.amdhsa_user_sgpr_private_segment_size 0
		.amdhsa_uses_dynamic_stack 0
		.amdhsa_system_sgpr_private_segment_wavefront_offset 0
		.amdhsa_system_sgpr_workgroup_id_x 1
		.amdhsa_system_sgpr_workgroup_id_y 0
		.amdhsa_system_sgpr_workgroup_id_z 0
		.amdhsa_system_sgpr_workgroup_info 0
		.amdhsa_system_vgpr_workitem_id 0
		.amdhsa_next_free_vgpr 63
		.amdhsa_next_free_sgpr 87
		.amdhsa_accum_offset 64
		.amdhsa_reserve_vcc 1
		.amdhsa_reserve_flat_scratch 0
		.amdhsa_float_round_mode_32 0
		.amdhsa_float_round_mode_16_64 0
		.amdhsa_float_denorm_mode_32 3
		.amdhsa_float_denorm_mode_16_64 3
		.amdhsa_dx10_clamp 1
		.amdhsa_ieee_mode 1
		.amdhsa_fp16_overflow 0
		.amdhsa_tg_split 0
		.amdhsa_exception_fp_ieee_invalid_op 0
		.amdhsa_exception_fp_denorm_src 0
		.amdhsa_exception_fp_ieee_div_zero 0
		.amdhsa_exception_fp_ieee_overflow 0
		.amdhsa_exception_fp_ieee_underflow 0
		.amdhsa_exception_fp_ieee_inexact 0
		.amdhsa_exception_int_div_zero 0
	.end_amdhsa_kernel
	.section	.text._ZN9rocsparseL38bsrgemm_block_per_row_atomic_multipassILj256ELj16ELj8ElidEEv20rocsparse_direction_T3_S2_PKS2_S4_NS_24const_host_device_scalarIT4_EEPKT2_S4_PKS6_SA_S4_SC_S7_SA_S4_SC_SA_PS2_PS6_PS8_21rocsparse_index_base_SG_SG_SG_bbb,"axG",@progbits,_ZN9rocsparseL38bsrgemm_block_per_row_atomic_multipassILj256ELj16ELj8ElidEEv20rocsparse_direction_T3_S2_PKS2_S4_NS_24const_host_device_scalarIT4_EEPKT2_S4_PKS6_SA_S4_SC_S7_SA_S4_SC_SA_PS2_PS6_PS8_21rocsparse_index_base_SG_SG_SG_bbb,comdat
.Lfunc_end201:
	.size	_ZN9rocsparseL38bsrgemm_block_per_row_atomic_multipassILj256ELj16ELj8ElidEEv20rocsparse_direction_T3_S2_PKS2_S4_NS_24const_host_device_scalarIT4_EEPKT2_S4_PKS6_SA_S4_SC_S7_SA_S4_SC_SA_PS2_PS6_PS8_21rocsparse_index_base_SG_SG_SG_bbb, .Lfunc_end201-_ZN9rocsparseL38bsrgemm_block_per_row_atomic_multipassILj256ELj16ELj8ElidEEv20rocsparse_direction_T3_S2_PKS2_S4_NS_24const_host_device_scalarIT4_EEPKT2_S4_PKS6_SA_S4_SC_S7_SA_S4_SC_SA_PS2_PS6_PS8_21rocsparse_index_base_SG_SG_SG_bbb
                                        ; -- End function
	.section	.AMDGPU.csdata,"",@progbits
; Kernel info:
; codeLenInByte = 3212
; NumSgprs: 91
; NumVgprs: 63
; NumAgprs: 0
; TotalNumVgprs: 63
; ScratchSize: 0
; MemoryBound: 0
; FloatMode: 240
; IeeeMode: 1
; LDSByteSize: 10312 bytes/workgroup (compile time only)
; SGPRBlocks: 11
; VGPRBlocks: 7
; NumSGPRsForWavesPerEU: 91
; NumVGPRsForWavesPerEU: 63
; AccumOffset: 64
; Occupancy: 6
; WaveLimiterHint : 1
; COMPUTE_PGM_RSRC2:SCRATCH_EN: 0
; COMPUTE_PGM_RSRC2:USER_SGPR: 6
; COMPUTE_PGM_RSRC2:TRAP_HANDLER: 0
; COMPUTE_PGM_RSRC2:TGID_X_EN: 1
; COMPUTE_PGM_RSRC2:TGID_Y_EN: 0
; COMPUTE_PGM_RSRC2:TGID_Z_EN: 0
; COMPUTE_PGM_RSRC2:TIDIG_COMP_CNT: 0
; COMPUTE_PGM_RSRC3_GFX90A:ACCUM_OFFSET: 15
; COMPUTE_PGM_RSRC3_GFX90A:TG_SPLIT: 0
	.section	.text._ZN9rocsparseL38bsrgemm_block_per_row_atomic_multipassILj256ELj32ELj8ElidEEv20rocsparse_direction_T3_S2_PKS2_S4_NS_24const_host_device_scalarIT4_EEPKT2_S4_PKS6_SA_S4_SC_S7_SA_S4_SC_SA_PS2_PS6_PS8_21rocsparse_index_base_SG_SG_SG_bbb,"axG",@progbits,_ZN9rocsparseL38bsrgemm_block_per_row_atomic_multipassILj256ELj32ELj8ElidEEv20rocsparse_direction_T3_S2_PKS2_S4_NS_24const_host_device_scalarIT4_EEPKT2_S4_PKS6_SA_S4_SC_S7_SA_S4_SC_SA_PS2_PS6_PS8_21rocsparse_index_base_SG_SG_SG_bbb,comdat
	.globl	_ZN9rocsparseL38bsrgemm_block_per_row_atomic_multipassILj256ELj32ELj8ElidEEv20rocsparse_direction_T3_S2_PKS2_S4_NS_24const_host_device_scalarIT4_EEPKT2_S4_PKS6_SA_S4_SC_S7_SA_S4_SC_SA_PS2_PS6_PS8_21rocsparse_index_base_SG_SG_SG_bbb ; -- Begin function _ZN9rocsparseL38bsrgemm_block_per_row_atomic_multipassILj256ELj32ELj8ElidEEv20rocsparse_direction_T3_S2_PKS2_S4_NS_24const_host_device_scalarIT4_EEPKT2_S4_PKS6_SA_S4_SC_S7_SA_S4_SC_SA_PS2_PS6_PS8_21rocsparse_index_base_SG_SG_SG_bbb
	.p2align	8
	.type	_ZN9rocsparseL38bsrgemm_block_per_row_atomic_multipassILj256ELj32ELj8ElidEEv20rocsparse_direction_T3_S2_PKS2_S4_NS_24const_host_device_scalarIT4_EEPKT2_S4_PKS6_SA_S4_SC_S7_SA_S4_SC_SA_PS2_PS6_PS8_21rocsparse_index_base_SG_SG_SG_bbb,@function
_ZN9rocsparseL38bsrgemm_block_per_row_atomic_multipassILj256ELj32ELj8ElidEEv20rocsparse_direction_T3_S2_PKS2_S4_NS_24const_host_device_scalarIT4_EEPKT2_S4_PKS6_SA_S4_SC_S7_SA_S4_SC_SA_PS2_PS6_PS8_21rocsparse_index_base_SG_SG_SG_bbb: ; @_ZN9rocsparseL38bsrgemm_block_per_row_atomic_multipassILj256ELj32ELj8ElidEEv20rocsparse_direction_T3_S2_PKS2_S4_NS_24const_host_device_scalarIT4_EEPKT2_S4_PKS6_SA_S4_SC_S7_SA_S4_SC_SA_PS2_PS6_PS8_21rocsparse_index_base_SG_SG_SG_bbb
; %bb.0:
	s_load_dword s7, s[4:5], 0xa8
	s_load_dwordx4 s[52:55], s[4:5], 0x98
	s_load_dwordx2 s[8:9], s[4:5], 0x20
	s_waitcnt lgkmcnt(0)
	s_and_b32 s0, 1, s7
	s_bitcmp1_b32 s7, 16
	s_cselect_b64 s[2:3], -1, 0
	s_cmp_eq_u32 s0, 1
	s_load_dwordx2 s[0:1], s[4:5], 0x58
	s_cselect_b64 s[10:11], -1, 0
	s_and_b64 s[12:13], s[10:11], exec
	s_cselect_b32 s13, s9, 0
	s_cselect_b32 s12, s8, 0
	s_xor_b64 s[14:15], s[10:11], -1
	s_or_b64 s[14:15], s[14:15], s[2:3]
	s_and_b64 vcc, exec, s[14:15]
	v_pk_mov_b32 v[2:3], s[12:13], s[12:13] op_sel:[0,1]
	s_cbranch_vccnz .LBB202_2
; %bb.1:
	v_pk_mov_b32 v[2:3], s[8:9], s[8:9] op_sel:[0,1]
	flat_load_dwordx2 v[2:3], v[2:3]
.LBB202_2:
	s_bitcmp1_b32 s7, 8
	s_load_dwordx2 s[8:9], s[4:5], 0x18
	s_cselect_b64 s[34:35], -1, 0
	s_and_b64 s[12:13], s[34:35], exec
	s_waitcnt lgkmcnt(0)
	s_cselect_b32 s13, s1, 0
	s_cselect_b32 s12, s0, 0
	s_xor_b64 s[14:15], s[34:35], -1
	s_or_b64 s[2:3], s[14:15], s[2:3]
	s_and_b64 vcc, exec, s[2:3]
	v_pk_mov_b32 v[4:5], s[12:13], s[12:13] op_sel:[0,1]
	s_cbranch_vccnz .LBB202_4
; %bb.3:
	v_pk_mov_b32 v[4:5], s[0:1], s[0:1] op_sel:[0,1]
	flat_load_dwordx2 v[4:5], v[4:5]
.LBB202_4:
	s_load_dwordx2 s[2:3], s[4:5], 0x28
	s_cmp_eq_u64 s[8:9], 0
	s_mov_b64 s[60:61], 0
	s_cbranch_scc1 .LBB202_6
; %bb.5:
	s_load_dwordx2 s[0:1], s[4:5], 0x10
	s_waitcnt lgkmcnt(0)
	s_load_dword s0, s[0:1], 0x0
	s_mov_b32 s1, 0
	s_waitcnt lgkmcnt(0)
	s_add_i32 s0, s0, s6
	s_lshl_b64 s[0:1], s[0:1], 2
	s_add_u32 s0, s8, s0
	s_addc_u32 s1, s9, s1
	s_load_dword s6, s[0:1], 0x0
.LBB202_6:
	v_cndmask_b32_e64 v1, 0, 1, s[10:11]
	v_cmp_ne_u32_e64 s[0:1], 1, v1
	s_andn2_b64 vcc, exec, s[10:11]
	s_cbranch_vccz .LBB202_9
; %bb.7:
	s_and_b64 vcc, exec, s[0:1]
	s_mov_b64 s[62:63], 0
	s_cbranch_vccz .LBB202_10
.LBB202_8:
	s_load_dwordx4 s[56:59], s[4:5], 0x0
	s_waitcnt lgkmcnt(0)
	s_cmp_lt_i32 s57, 1
	s_cbranch_scc0 .LBB202_11
	s_branch .LBB202_95
.LBB202_9:
	s_waitcnt lgkmcnt(0)
	s_ashr_i32 s7, s6, 31
	s_lshl_b64 s[8:9], s[6:7], 3
	s_add_u32 s8, s2, s8
	s_addc_u32 s9, s3, s9
	s_load_dwordx2 s[8:9], s[8:9], 0x0
	s_waitcnt lgkmcnt(0)
	s_sub_u32 s60, s8, s52
	s_subb_u32 s61, s9, 0
	s_and_b64 vcc, exec, s[0:1]
	s_mov_b64 s[62:63], 0
	s_cbranch_vccnz .LBB202_8
.LBB202_10:
	s_waitcnt lgkmcnt(0)
	s_ashr_i32 s7, s6, 31
	s_lshl_b64 s[0:1], s[6:7], 3
	s_add_u32 s0, s2, s0
	s_addc_u32 s1, s3, s1
	s_load_dwordx2 s[0:1], s[0:1], 0x8
	s_waitcnt lgkmcnt(0)
	s_sub_u32 s62, s0, s52
	s_subb_u32 s63, s1, 0
	s_load_dwordx4 s[56:59], s[4:5], 0x0
	s_waitcnt lgkmcnt(0)
	s_cmp_lt_i32 s57, 1
	s_cbranch_scc1 .LBB202_95
.LBB202_11:
	s_load_dwordx2 s[64:65], s[4:5], 0x90
	s_load_dwordx4 s[28:31], s[4:5], 0x80
	s_load_dwordx8 s[36:43], s[4:5], 0x60
	s_load_dwordx2 s[26:27], s[4:5], 0x50
	s_load_dwordx8 s[44:51], s[4:5], 0x30
	v_pk_mov_b32 v[8:9], s[62:63], s[62:63] op_sel:[0,1]
	v_bfe_u32 v7, v0, 3, 3
	v_cmp_lt_i64_e32 vcc, s[60:61], v[8:9]
	v_mov_b32_e32 v8, 0
	v_and_b32_e32 v11, 7, v0
	v_mul_lo_u32 v12, v7, s58
	v_mov_b32_e32 v13, v8
	s_ashr_i32 s7, s6, 31
	v_max_i32_e32 v9, v11, v7
	v_lshlrev_b64 v[12:13], 3, v[12:13]
	s_lshl_b64 s[8:9], s[6:7], 3
	v_cmp_gt_i32_e64 s[4:5], s58, v9
	s_waitcnt lgkmcnt(0)
	v_mov_b32_e32 v7, s47
	v_add_co_u32_e64 v9, s[6:7], s46, v12
	v_addc_co_u32_e64 v7, s[6:7], v7, v13, s[6:7]
	v_lshlrev_b32_e32 v16, 3, v11
	v_add_co_u32_e64 v40, s[6:7], v9, v16
	v_mul_lo_u32 v14, v11, s58
	v_mov_b32_e32 v15, v8
	v_addc_co_u32_e64 v41, s[6:7], 0, v7, s[6:7]
	v_lshlrev_b64 v[14:15], 3, v[14:15]
	v_mov_b32_e32 v7, s31
	v_add_co_u32_e64 v9, s[6:7], s30, v14
	v_and_b32_e32 v42, 56, v0
	v_addc_co_u32_e64 v10, s[6:7], v7, v15, s[6:7]
	v_add_co_u32_e64 v9, s[6:7], v9, v42
	v_addc_co_u32_e64 v10, s[6:7], 0, v10, s[6:7]
	v_add_co_u32_e64 v17, s[6:7], s30, v12
	v_addc_co_u32_e64 v7, s[6:7], v7, v13, s[6:7]
	s_add_u32 s0, s42, s8
	v_add_co_u32_e64 v17, s[6:7], v17, v16
	s_addc_u32 s1, s43, s9
	v_lshrrev_b32_e32 v6, 6, v0
	v_addc_co_u32_e64 v7, s[6:7], 0, v7, s[6:7]
	s_load_dwordx2 s[0:1], s[0:1], 0x0
	v_subrev_co_u32_e64 v43, s[6:7], s55, v6
	v_subb_co_u32_e64 v44, s[6:7], 0, 0, s[6:7]
	v_mov_b32_e32 v18, s41
	v_add_co_u32_e64 v19, s[6:7], s40, v14
	v_addc_co_u32_e64 v20, s[6:7], v18, v15, s[6:7]
	v_add_co_u32_e64 v19, s[6:7], v19, v42
	s_waitcnt lgkmcnt(0)
	s_sub_u32 s72, s0, s54
	v_addc_co_u32_e64 v20, s[6:7], 0, v20, s[6:7]
	s_subb_u32 s73, s1, 0
	v_add_co_u32_e64 v12, s[6:7], s40, v12
	s_cmp_eq_u32 s56, 0
	v_addc_co_u32_e64 v13, s[6:7], v18, v13, s[6:7]
	s_cselect_b64 s[20:21], -1, 0
	s_cmp_lg_u32 s56, 0
	v_add_co_u32_e64 v12, s[6:7], v12, v16
	v_and_b32_e32 v1, 63, v0
	s_cselect_b64 s[46:47], -1, 0
	s_cmp_gt_i32 s58, 0
	v_addc_co_u32_e64 v13, s[6:7], 0, v13, s[6:7]
	s_cselect_b64 s[30:31], -1, 0
	s_add_u32 s36, s36, s8
	v_cmp_eq_u32_e64 s[6:7], 63, v1
	v_and_b32_e32 v1, 31, v0
	v_mov_b32_e32 v22, 0x4800
	s_movk_i32 s22, 0x200
	s_movk_i32 s24, 0x100
	v_cmp_gt_u32_e64 s[0:1], 32, v0
	v_cmp_eq_u32_e64 s[2:3], 0, v0
	v_lshlrev_b32_e32 v38, 3, v0
	s_movk_i32 s59, 0x4000
	s_addc_u32 s37, s37, s9
	v_lshlrev_b32_e32 v18, 2, v1
	v_add_co_u32_e64 v21, s[8:9], -1, v1
	v_lshl_or_b32 v47, v0, 2, v22
	s_and_b64 s[40:41], s[10:11], vcc
	v_cmp_ne_u32_e64 s[10:11], 0, v1
	v_cmp_lt_u32_e64 s[12:13], 1, v1
	v_cmp_lt_u32_e64 s[14:15], 3, v1
	;; [unrolled: 1-line block ×4, first 2 shown]
	v_cndmask_b32_e64 v1, v10, v7, s[20:21]
	v_or_b32_e32 v7, 0x400, v0
	v_cmp_gt_u32_e64 s[22:23], s22, v0
	v_cmp_gt_u32_e64 s[24:25], s24, v0
	v_lshlrev_b32_e32 v0, 9, v6
	v_or3_b32 v52, v0, v42, s59
	v_mov_b32_e32 v0, s27
	v_add_co_u32_e32 v14, vcc, s26, v14
	v_addc_co_u32_e32 v15, vcc, v0, v15, vcc
	s_add_u32 s89, s48, 8
	v_add_co_u32_e32 v16, vcc, s26, v16
	s_mov_b32 s43, 0
	v_cndmask_b32_e64 v10, v9, v17, s[20:21]
	s_addc_u32 s90, s49, 0
	v_addc_co_u32_e32 v17, vcc, 0, v0, vcc
	s_mul_i32 s42, s58, s58
	v_cndmask_b32_e64 v13, v20, v13, s[20:21]
	v_cndmask_b32_e64 v12, v19, v12, s[20:21]
	s_movk_i32 s20, 0x700
	s_add_u32 s91, s28, -4
	s_mov_b32 s59, s43
	v_and_b32_e32 v0, 0x7c0, v38
	v_add_co_u32_e32 v54, vcc, 4, v43
	s_mov_b32 s26, s43
	s_mov_b32 s27, s43
	v_or_b32_e32 v39, 0x4000, v38
	s_mov_b32 s33, s53
	s_mov_b32 s88, s43
	;; [unrolled: 1-line block ×3, first 2 shown]
	v_or_b32_e32 v45, 0x4800, v18
	v_lshl_add_u32 v46, v21, 2, v22
	v_add_u32_e32 v48, 0x47f8, v18
	v_add_u32_e32 v49, 0x47f0, v18
	;; [unrolled: 1-line block ×4, first 2 shown]
	v_cmp_gt_u32_e64 s[20:21], s20, v7
	s_addc_u32 s92, s29, -1
	s_lshl_b64 s[66:67], s[42:43], 3
	s_lshl_b64 s[68:69], s[58:59], 3
	v_or_b32_e32 v53, 0x4000, v0
	s_lshl_b64 s[70:71], s[42:43], 5
	v_addc_co_u32_e32 v55, vcc, 0, v44, vcc
	v_lshl_or_b32 v56, v6, 2, v22
	v_mov_b32_e32 v0, 32
	v_pk_mov_b32 v[18:19], s[72:73], s[72:73] op_sel:[0,1]
	v_pk_mov_b32 v[20:21], s[26:27], s[26:27] op_sel:[0,1]
	v_mov_b32_e32 v57, 1
	v_cndmask_b32_e64 v58, 0, 1, s[30:31]
	s_branch .LBB202_13
.LBB202_12:                             ;   in Loop: Header=BB202_13 Depth=1
	s_or_b64 exec, exec, s[26:27]
	s_barrier
	ds_read_b32 v7, v8 offset:18560
	v_ashrrev_i32_e32 v0, 31, v9
	v_add_co_u32_e32 v18, vcc, v18, v9
	v_addc_co_u32_e32 v19, vcc, v19, v0, vcc
	s_waitcnt lgkmcnt(0)
	v_cmp_le_i32_e32 vcc, s57, v7
	v_readfirstlane_b32 s43, v7
	v_add_u32_e32 v0, 32, v7
	s_barrier
	s_cbranch_vccnz .LBB202_95
.LBB202_13:                             ; =>This Loop Header: Depth=1
                                        ;     Child Loop BB202_26 Depth 2
                                        ;       Child Loop BB202_39 Depth 3
                                        ;         Child Loop BB202_48 Depth 4
                                        ;         Child Loop BB202_53 Depth 4
                                        ;     Child Loop BB202_64 Depth 2
                                        ;     Child Loop BB202_73 Depth 2
	;; [unrolled: 1-line block ×3, first 2 shown]
	s_and_saveexec_b64 s[26:27], s[0:1]
	s_cbranch_execz .LBB202_15
; %bb.14:                               ;   in Loop: Header=BB202_13 Depth=1
	ds_write_b32 v47, v8
.LBB202_15:                             ;   in Loop: Header=BB202_13 Depth=1
	s_or_b64 exec, exec, s[26:27]
	ds_write2st64_b64 v38, v[20:21], v[20:21] offset1:4
	ds_write2st64_b64 v38, v[20:21], v[20:21] offset0:8 offset1:12
	ds_write_b64 v38, v[20:21] offset:8192
	s_and_saveexec_b64 s[26:27], s[20:21]
	s_xor_b64 s[26:27], exec, s[26:27]
	s_cbranch_execz .LBB202_21
; %bb.16:                               ;   in Loop: Header=BB202_13 Depth=1
	v_mov_b32_e32 v9, v8
	ds_write_b64 v38, v[8:9] offset:10240
	s_and_saveexec_b64 s[28:29], s[22:23]
	s_xor_b64 s[28:29], exec, s[28:29]
	s_cbranch_execz .LBB202_20
; %bb.17:                               ;   in Loop: Header=BB202_13 Depth=1
	ds_write_b64 v38, v[8:9] offset:12288
	s_and_saveexec_b64 s[30:31], s[24:25]
	s_xor_b64 s[30:31], exec, s[30:31]
	s_cbranch_execz .LBB202_19
; %bb.18:                               ;   in Loop: Header=BB202_13 Depth=1
	v_mov_b32_e32 v9, v8
	ds_write_b64 v38, v[8:9] offset:14336
.LBB202_19:                             ;   in Loop: Header=BB202_13 Depth=1
	s_or_b64 exec, exec, s[30:31]
.LBB202_20:                             ;   in Loop: Header=BB202_13 Depth=1
	s_or_b64 exec, exec, s[28:29]
.LBB202_21:                             ;   in Loop: Header=BB202_13 Depth=1
	s_or_b64 exec, exec, s[26:27]
	s_and_saveexec_b64 s[26:27], s[2:3]
	s_cbranch_execz .LBB202_23
; %bb.22:                               ;   in Loop: Header=BB202_13 Depth=1
	v_mov_b32_e32 v7, s57
	ds_write_b32 v8, v7 offset:18560
.LBB202_23:                             ;   in Loop: Header=BB202_13 Depth=1
	s_or_b64 exec, exec, s[26:27]
	s_andn2_b64 vcc, exec, s[40:41]
	v_mov_b32_e32 v7, s57
	s_waitcnt lgkmcnt(0)
	s_barrier
	s_cbranch_vccnz .LBB202_59
; %bb.24:                               ;   in Loop: Header=BB202_13 Depth=1
	s_cmp_lg_u32 s43, 0
	s_cselect_b64 s[30:31], -1, 0
	v_mov_b32_e32 v7, s57
	s_mov_b64 s[72:73], s[60:61]
	s_branch .LBB202_26
.LBB202_25:                             ;   in Loop: Header=BB202_26 Depth=2
	s_or_b64 exec, exec, s[28:29]
	s_add_u32 s72, s72, 4
	s_addc_u32 s73, s73, 0
	v_pk_mov_b32 v[22:23], s[62:63], s[62:63] op_sel:[0,1]
	v_cmp_lt_i64_e32 vcc, s[72:73], v[22:23]
	s_cbranch_vccz .LBB202_59
.LBB202_26:                             ;   Parent Loop BB202_13 Depth=1
                                        ; =>  This Loop Header: Depth=2
                                        ;       Child Loop BB202_39 Depth 3
                                        ;         Child Loop BB202_48 Depth 4
                                        ;         Child Loop BB202_53 Depth 4
	v_mov_b32_e32 v9, s73
	v_add_co_u32_e32 v22, vcc, s72, v6
	v_addc_co_u32_e32 v23, vcc, 0, v9, vcc
	v_cmp_gt_i64_e64 s[26:27], s[62:63], v[22:23]
	s_barrier
	s_and_saveexec_b64 s[28:29], s[26:27]
	s_cbranch_execz .LBB202_30
; %bb.27:                               ;   in Loop: Header=BB202_26 Depth=2
	v_pk_mov_b32 v[24:25], 0, 0
	s_and_saveexec_b64 s[74:75], s[4:5]
	s_cbranch_execz .LBB202_29
; %bb.28:                               ;   in Loop: Header=BB202_26 Depth=2
	v_mad_u64_u32 v[24:25], s[76:77], v22, s42, 0
	v_mov_b32_e32 v26, v25
	v_mad_u64_u32 v[26:27], s[76:77], v23, s42, v[26:27]
	v_mov_b32_e32 v25, v26
	v_lshlrev_b64 v[24:25], 3, v[24:25]
	v_add_co_u32_e32 v24, vcc, v40, v24
	v_addc_co_u32_e32 v25, vcc, v41, v25, vcc
	global_load_dwordx2 v[24:25], v[24:25], off
.LBB202_29:                             ;   in Loop: Header=BB202_26 Depth=2
	s_or_b64 exec, exec, s[74:75]
	s_waitcnt vmcnt(0)
	ds_write_b64 v39, v[24:25]
.LBB202_30:                             ;   in Loop: Header=BB202_26 Depth=2
	s_or_b64 exec, exec, s[28:29]
	v_pk_mov_b32 v[24:25], 0, 0
	s_waitcnt lgkmcnt(0)
	s_barrier
	s_and_saveexec_b64 s[74:75], s[26:27]
	s_cbranch_execz .LBB202_56
; %bb.31:                               ;   in Loop: Header=BB202_26 Depth=2
	v_lshlrev_b64 v[24:25], 2, v[22:23]
	v_mov_b32_e32 v9, s45
	v_add_co_u32_e32 v24, vcc, s44, v24
	v_addc_co_u32_e32 v25, vcc, v9, v25, vcc
	global_load_dword v9, v[24:25], off
	s_and_b64 vcc, exec, s[30:31]
	s_waitcnt vmcnt(0)
	v_subrev_u32_e32 v26, s52, v9
	v_ashrrev_i32_e32 v27, 31, v26
	s_cbranch_vccz .LBB202_58
; %bb.32:                               ;   in Loop: Header=BB202_26 Depth=2
	v_lshlrev_b64 v[24:25], 3, v[22:23]
	v_mov_b32_e32 v9, s65
	v_add_co_u32_e32 v24, vcc, s64, v24
	v_addc_co_u32_e32 v25, vcc, v9, v25, vcc
	global_load_dwordx2 v[24:25], v[24:25], off
	s_cbranch_execnz .LBB202_34
.LBB202_33:                             ;   in Loop: Header=BB202_26 Depth=2
	s_waitcnt vmcnt(0)
	v_lshlrev_b64 v[24:25], 3, v[26:27]
	v_mov_b32_e32 v9, s49
	v_add_co_u32_e32 v24, vcc, s48, v24
	v_addc_co_u32_e32 v25, vcc, v9, v25, vcc
	global_load_dwordx2 v[24:25], v[24:25], off
	v_mov_b32_e32 v9, s88
	s_waitcnt vmcnt(0)
	v_subrev_co_u32_e32 v24, vcc, s33, v24
	v_subb_co_u32_e32 v25, vcc, v25, v9, vcc
.LBB202_34:                             ;   in Loop: Header=BB202_26 Depth=2
	v_lshlrev_b64 v[26:27], 3, v[26:27]
	v_mov_b32_e32 v9, s90
	v_add_co_u32_e32 v26, vcc, s89, v26
	v_addc_co_u32_e32 v27, vcc, v9, v27, vcc
	global_load_dwordx2 v[26:27], v[26:27], off
	v_mov_b32_e32 v9, s88
	s_waitcnt vmcnt(0)
	v_subrev_co_u32_e32 v26, vcc, s33, v26
	v_subb_co_u32_e32 v27, vcc, v27, v9, vcc
	v_cmp_lt_i64_e32 vcc, v[24:25], v[26:27]
	s_and_saveexec_b64 s[76:77], vcc
	s_cbranch_execz .LBB202_55
; %bb.35:                               ;   in Loop: Header=BB202_26 Depth=2
	v_mad_u64_u32 v[28:29], s[28:29], s66, v24, v[14:15]
	v_mul_lo_u32 v9, s66, v25
	v_mul_lo_u32 v32, s67, v24
	v_mad_u64_u32 v[30:31], s[28:29], s66, v24, v[16:17]
	v_add3_u32 v29, v32, v29, v9
	v_add3_u32 v31, v32, v31, v9
	s_mov_b64 s[78:79], 0
	v_pk_mov_b32 v[32:33], v[24:25], v[24:25] op_sel:[0,1]
	s_branch .LBB202_39
.LBB202_36:                             ;   in Loop: Header=BB202_39 Depth=3
	v_lshlrev_b32_e32 v9, 6, v9
	v_or3_b32 v9, v9, v42, v11
	v_lshlrev_b32_e32 v9, 3, v9
	v_mul_f64 v[34:35], v[2:3], v[34:35]
	ds_add_f64 v9, v[34:35]
.LBB202_37:                             ;   in Loop: Header=BB202_39 Depth=3
	s_or_b64 exec, exec, s[84:85]
	s_or_b64 s[80:81], s[80:81], exec
.LBB202_38:                             ;   in Loop: Header=BB202_39 Depth=3
	s_or_b64 exec, exec, s[82:83]
	v_add_co_u32_e32 v24, vcc, 1, v24
	v_addc_co_u32_e32 v25, vcc, 0, v25, vcc
	v_cmp_ge_i64_e32 vcc, v[24:25], v[26:27]
	s_xor_b64 s[28:29], s[80:81], -1
	s_or_b64 s[28:29], s[28:29], vcc
	v_mov_b32_e32 v9, s67
	v_add_co_u32_e32 v28, vcc, s66, v28
	v_addc_co_u32_e32 v29, vcc, v29, v9, vcc
	s_and_b64 s[28:29], exec, s[28:29]
	v_add_co_u32_e32 v30, vcc, s66, v30
	s_or_b64 s[78:79], s[28:29], s[78:79]
	v_addc_co_u32_e32 v31, vcc, v31, v9, vcc
	s_andn2_b64 exec, exec, s[78:79]
	s_cbranch_execz .LBB202_54
.LBB202_39:                             ;   Parent Loop BB202_13 Depth=1
                                        ;     Parent Loop BB202_26 Depth=2
                                        ; =>    This Loop Header: Depth=3
                                        ;         Child Loop BB202_48 Depth 4
                                        ;         Child Loop BB202_53 Depth 4
	v_lshlrev_b64 v[34:35], 2, v[24:25]
	v_mov_b32_e32 v9, s51
	v_add_co_u32_e32 v34, vcc, s50, v34
	v_addc_co_u32_e32 v35, vcc, v9, v35, vcc
	global_load_dword v9, v[34:35], off
                                        ; implicit-def: $sgpr80_sgpr81
	s_waitcnt vmcnt(0)
	v_subrev_u32_e32 v9, s53, v9
	v_cmp_gt_i32_e64 s[28:29], s43, v9
	v_cmp_ge_i32_e32 vcc, v9, v0
	s_or_b64 s[28:29], s[28:29], vcc
	s_and_saveexec_b64 s[82:83], s[28:29]
	s_xor_b64 s[28:29], exec, s[82:83]
	s_cbranch_execz .LBB202_43
; %bb.40:                               ;   in Loop: Header=BB202_39 Depth=3
	s_mov_b64 s[80:81], -1
	s_and_saveexec_b64 s[82:83], vcc
; %bb.41:                               ;   in Loop: Header=BB202_39 Depth=3
	v_min_i32_e32 v7, v9, v7
	s_xor_b64 s[80:81], exec, -1
	v_pk_mov_b32 v[32:33], v[24:25], v[24:25] op_sel:[0,1]
; %bb.42:                               ;   in Loop: Header=BB202_39 Depth=3
	s_or_b64 exec, exec, s[82:83]
	s_and_b64 s[80:81], s[80:81], exec
                                        ; implicit-def: $vgpr9
.LBB202_43:                             ;   in Loop: Header=BB202_39 Depth=3
	s_andn2_saveexec_b64 s[82:83], s[28:29]
	s_cbranch_execz .LBB202_38
; %bb.44:                               ;   in Loop: Header=BB202_39 Depth=3
	v_subrev_u32_e32 v9, s43, v9
	v_lshlrev_b32_e32 v34, 2, v9
	ds_write_b32 v34, v57 offset:18432
	s_and_saveexec_b64 s[84:85], s[4:5]
	s_cbranch_execz .LBB202_37
; %bb.45:                               ;   in Loop: Header=BB202_39 Depth=3
	s_andn2_b64 vcc, exec, s[46:47]
	v_cmp_ne_u32_e64 s[28:29], 1, v58
	s_cbranch_vccnz .LBB202_50
; %bb.46:                               ;   in Loop: Header=BB202_39 Depth=3
	v_pk_mov_b32 v[34:35], 0, 0
	s_and_b64 vcc, exec, s[28:29]
	s_cbranch_vccnz .LBB202_49
; %bb.47:                               ;   in Loop: Header=BB202_39 Depth=3
	v_pk_mov_b32 v[36:37], v[28:29], v[28:29] op_sel:[0,1]
	s_mov_b32 s59, s58
	v_mov_b32_e32 v59, v52
.LBB202_48:                             ;   Parent Loop BB202_13 Depth=1
                                        ;     Parent Loop BB202_26 Depth=2
                                        ;       Parent Loop BB202_39 Depth=3
                                        ; =>      This Inner Loop Header: Depth=4
	global_load_dwordx2 v[60:61], v[36:37], off
	ds_read_b64 v[62:63], v59
	s_add_i32 s59, s59, -1
	v_add_co_u32_e32 v36, vcc, 8, v36
	v_add_u32_e32 v59, 64, v59
	v_addc_co_u32_e32 v37, vcc, 0, v37, vcc
	s_cmp_lg_u32 s59, 0
	s_waitcnt vmcnt(0) lgkmcnt(0)
	v_fmac_f64_e32 v[34:35], v[62:63], v[60:61]
	s_cbranch_scc1 .LBB202_48
.LBB202_49:                             ;   in Loop: Header=BB202_39 Depth=3
	s_cbranch_execnz .LBB202_36
	s_branch .LBB202_51
.LBB202_50:                             ;   in Loop: Header=BB202_39 Depth=3
                                        ; implicit-def: $vgpr34_vgpr35
.LBB202_51:                             ;   in Loop: Header=BB202_39 Depth=3
	v_pk_mov_b32 v[34:35], 0, 0
	s_and_b64 vcc, exec, s[28:29]
	s_cbranch_vccnz .LBB202_36
; %bb.52:                               ;   in Loop: Header=BB202_39 Depth=3
	v_mov_b32_e32 v59, v53
	v_pk_mov_b32 v[36:37], v[30:31], v[30:31] op_sel:[0,1]
	s_mov_b32 s28, s58
.LBB202_53:                             ;   Parent Loop BB202_13 Depth=1
                                        ;     Parent Loop BB202_26 Depth=2
                                        ;       Parent Loop BB202_39 Depth=3
                                        ; =>      This Inner Loop Header: Depth=4
	global_load_dwordx2 v[60:61], v[36:37], off
	ds_read_b64 v[62:63], v59
	s_add_i32 s28, s28, -1
	v_mov_b32_e32 v64, s69
	v_add_co_u32_e32 v36, vcc, s68, v36
	v_add_u32_e32 v59, 8, v59
	v_addc_co_u32_e32 v37, vcc, v37, v64, vcc
	s_cmp_eq_u32 s28, 0
	s_waitcnt vmcnt(0) lgkmcnt(0)
	v_fmac_f64_e32 v[34:35], v[62:63], v[60:61]
	s_cbranch_scc0 .LBB202_53
	s_branch .LBB202_36
.LBB202_54:                             ;   in Loop: Header=BB202_26 Depth=2
	s_or_b64 exec, exec, s[78:79]
	v_pk_mov_b32 v[24:25], v[32:33], v[32:33] op_sel:[0,1]
.LBB202_55:                             ;   in Loop: Header=BB202_26 Depth=2
	s_or_b64 exec, exec, s[76:77]
.LBB202_56:                             ;   in Loop: Header=BB202_26 Depth=2
	s_or_b64 exec, exec, s[74:75]
	s_waitcnt lgkmcnt(0)
	s_barrier
	s_and_saveexec_b64 s[28:29], s[26:27]
	s_cbranch_execz .LBB202_25
; %bb.57:                               ;   in Loop: Header=BB202_26 Depth=2
	v_lshlrev_b64 v[22:23], 3, v[22:23]
	v_mov_b32_e32 v9, s65
	v_add_co_u32_e32 v22, vcc, s64, v22
	v_addc_co_u32_e32 v23, vcc, v9, v23, vcc
	global_store_dwordx2 v[22:23], v[24:25], off
	s_branch .LBB202_25
.LBB202_58:                             ;   in Loop: Header=BB202_26 Depth=2
                                        ; implicit-def: $vgpr24_vgpr25
	s_branch .LBB202_33
.LBB202_59:                             ;   in Loop: Header=BB202_13 Depth=1
	s_andn2_b64 vcc, exec, s[34:35]
	s_cbranch_vccnz .LBB202_71
; %bb.60:                               ;   in Loop: Header=BB202_13 Depth=1
	s_load_dwordx4 s[28:31], s[36:37], 0x0
	s_waitcnt lgkmcnt(0)
	s_sub_u32 s30, s30, s56
	v_mov_b32_e32 v9, s29
	v_add_co_u32_e32 v26, vcc, s28, v43
	s_subb_u32 s31, s31, 0
	v_addc_co_u32_e32 v27, vcc, v9, v44, vcc
	v_cmp_gt_i64_e32 vcc, s[30:31], v[26:27]
	s_and_saveexec_b64 s[72:73], vcc
	s_cbranch_execz .LBB202_70
; %bb.61:                               ;   in Loop: Header=BB202_13 Depth=1
	v_lshlrev_b64 v[22:23], 2, v[26:27]
	v_mov_b32_e32 v9, s39
	v_add_co_u32_e32 v22, vcc, s38, v22
	v_addc_co_u32_e32 v23, vcc, v9, v23, vcc
	v_mad_u64_u32 v[24:25], s[26:27], s66, v26, v[12:13]
	v_mul_lo_u32 v9, s66, v27
	v_mul_lo_u32 v26, s67, v26
	v_add3_u32 v25, v26, v25, v9
	v_mov_b32_e32 v9, s29
	v_add_co_u32_e32 v26, vcc, s28, v54
	v_addc_co_u32_e32 v27, vcc, v55, v9, vcc
	s_mov_b64 s[74:75], 0
	s_branch .LBB202_64
.LBB202_62:                             ;   in Loop: Header=BB202_64 Depth=2
	s_or_b64 exec, exec, s[76:77]
	s_or_b64 s[26:27], s[26:27], exec
.LBB202_63:                             ;   in Loop: Header=BB202_64 Depth=2
	s_or_b64 exec, exec, s[28:29]
	v_cmp_le_i64_e32 vcc, s[30:31], v[26:27]
	s_xor_b64 s[26:27], s[26:27], -1
	s_or_b64 s[26:27], s[26:27], vcc
	v_add_co_u32_e32 v22, vcc, 16, v22
	v_addc_co_u32_e32 v23, vcc, 0, v23, vcc
	v_mov_b32_e32 v9, s71
	v_add_co_u32_e32 v24, vcc, s70, v24
	v_addc_co_u32_e32 v25, vcc, v25, v9, vcc
	s_and_b64 s[26:27], exec, s[26:27]
	v_add_co_u32_e32 v26, vcc, 4, v26
	s_or_b64 s[74:75], s[26:27], s[74:75]
	v_addc_co_u32_e32 v27, vcc, 0, v27, vcc
	s_andn2_b64 exec, exec, s[74:75]
	s_cbranch_execz .LBB202_69
.LBB202_64:                             ;   Parent Loop BB202_13 Depth=1
                                        ; =>  This Inner Loop Header: Depth=2
	global_load_dword v9, v[22:23], off
	s_waitcnt vmcnt(0)
	v_subrev_u32_e32 v9, s55, v9
	v_cmp_gt_i32_e64 s[26:27], s43, v9
	v_cmp_ge_i32_e64 s[28:29], v9, v0
	v_cmp_lt_i32_e32 vcc, v9, v0
	s_or_b64 s[28:29], s[26:27], s[28:29]
                                        ; implicit-def: $sgpr26_sgpr27
	s_and_saveexec_b64 s[76:77], s[28:29]
	s_xor_b64 s[28:29], exec, s[76:77]
; %bb.65:                               ;   in Loop: Header=BB202_64 Depth=2
	v_min_i32_e32 v9, v9, v7
	v_cndmask_b32_e32 v7, v9, v7, vcc
	s_and_b64 s[26:27], vcc, exec
                                        ; implicit-def: $vgpr9
; %bb.66:                               ;   in Loop: Header=BB202_64 Depth=2
	s_andn2_saveexec_b64 s[28:29], s[28:29]
	s_cbranch_execz .LBB202_63
; %bb.67:                               ;   in Loop: Header=BB202_64 Depth=2
	v_subrev_u32_e32 v9, s43, v9
	v_lshlrev_b32_e32 v28, 2, v9
	ds_write_b32 v28, v57 offset:18432
	s_and_saveexec_b64 s[76:77], s[4:5]
	s_cbranch_execz .LBB202_62
; %bb.68:                               ;   in Loop: Header=BB202_64 Depth=2
	global_load_dwordx2 v[28:29], v[24:25], off
	v_lshlrev_b32_e32 v9, 6, v9
	v_or3_b32 v9, v9, v42, v11
	v_lshlrev_b32_e32 v9, 3, v9
	s_waitcnt vmcnt(0)
	v_mul_f64 v[28:29], v[4:5], v[28:29]
	ds_add_f64 v9, v[28:29]
	s_branch .LBB202_62
.LBB202_69:                             ;   in Loop: Header=BB202_13 Depth=1
	s_or_b64 exec, exec, s[74:75]
.LBB202_70:                             ;   in Loop: Header=BB202_13 Depth=1
	s_or_b64 exec, exec, s[72:73]
.LBB202_71:                             ;   in Loop: Header=BB202_13 Depth=1
	s_and_saveexec_b64 s[26:27], s[6:7]
	s_cbranch_execz .LBB202_76
; %bb.72:                               ;   in Loop: Header=BB202_13 Depth=1
	s_mov_b64 s[28:29], exec
	s_brev_b32 s30, -2
.LBB202_73:                             ;   Parent Loop BB202_13 Depth=1
                                        ; =>  This Inner Loop Header: Depth=2
	s_ff1_i32_b64 s31, s[28:29]
	v_readlane_b32 s59, v7, s31
	s_lshl_b64 s[72:73], 1, s31
	s_min_i32 s30, s30, s59
	s_andn2_b64 s[28:29], s[28:29], s[72:73]
	s_cmp_lg_u64 s[28:29], 0
	s_cbranch_scc1 .LBB202_73
; %bb.74:                               ;   in Loop: Header=BB202_13 Depth=1
	v_mbcnt_lo_u32_b32 v0, exec_lo, 0
	v_mbcnt_hi_u32_b32 v0, exec_hi, v0
	v_cmp_eq_u32_e32 vcc, 0, v0
	s_and_saveexec_b64 s[28:29], vcc
	s_xor_b64 s[28:29], exec, s[28:29]
	s_cbranch_execz .LBB202_76
; %bb.75:                               ;   in Loop: Header=BB202_13 Depth=1
	v_mov_b32_e32 v0, s30
	ds_min_i32 v8, v0 offset:18560
.LBB202_76:                             ;   in Loop: Header=BB202_13 Depth=1
	s_or_b64 exec, exec, s[26:27]
	s_waitcnt lgkmcnt(0)
	s_barrier
	ds_read_b32 v0, v45
	s_waitcnt lgkmcnt(0)
	s_barrier
	s_and_saveexec_b64 s[26:27], s[10:11]
	s_cbranch_execz .LBB202_78
; %bb.77:                               ;   in Loop: Header=BB202_13 Depth=1
	ds_read_b32 v7, v46
	s_waitcnt lgkmcnt(0)
	v_add_u32_e32 v0, v7, v0
.LBB202_78:                             ;   in Loop: Header=BB202_13 Depth=1
	s_or_b64 exec, exec, s[26:27]
	s_barrier
	ds_write_b32 v45, v0
	s_waitcnt lgkmcnt(0)
	s_barrier
	s_and_saveexec_b64 s[26:27], s[12:13]
	s_cbranch_execz .LBB202_80
; %bb.79:                               ;   in Loop: Header=BB202_13 Depth=1
	ds_read_b32 v7, v48
	s_waitcnt lgkmcnt(0)
	v_add_u32_e32 v0, v7, v0
.LBB202_80:                             ;   in Loop: Header=BB202_13 Depth=1
	s_or_b64 exec, exec, s[26:27]
	s_barrier
	ds_write_b32 v45, v0
	;; [unrolled: 12-line block ×5, first 2 shown]
	s_waitcnt lgkmcnt(0)
	s_barrier
	ds_read_b32 v9, v8 offset:18556
	v_mov_b32_e32 v7, 0
	s_and_saveexec_b64 s[26:27], s[8:9]
	s_cbranch_execz .LBB202_88
; %bb.87:                               ;   in Loop: Header=BB202_13 Depth=1
	ds_read_b32 v7, v46
.LBB202_88:                             ;   in Loop: Header=BB202_13 Depth=1
	s_or_b64 exec, exec, s[26:27]
	s_waitcnt lgkmcnt(0)
	v_cmp_eq_u32_e32 vcc, v0, v7
	s_and_b64 s[28:29], s[8:9], vcc
	s_barrier
	s_and_saveexec_b64 s[26:27], s[28:29]
	s_cbranch_execz .LBB202_90
; %bb.89:                               ;   in Loop: Header=BB202_13 Depth=1
	ds_write_b32 v45, v8
.LBB202_90:                             ;   in Loop: Header=BB202_13 Depth=1
	s_or_b64 exec, exec, s[26:27]
	v_add_co_u32_e32 v22, vcc, -1, v18
	v_addc_co_u32_e32 v23, vcc, -1, v19, vcc
	s_add_i32 s30, s54, s43
	s_mov_b64 s[26:27], 0
	v_mov_b32_e32 v24, v56
	v_mov_b32_e32 v25, v38
	;; [unrolled: 1-line block ×3, first 2 shown]
	s_waitcnt lgkmcnt(0)
	s_barrier
	s_branch .LBB202_92
.LBB202_91:                             ;   in Loop: Header=BB202_92 Depth=2
	s_or_b64 exec, exec, s[28:29]
	v_add_u32_e32 v0, 4, v26
	v_cmp_lt_u32_e32 vcc, 27, v26
	v_add_u32_e32 v25, 0x800, v25
	v_add_u32_e32 v24, 16, v24
	s_or_b64 s[26:27], vcc, s[26:27]
	v_mov_b32_e32 v26, v0
	s_andn2_b64 exec, exec, s[26:27]
	s_cbranch_execz .LBB202_12
.LBB202_92:                             ;   Parent Loop BB202_13 Depth=1
                                        ; =>  This Inner Loop Header: Depth=2
	ds_read_b32 v0, v24
	s_waitcnt lgkmcnt(0)
	v_cmp_ne_u32_e32 vcc, 0, v0
	s_and_saveexec_b64 s[28:29], vcc
	s_cbranch_execz .LBB202_91
; %bb.93:                               ;   in Loop: Header=BB202_92 Depth=2
	v_ashrrev_i32_e32 v7, 31, v0
	v_add_co_u32_e32 v28, vcc, v18, v0
	v_addc_co_u32_e32 v29, vcc, v19, v7, vcc
	v_lshlrev_b64 v[28:29], 2, v[28:29]
	v_mov_b32_e32 v30, s92
	v_add_co_u32_e32 v28, vcc, s91, v28
	v_add_u32_e32 v27, s30, v26
	v_addc_co_u32_e32 v29, vcc, v30, v29, vcc
	global_store_dword v[28:29], v27, off
	s_and_b64 exec, exec, s[4:5]
	s_cbranch_execz .LBB202_91
; %bb.94:                               ;   in Loop: Header=BB202_92 Depth=2
	v_add_co_u32_e32 v0, vcc, v22, v0
	v_mad_u64_u32 v[30:31], s[72:73], v0, s42, 0
	v_addc_co_u32_e32 v7, vcc, v23, v7, vcc
	v_mov_b32_e32 v0, v31
	ds_read_b64 v[28:29], v25
	v_mad_u64_u32 v[32:33], s[72:73], v7, s42, v[0:1]
	v_mov_b32_e32 v31, v32
	v_lshlrev_b64 v[30:31], 3, v[30:31]
	v_add_co_u32_e32 v30, vcc, v10, v30
	v_addc_co_u32_e32 v31, vcc, v1, v31, vcc
	s_waitcnt lgkmcnt(0)
	global_store_dwordx2 v[30:31], v[28:29], off
	s_branch .LBB202_91
.LBB202_95:
	s_endpgm
	.section	.rodata,"a",@progbits
	.p2align	6, 0x0
	.amdhsa_kernel _ZN9rocsparseL38bsrgemm_block_per_row_atomic_multipassILj256ELj32ELj8ElidEEv20rocsparse_direction_T3_S2_PKS2_S4_NS_24const_host_device_scalarIT4_EEPKT2_S4_PKS6_SA_S4_SC_S7_SA_S4_SC_SA_PS2_PS6_PS8_21rocsparse_index_base_SG_SG_SG_bbb
		.amdhsa_group_segment_fixed_size 18568
		.amdhsa_private_segment_fixed_size 0
		.amdhsa_kernarg_size 172
		.amdhsa_user_sgpr_count 6
		.amdhsa_user_sgpr_private_segment_buffer 1
		.amdhsa_user_sgpr_dispatch_ptr 0
		.amdhsa_user_sgpr_queue_ptr 0
		.amdhsa_user_sgpr_kernarg_segment_ptr 1
		.amdhsa_user_sgpr_dispatch_id 0
		.amdhsa_user_sgpr_flat_scratch_init 0
		.amdhsa_user_sgpr_kernarg_preload_length 0
		.amdhsa_user_sgpr_kernarg_preload_offset 0
		.amdhsa_user_sgpr_private_segment_size 0
		.amdhsa_uses_dynamic_stack 0
		.amdhsa_system_sgpr_private_segment_wavefront_offset 0
		.amdhsa_system_sgpr_workgroup_id_x 1
		.amdhsa_system_sgpr_workgroup_id_y 0
		.amdhsa_system_sgpr_workgroup_id_z 0
		.amdhsa_system_sgpr_workgroup_info 0
		.amdhsa_system_vgpr_workitem_id 0
		.amdhsa_next_free_vgpr 65
		.amdhsa_next_free_sgpr 93
		.amdhsa_accum_offset 68
		.amdhsa_reserve_vcc 1
		.amdhsa_reserve_flat_scratch 0
		.amdhsa_float_round_mode_32 0
		.amdhsa_float_round_mode_16_64 0
		.amdhsa_float_denorm_mode_32 3
		.amdhsa_float_denorm_mode_16_64 3
		.amdhsa_dx10_clamp 1
		.amdhsa_ieee_mode 1
		.amdhsa_fp16_overflow 0
		.amdhsa_tg_split 0
		.amdhsa_exception_fp_ieee_invalid_op 0
		.amdhsa_exception_fp_denorm_src 0
		.amdhsa_exception_fp_ieee_div_zero 0
		.amdhsa_exception_fp_ieee_overflow 0
		.amdhsa_exception_fp_ieee_underflow 0
		.amdhsa_exception_fp_ieee_inexact 0
		.amdhsa_exception_int_div_zero 0
	.end_amdhsa_kernel
	.section	.text._ZN9rocsparseL38bsrgemm_block_per_row_atomic_multipassILj256ELj32ELj8ElidEEv20rocsparse_direction_T3_S2_PKS2_S4_NS_24const_host_device_scalarIT4_EEPKT2_S4_PKS6_SA_S4_SC_S7_SA_S4_SC_SA_PS2_PS6_PS8_21rocsparse_index_base_SG_SG_SG_bbb,"axG",@progbits,_ZN9rocsparseL38bsrgemm_block_per_row_atomic_multipassILj256ELj32ELj8ElidEEv20rocsparse_direction_T3_S2_PKS2_S4_NS_24const_host_device_scalarIT4_EEPKT2_S4_PKS6_SA_S4_SC_S7_SA_S4_SC_SA_PS2_PS6_PS8_21rocsparse_index_base_SG_SG_SG_bbb,comdat
.Lfunc_end202:
	.size	_ZN9rocsparseL38bsrgemm_block_per_row_atomic_multipassILj256ELj32ELj8ElidEEv20rocsparse_direction_T3_S2_PKS2_S4_NS_24const_host_device_scalarIT4_EEPKT2_S4_PKS6_SA_S4_SC_S7_SA_S4_SC_SA_PS2_PS6_PS8_21rocsparse_index_base_SG_SG_SG_bbb, .Lfunc_end202-_ZN9rocsparseL38bsrgemm_block_per_row_atomic_multipassILj256ELj32ELj8ElidEEv20rocsparse_direction_T3_S2_PKS2_S4_NS_24const_host_device_scalarIT4_EEPKT2_S4_PKS6_SA_S4_SC_S7_SA_S4_SC_SA_PS2_PS6_PS8_21rocsparse_index_base_SG_SG_SG_bbb
                                        ; -- End function
	.section	.AMDGPU.csdata,"",@progbits
; Kernel info:
; codeLenInByte = 3368
; NumSgprs: 97
; NumVgprs: 65
; NumAgprs: 0
; TotalNumVgprs: 65
; ScratchSize: 0
; MemoryBound: 0
; FloatMode: 240
; IeeeMode: 1
; LDSByteSize: 18568 bytes/workgroup (compile time only)
; SGPRBlocks: 12
; VGPRBlocks: 8
; NumSGPRsForWavesPerEU: 97
; NumVGPRsForWavesPerEU: 65
; AccumOffset: 68
; Occupancy: 3
; WaveLimiterHint : 1
; COMPUTE_PGM_RSRC2:SCRATCH_EN: 0
; COMPUTE_PGM_RSRC2:USER_SGPR: 6
; COMPUTE_PGM_RSRC2:TRAP_HANDLER: 0
; COMPUTE_PGM_RSRC2:TGID_X_EN: 1
; COMPUTE_PGM_RSRC2:TGID_Y_EN: 0
; COMPUTE_PGM_RSRC2:TGID_Z_EN: 0
; COMPUTE_PGM_RSRC2:TIDIG_COMP_CNT: 0
; COMPUTE_PGM_RSRC3_GFX90A:ACCUM_OFFSET: 16
; COMPUTE_PGM_RSRC3_GFX90A:TG_SPLIT: 0
	.section	.text._ZN9rocsparseL31bsrgemm_block_per_row_multipassILj256ELj8ELj16ElidEEv20rocsparse_direction_T3_S2_PKS2_S4_NS_24const_host_device_scalarIT4_EEPKT2_S4_PKS6_SA_S4_SC_S7_SA_S4_SC_SA_PS2_PS6_PS8_21rocsparse_index_base_SG_SG_SG_bbb,"axG",@progbits,_ZN9rocsparseL31bsrgemm_block_per_row_multipassILj256ELj8ELj16ElidEEv20rocsparse_direction_T3_S2_PKS2_S4_NS_24const_host_device_scalarIT4_EEPKT2_S4_PKS6_SA_S4_SC_S7_SA_S4_SC_SA_PS2_PS6_PS8_21rocsparse_index_base_SG_SG_SG_bbb,comdat
	.globl	_ZN9rocsparseL31bsrgemm_block_per_row_multipassILj256ELj8ELj16ElidEEv20rocsparse_direction_T3_S2_PKS2_S4_NS_24const_host_device_scalarIT4_EEPKT2_S4_PKS6_SA_S4_SC_S7_SA_S4_SC_SA_PS2_PS6_PS8_21rocsparse_index_base_SG_SG_SG_bbb ; -- Begin function _ZN9rocsparseL31bsrgemm_block_per_row_multipassILj256ELj8ELj16ElidEEv20rocsparse_direction_T3_S2_PKS2_S4_NS_24const_host_device_scalarIT4_EEPKT2_S4_PKS6_SA_S4_SC_S7_SA_S4_SC_SA_PS2_PS6_PS8_21rocsparse_index_base_SG_SG_SG_bbb
	.p2align	8
	.type	_ZN9rocsparseL31bsrgemm_block_per_row_multipassILj256ELj8ELj16ElidEEv20rocsparse_direction_T3_S2_PKS2_S4_NS_24const_host_device_scalarIT4_EEPKT2_S4_PKS6_SA_S4_SC_S7_SA_S4_SC_SA_PS2_PS6_PS8_21rocsparse_index_base_SG_SG_SG_bbb,@function
_ZN9rocsparseL31bsrgemm_block_per_row_multipassILj256ELj8ELj16ElidEEv20rocsparse_direction_T3_S2_PKS2_S4_NS_24const_host_device_scalarIT4_EEPKT2_S4_PKS6_SA_S4_SC_S7_SA_S4_SC_SA_PS2_PS6_PS8_21rocsparse_index_base_SG_SG_SG_bbb: ; @_ZN9rocsparseL31bsrgemm_block_per_row_multipassILj256ELj8ELj16ElidEEv20rocsparse_direction_T3_S2_PKS2_S4_NS_24const_host_device_scalarIT4_EEPKT2_S4_PKS6_SA_S4_SC_S7_SA_S4_SC_SA_PS2_PS6_PS8_21rocsparse_index_base_SG_SG_SG_bbb
; %bb.0:
	s_load_dword s7, s[4:5], 0xa8
	s_load_dwordx4 s[28:31], s[4:5], 0x98
	s_load_dwordx2 s[2:3], s[4:5], 0x20
	s_waitcnt lgkmcnt(0)
	s_and_b32 s0, 1, s7
	s_bitcmp1_b32 s7, 16
	s_cselect_b64 s[10:11], -1, 0
	s_cmp_eq_u32 s0, 1
	s_load_dwordx2 s[0:1], s[4:5], 0x58
	s_cselect_b64 s[8:9], -1, 0
	s_and_b64 s[12:13], s[8:9], exec
	s_cselect_b32 s13, s3, 0
	s_cselect_b32 s12, s2, 0
	s_xor_b64 s[14:15], s[8:9], -1
	s_or_b64 s[14:15], s[14:15], s[10:11]
	s_and_b64 vcc, exec, s[14:15]
	v_pk_mov_b32 v[2:3], s[12:13], s[12:13] op_sel:[0,1]
	s_cbranch_vccnz .LBB203_2
; %bb.1:
	v_pk_mov_b32 v[2:3], s[2:3], s[2:3] op_sel:[0,1]
	flat_load_dwordx2 v[2:3], v[2:3]
.LBB203_2:
	s_bitcmp1_b32 s7, 8
	s_load_dwordx2 s[2:3], s[4:5], 0x18
	s_cselect_b64 s[34:35], -1, 0
	s_and_b64 s[12:13], s[34:35], exec
	s_waitcnt lgkmcnt(0)
	s_cselect_b32 s13, s1, 0
	s_cselect_b32 s12, s0, 0
	s_xor_b64 s[14:15], s[34:35], -1
	s_or_b64 s[10:11], s[14:15], s[10:11]
	s_and_b64 vcc, exec, s[10:11]
	v_pk_mov_b32 v[4:5], s[12:13], s[12:13] op_sel:[0,1]
	s_cbranch_vccnz .LBB203_4
; %bb.3:
	v_pk_mov_b32 v[4:5], s[0:1], s[0:1] op_sel:[0,1]
	flat_load_dwordx2 v[4:5], v[4:5]
.LBB203_4:
	s_load_dwordx2 s[10:11], s[4:5], 0x28
	s_cmp_eq_u64 s[2:3], 0
	s_mov_b64 s[44:45], 0
	s_cbranch_scc1 .LBB203_6
; %bb.5:
	s_load_dwordx2 s[0:1], s[4:5], 0x10
	s_waitcnt lgkmcnt(0)
	s_load_dword s0, s[0:1], 0x0
	s_mov_b32 s1, 0
	s_waitcnt lgkmcnt(0)
	s_add_i32 s0, s0, s6
	s_lshl_b64 s[0:1], s[0:1], 2
	s_add_u32 s0, s2, s0
	s_addc_u32 s1, s3, s1
	s_load_dword s6, s[0:1], 0x0
.LBB203_6:
	v_cndmask_b32_e64 v1, 0, 1, s[8:9]
	v_cmp_ne_u32_e64 s[0:1], 1, v1
	s_andn2_b64 vcc, exec, s[8:9]
	s_cbranch_vccz .LBB203_9
; %bb.7:
	s_and_b64 vcc, exec, s[0:1]
	s_mov_b64 s[2:3], 0
	s_cbranch_vccz .LBB203_10
.LBB203_8:
	s_load_dwordx4 s[36:39], s[4:5], 0x0
	s_waitcnt lgkmcnt(0)
	s_cmp_lt_i32 s37, 1
	s_cbranch_scc0 .LBB203_11
	s_branch .LBB203_98
.LBB203_9:
	s_waitcnt lgkmcnt(0)
	s_ashr_i32 s7, s6, 31
	s_lshl_b64 s[2:3], s[6:7], 3
	s_add_u32 s2, s10, s2
	s_addc_u32 s3, s11, s3
	s_load_dwordx2 s[2:3], s[2:3], 0x0
	s_waitcnt lgkmcnt(0)
	s_sub_u32 s44, s2, s28
	s_subb_u32 s45, s3, 0
	s_and_b64 vcc, exec, s[0:1]
	s_mov_b64 s[2:3], 0
	s_cbranch_vccnz .LBB203_8
.LBB203_10:
	s_waitcnt lgkmcnt(0)
	s_ashr_i32 s7, s6, 31
	s_lshl_b64 s[0:1], s[6:7], 3
	s_add_u32 s0, s10, s0
	s_addc_u32 s1, s11, s1
	s_load_dwordx2 s[0:1], s[0:1], 0x8
	s_waitcnt lgkmcnt(0)
	s_sub_u32 s2, s0, s28
	s_subb_u32 s3, s1, 0
	s_load_dwordx4 s[36:39], s[4:5], 0x0
	s_waitcnt lgkmcnt(0)
	s_cmp_lt_i32 s37, 1
	s_cbranch_scc1 .LBB203_98
.LBB203_11:
	s_load_dwordx8 s[20:27], s[4:5], 0x60
	s_load_dwordx2 s[46:47], s[4:5], 0x90
	s_load_dwordx4 s[40:43], s[4:5], 0x80
	s_load_dwordx2 s[10:11], s[4:5], 0x50
	s_ashr_i32 s7, s6, 31
	s_lshl_b64 s[6:7], s[6:7], 3
	s_waitcnt lgkmcnt(0)
	s_add_u32 s0, s26, s6
	s_addc_u32 s1, s27, s7
	s_load_dwordx2 s[48:49], s[0:1], 0x0
	s_load_dwordx8 s[12:19], s[4:5], 0x30
	v_and_b32_e32 v13, 15, v0
	v_mov_b32_e32 v8, 0
	v_lshrrev_b32_e32 v1, 4, v0
	v_mul_lo_u32 v10, v13, s38
	v_mov_b32_e32 v11, v8
	s_waitcnt lgkmcnt(0)
	s_sub_u32 s56, s48, s30
	v_pk_mov_b32 v[6:7], s[2:3], s[2:3] op_sel:[0,1]
	v_cmp_gt_u32_e64 s[2:3], s38, v13
	v_cmp_gt_i32_e64 s[4:5], s38, v1
	v_lshlrev_b64 v[16:17], 3, v[10:11]
	s_subb_u32 s57, s49, 0
	s_and_b64 s[48:49], s[2:3], s[4:5]
	v_mov_b32_e32 v9, s25
	v_add_co_u32_e64 v10, s[2:3], s24, v16
	v_addc_co_u32_e64 v11, s[2:3], v9, v17, s[2:3]
	v_lshlrev_b32_e32 v18, 3, v1
	v_mul_lo_u32 v14, v1, s38
	v_mov_b32_e32 v15, v8
	v_add_co_u32_e64 v1, s[2:3], v10, v18
	v_addc_co_u32_e64 v10, s[2:3], 0, v11, s[2:3]
	v_lshlrev_b64 v[20:21], 3, v[14:15]
	v_add_co_u32_e64 v11, s[2:3], s24, v20
	v_addc_co_u32_e64 v9, s[2:3], v9, v21, s[2:3]
	v_lshlrev_b32_e32 v19, 3, v13
	v_add_co_u32_e64 v12, s[2:3], v11, v19
	s_cmp_eq_u32 s36, 0
	v_addc_co_u32_e64 v9, s[2:3], 0, v9, s[2:3]
	v_mov_b32_e32 v11, s43
	v_add_co_u32_e64 v14, s[4:5], s42, v16
	s_cselect_b64 s[2:3], -1, 0
	s_cmp_lg_u32 s36, 0
	v_addc_co_u32_e64 v15, s[4:5], v11, v17, s[4:5]
	s_cselect_b64 s[24:25], -1, 0
	s_cmp_gt_i32 s38, 0
	v_add_co_u32_e64 v43, s[4:5], v14, v18
	v_cmp_lt_i64_e32 vcc, s[44:45], v[6:7]
	s_cselect_b64 s[58:59], -1, 0
	s_add_u32 s20, s20, s6
	v_addc_co_u32_e64 v44, s[4:5], 0, v15, s[4:5]
	s_addc_u32 s21, s21, s7
	v_add_co_u32_e64 v14, s[4:5], s42, v20
	s_and_b64 s[42:43], s[8:9], vcc
	s_add_u32 s36, s16, 8
	s_mul_i32 s50, s38, s38
	v_addc_co_u32_e64 v11, s[4:5], v11, v21, s[4:5]
	s_addc_u32 s66, s17, 0
	s_mov_b32 s27, 0
	v_and_b32_e32 v42, 0xf0, v0
	v_add_co_u32_e64 v45, s[4:5], v14, v19
	s_add_u32 s67, s40, -4
	s_mul_i32 s8, s45, s50
	s_mul_hi_u32 s9, s44, s50
	s_mov_b32 s51, s27
	v_addc_co_u32_e64 v46, s[4:5], 0, v11, s[4:5]
	v_or_b32_e32 v11, v42, v13
	s_addc_u32 s68, s41, -1
	s_add_i32 s9, s9, s8
	s_mul_i32 s8, s44, s50
	v_lshlrev_b32_e32 v48, 3, v11
	v_cndmask_b32_e64 v11, v10, v9, s[2:3]
	v_cndmask_b32_e64 v10, v1, v12, s[2:3]
	;; [unrolled: 1-line block ×4, first 2 shown]
	v_or_b32_e32 v9, 0x400, v0
	s_movk_i32 s2, 0x700
	s_lshl_b64 s[54:55], s[50:51], 3
	s_lshl_b64 s[8:9], s[8:9], 3
	v_cmp_gt_u32_e64 s[2:3], s2, v9
	v_mov_b32_e32 v9, s11
	v_add_co_u32_e32 v14, vcc, s10, v16
	s_add_u32 s8, s14, s8
	v_addc_co_u32_e32 v15, vcc, v9, v17, vcc
	s_addc_u32 s9, s15, s9
	v_mov_b32_e32 v17, s9
	v_add_co_u32_e32 v16, vcc, s8, v18
	v_addc_co_u32_e32 v17, vcc, 0, v17, vcc
	v_add_co_u32_e32 v18, vcc, s10, v19
	s_mov_b32 s52, s31
	s_mov_b32 s53, s27
	;; [unrolled: 1-line block ×3, first 2 shown]
	v_addc_co_u32_e32 v19, vcc, 0, v9, vcc
	s_lshl_b64 s[14:15], s[38:39], 3
	v_mov_b32_e32 v9, s9
	v_add_co_u32_e32 v20, vcc, s8, v20
	s_lshl_b64 s[8:9], s[52:53], 2
	s_sub_u32 s39, s22, s8
	s_subb_u32 s51, s23, s9
	s_movk_i32 s4, 0x200
	s_movk_i32 s6, 0x100
	s_sub_u32 s53, 1, s31
	s_mov_b32 s26, s27
	s_mov_b32 s70, 8
	v_cmp_gt_u32_e64 s[0:1], 8, v0
	s_mov_b32 s33, s29
	v_lshlrev_b32_e32 v47, 3, v0
	v_cmp_gt_u32_e64 s[4:5], s4, v0
	v_cmp_gt_u32_e64 s[6:7], s6, v0
	v_addc_co_u32_e32 v21, vcc, v9, v21, vcc
	s_subb_u32 s69, 0, 0
	v_pk_mov_b32 v[24:25], s[56:57], s[56:57] op_sel:[0,1]
	v_pk_mov_b32 v[22:23], s[26:27], s[26:27] op_sel:[0,1]
	v_cndmask_b32_e64 v49, 0, 1, s[58:59]
	v_mov_b32_e32 v50, s15
	v_mov_b32_e32 v51, s55
	v_mov_b32_e32 v52, 1
	s_mov_b32 s26, 0
	s_branch .LBB203_14
.LBB203_12:                             ;   in Loop: Header=BB203_14 Depth=1
	s_or_b64 exec, exec, s[8:9]
.LBB203_13:                             ;   in Loop: Header=BB203_14 Depth=1
	s_min_i32 s26, s15, s37
	s_add_i32 s70, s26, 8
	s_cmp_lt_i32 s15, s37
	s_waitcnt lgkmcnt(0)
	v_pk_mov_b32 v[24:25], v[26:27], v[26:27] op_sel:[0,1]
	s_barrier
	s_barrier
	s_cbranch_scc0 .LBB203_98
.LBB203_14:                             ; =>This Loop Header: Depth=1
                                        ;     Child Loop BB203_24 Depth 2
                                        ;       Child Loop BB203_29 Depth 3
                                        ;         Child Loop BB203_38 Depth 4
                                        ;         Child Loop BB203_43 Depth 4
                                        ;     Child Loop BB203_57 Depth 2
	s_and_saveexec_b64 s[8:9], s[0:1]
	s_cbranch_execz .LBB203_16
; %bb.15:                               ;   in Loop: Header=BB203_14 Depth=1
	ds_write_b8 v0, v8 offset:16384
.LBB203_16:                             ;   in Loop: Header=BB203_14 Depth=1
	s_or_b64 exec, exec, s[8:9]
	ds_write2st64_b64 v47, v[22:23], v[22:23] offset1:4
	ds_write2st64_b64 v47, v[22:23], v[22:23] offset0:8 offset1:12
	ds_write_b64 v47, v[22:23] offset:8192
	s_and_saveexec_b64 s[8:9], s[2:3]
	s_xor_b64 s[8:9], exec, s[8:9]
	s_cbranch_execz .LBB203_22
; %bb.17:                               ;   in Loop: Header=BB203_14 Depth=1
	v_mov_b32_e32 v9, v8
	ds_write_b64 v47, v[8:9] offset:10240
	s_and_saveexec_b64 s[10:11], s[4:5]
	s_xor_b64 s[10:11], exec, s[10:11]
	s_cbranch_execz .LBB203_21
; %bb.18:                               ;   in Loop: Header=BB203_14 Depth=1
	ds_write_b64 v47, v[8:9] offset:12288
	s_and_saveexec_b64 s[22:23], s[6:7]
	s_xor_b64 s[22:23], exec, s[22:23]
	s_cbranch_execz .LBB203_20
; %bb.19:                               ;   in Loop: Header=BB203_14 Depth=1
	v_mov_b32_e32 v9, v8
	ds_write_b64 v47, v[8:9] offset:14336
.LBB203_20:                             ;   in Loop: Header=BB203_14 Depth=1
	s_or_b64 exec, exec, s[22:23]
.LBB203_21:                             ;   in Loop: Header=BB203_14 Depth=1
	s_or_b64 exec, exec, s[10:11]
.LBB203_22:                             ;   in Loop: Header=BB203_14 Depth=1
	s_or_b64 exec, exec, s[8:9]
	s_andn2_b64 vcc, exec, s[42:43]
	s_mov_b32 s15, s37
	s_waitcnt lgkmcnt(0)
	s_barrier
	s_cbranch_vccnz .LBB203_52
; %bb.23:                               ;   in Loop: Header=BB203_14 Depth=1
	s_cmp_lg_u32 s26, 0
	s_cselect_b64 s[10:11], -1, 0
	v_pk_mov_b32 v[26:27], v[20:21], v[20:21] op_sel:[0,1]
	v_pk_mov_b32 v[28:29], v[16:17], v[16:17] op_sel:[0,1]
	s_mov_b32 s71, s37
	s_mov_b64 s[22:23], s[44:45]
.LBB203_24:                             ;   Parent Loop BB203_14 Depth=1
                                        ; =>  This Loop Header: Depth=2
                                        ;       Child Loop BB203_29 Depth 3
                                        ;         Child Loop BB203_38 Depth 4
                                        ;         Child Loop BB203_43 Depth 4
	s_lshl_b64 s[8:9], s[22:23], 2
	s_add_u32 s8, s12, s8
	s_addc_u32 s9, s13, s9
	s_load_dword s8, s[8:9], 0x0
	s_and_b64 vcc, exec, s[10:11]
	s_waitcnt lgkmcnt(0)
	s_sub_i32 s8, s8, s28
	s_cbranch_vccz .LBB203_51
; %bb.25:                               ;   in Loop: Header=BB203_24 Depth=2
	s_lshl_b64 s[56:57], s[22:23], 3
	s_add_u32 s56, s46, s56
	s_addc_u32 s57, s47, s57
	global_load_dwordx2 v[30:31], v8, s[56:57]
	s_ashr_i32 s9, s8, 31
	s_waitcnt vmcnt(0)
	v_readfirstlane_b32 s56, v30
	v_readfirstlane_b32 s57, v31
	s_cbranch_execnz .LBB203_27
.LBB203_26:                             ;   in Loop: Header=BB203_24 Depth=2
	s_ashr_i32 s9, s8, 31
	s_lshl_b64 s[56:57], s[8:9], 3
	s_add_u32 s56, s16, s56
	s_addc_u32 s57, s17, s57
	s_load_dwordx2 s[56:57], s[56:57], 0x0
	s_waitcnt lgkmcnt(0)
	s_sub_u32 s56, s56, s33
	s_subb_u32 s57, s57, 0
.LBB203_27:                             ;   in Loop: Header=BB203_24 Depth=2
	s_lshl_b64 s[8:9], s[8:9], 3
	s_add_u32 s8, s36, s8
	s_addc_u32 s9, s66, s9
	s_load_dwordx2 s[8:9], s[8:9], 0x0
	s_waitcnt lgkmcnt(0)
	s_sub_u32 s8, s8, s33
	s_subb_u32 s9, s9, 0
	v_pk_mov_b32 v[30:31], s[8:9], s[8:9] op_sel:[0,1]
	v_cmp_ge_i64_e32 vcc, s[56:57], v[30:31]
	s_cbranch_vccnz .LBB203_48
; %bb.28:                               ;   in Loop: Header=BB203_24 Depth=2
	v_mov_b32_e32 v9, s56
	v_mad_u64_u32 v[30:31], s[58:59], s54, v9, v[14:15]
	s_mul_i32 s15, s55, s56
	s_mul_i32 s58, s54, s57
	s_add_i32 s15, s58, s15
	v_mad_u64_u32 v[32:33], s[58:59], s54, v9, v[18:19]
	v_add_u32_e32 v31, s15, v31
	v_add_u32_e32 v33, s15, v33
	v_pk_mov_b32 v[34:35], s[8:9], s[8:9] op_sel:[0,1]
	s_mov_b64 s[58:59], s[56:57]
.LBB203_29:                             ;   Parent Loop BB203_14 Depth=1
                                        ;     Parent Loop BB203_24 Depth=2
                                        ; =>    This Loop Header: Depth=3
                                        ;         Child Loop BB203_38 Depth 4
                                        ;         Child Loop BB203_43 Depth 4
	s_lshl_b64 s[8:9], s[56:57], 2
	s_add_u32 s8, s18, s8
	s_addc_u32 s9, s19, s9
	s_load_dword s8, s[8:9], 0x0
	s_mov_b64 s[62:63], -1
                                        ; implicit-def: $sgpr15
                                        ; implicit-def: $sgpr60_sgpr61
	s_waitcnt lgkmcnt(0)
	s_sub_i32 s72, s8, s29
	s_cmp_lt_i32 s72, s26
	s_cselect_b64 s[8:9], -1, 0
	s_cmp_ge_i32 s72, s70
	s_cselect_b64 s[64:65], -1, 0
	s_or_b64 s[8:9], s[8:9], s[64:65]
	s_and_b64 vcc, exec, s[8:9]
                                        ; implicit-def: $sgpr8_sgpr9
	s_cbranch_vccz .LBB203_33
; %bb.30:                               ;   in Loop: Header=BB203_29 Depth=3
	s_mov_b64 s[60:61], -1
	s_andn2_b64 vcc, exec, s[64:65]
	s_mov_b64 s[8:9], s[58:59]
	s_mov_b32 s15, s71
	s_cbranch_vccnz .LBB203_32
; %bb.31:                               ;   in Loop: Header=BB203_29 Depth=3
	s_min_i32 s15, s72, s71
	s_mov_b64 s[60:61], 0
	s_mov_b64 s[8:9], s[56:57]
.LBB203_32:                             ;   in Loop: Header=BB203_29 Depth=3
	s_mov_b64 s[62:63], 0
.LBB203_33:                             ;   in Loop: Header=BB203_29 Depth=3
	s_andn2_b64 vcc, exec, s[62:63]
	s_cbranch_vccnz .LBB203_46
; %bb.34:                               ;   in Loop: Header=BB203_29 Depth=3
	s_sub_i32 s15, s72, s26
	v_mov_b32_e32 v9, s15
	ds_write_b8 v9, v52 offset:16384
	s_and_saveexec_b64 s[60:61], s[48:49]
	s_cbranch_execz .LBB203_45
; %bb.35:                               ;   in Loop: Header=BB203_29 Depth=3
	s_andn2_b64 vcc, exec, s[24:25]
	v_cmp_ne_u32_e64 s[8:9], 1, v49
	s_cbranch_vccnz .LBB203_40
; %bb.36:                               ;   in Loop: Header=BB203_29 Depth=3
	v_pk_mov_b32 v[36:37], 0, 0
	s_and_b64 vcc, exec, s[8:9]
	s_cbranch_vccnz .LBB203_39
; %bb.37:                               ;   in Loop: Header=BB203_29 Depth=3
	v_pk_mov_b32 v[38:39], v[28:29], v[28:29] op_sel:[0,1]
	v_pk_mov_b32 v[40:41], v[30:31], v[30:31] op_sel:[0,1]
	s_mov_b32 s62, s38
.LBB203_38:                             ;   Parent Loop BB203_14 Depth=1
                                        ;     Parent Loop BB203_24 Depth=2
                                        ;       Parent Loop BB203_29 Depth=3
                                        ; =>      This Inner Loop Header: Depth=4
	global_load_dwordx2 v[54:55], v[38:39], off
	global_load_dwordx2 v[56:57], v[40:41], off
	v_add_co_u32_e32 v40, vcc, 8, v40
	v_addc_co_u32_e32 v41, vcc, 0, v41, vcc
	s_add_i32 s62, s62, -1
	v_add_co_u32_e32 v38, vcc, s14, v38
	v_addc_co_u32_e32 v39, vcc, v39, v50, vcc
	s_cmp_lg_u32 s62, 0
	s_waitcnt vmcnt(0)
	v_fmac_f64_e32 v[36:37], v[54:55], v[56:57]
	s_cbranch_scc1 .LBB203_38
.LBB203_39:                             ;   in Loop: Header=BB203_29 Depth=3
	s_cbranch_execz .LBB203_41
	s_branch .LBB203_44
.LBB203_40:                             ;   in Loop: Header=BB203_29 Depth=3
                                        ; implicit-def: $vgpr36_vgpr37
.LBB203_41:                             ;   in Loop: Header=BB203_29 Depth=3
	v_pk_mov_b32 v[36:37], 0, 0
	s_and_b64 vcc, exec, s[8:9]
	s_cbranch_vccnz .LBB203_44
; %bb.42:                               ;   in Loop: Header=BB203_29 Depth=3
	v_pk_mov_b32 v[38:39], v[26:27], v[26:27] op_sel:[0,1]
	v_pk_mov_b32 v[40:41], v[32:33], v[32:33] op_sel:[0,1]
	s_mov_b32 s8, s38
.LBB203_43:                             ;   Parent Loop BB203_14 Depth=1
                                        ;     Parent Loop BB203_24 Depth=2
                                        ;       Parent Loop BB203_29 Depth=3
                                        ; =>      This Inner Loop Header: Depth=4
	global_load_dwordx2 v[54:55], v[38:39], off
	global_load_dwordx2 v[56:57], v[40:41], off
	v_add_co_u32_e32 v40, vcc, s14, v40
	v_addc_co_u32_e32 v41, vcc, v41, v50, vcc
	s_add_i32 s8, s8, -1
	v_add_co_u32_e32 v38, vcc, 8, v38
	v_addc_co_u32_e32 v39, vcc, 0, v39, vcc
	s_cmp_eq_u32 s8, 0
	s_waitcnt vmcnt(0)
	v_fmac_f64_e32 v[36:37], v[54:55], v[56:57]
	s_cbranch_scc0 .LBB203_43
.LBB203_44:                             ;   in Loop: Header=BB203_29 Depth=3
	s_lshl_b32 s8, s15, 8
	v_or3_b32 v9, s8, v42, v13
	v_lshlrev_b32_e32 v9, 3, v9
	ds_read_b64 v[38:39], v9
	s_waitcnt vmcnt(0) lgkmcnt(0)
	v_fmac_f64_e32 v[38:39], v[2:3], v[36:37]
	ds_write_b64 v9, v[38:39]
.LBB203_45:                             ;   in Loop: Header=BB203_29 Depth=3
	s_or_b64 exec, exec, s[60:61]
	s_mov_b64 s[60:61], -1
	s_mov_b64 s[8:9], s[58:59]
	s_mov_b32 s15, s71
	s_waitcnt lgkmcnt(0)
	s_barrier
.LBB203_46:                             ;   in Loop: Header=BB203_29 Depth=3
	s_add_u32 s56, s56, 1
	s_addc_u32 s57, s57, 0
	v_cmp_lt_i64_e32 vcc, s[56:57], v[34:35]
	s_and_b64 s[58:59], s[60:61], vcc
	v_add_co_u32_e32 v30, vcc, s54, v30
	v_addc_co_u32_e32 v31, vcc, v31, v51, vcc
	v_add_co_u32_e32 v32, vcc, s54, v32
	v_addc_co_u32_e32 v33, vcc, v33, v51, vcc
	s_and_b64 vcc, exec, s[58:59]
	s_cbranch_vccz .LBB203_49
; %bb.47:                               ;   in Loop: Header=BB203_29 Depth=3
	s_mov_b64 s[58:59], s[8:9]
	s_mov_b32 s71, s15
	s_branch .LBB203_29
.LBB203_48:                             ;   in Loop: Header=BB203_24 Depth=2
	s_mov_b64 s[8:9], s[56:57]
	s_mov_b32 s15, s71
.LBB203_49:                             ;   in Loop: Header=BB203_24 Depth=2
	s_lshl_b64 s[56:57], s[22:23], 3
	s_add_u32 s56, s46, s56
	v_add_co_u32_e32 v28, vcc, s54, v28
	s_addc_u32 s57, s47, s57
	v_addc_co_u32_e32 v29, vcc, v29, v51, vcc
	s_add_u32 s22, s22, 1
	v_add_co_u32_e32 v26, vcc, s54, v26
	s_addc_u32 s23, s23, 0
	v_addc_co_u32_e32 v27, vcc, v27, v51, vcc
	v_cmp_lt_i64_e32 vcc, s[22:23], v[6:7]
	v_pk_mov_b32 v[30:31], s[8:9], s[8:9] op_sel:[0,1]
	global_store_dwordx2 v8, v[30:31], s[56:57]
	s_cbranch_vccz .LBB203_52
; %bb.50:                               ;   in Loop: Header=BB203_24 Depth=2
	s_mov_b32 s71, s15
	s_branch .LBB203_24
.LBB203_51:                             ;   in Loop: Header=BB203_24 Depth=2
                                        ; implicit-def: $sgpr56_sgpr57
	s_branch .LBB203_26
.LBB203_52:                             ;   in Loop: Header=BB203_14 Depth=1
	s_andn2_b64 vcc, exec, s[34:35]
	s_cbranch_vccnz .LBB203_62
; %bb.53:                               ;   in Loop: Header=BB203_14 Depth=1
	s_load_dwordx4 s[8:11], s[20:21], 0x0
	s_waitcnt lgkmcnt(0)
	v_pk_mov_b32 v[26:27], s[10:11], s[10:11] op_sel:[0,1]
	v_cmp_ge_i64_e32 vcc, s[8:9], v[26:27]
	s_cbranch_vccnz .LBB203_62
; %bb.54:                               ;   in Loop: Header=BB203_14 Depth=1
	s_sub_u32 s22, s10, s52
	s_subb_u32 s23, s11, 0
	s_sub_u32 s56, s8, s52
	s_subb_u32 s57, s9, 0
	s_lshl_b64 s[10:11], s[8:9], 2
	s_add_u32 s10, s39, s10
	s_mul_i32 s58, s55, s56
	s_mul_i32 s57, s54, s57
	s_addc_u32 s11, s51, s11
	s_add_i32 s58, s57, s58
	v_mov_b32_e32 v9, s56
	v_mad_u64_u32 v[26:27], s[56:57], s54, v9, v[10:11]
	s_add_u32 s8, s53, s8
	v_add_u32_e32 v27, s58, v27
	s_addc_u32 s9, s69, s9
	v_pk_mov_b32 v[28:29], s[22:23], s[22:23] op_sel:[0,1]
	s_branch .LBB203_57
.LBB203_55:                             ;   in Loop: Header=BB203_57 Depth=2
	s_or_b64 exec, exec, s[22:23]
	s_mov_b64 s[22:23], -1
	s_mov_b32 s58, s15
	s_waitcnt lgkmcnt(0)
	s_barrier
.LBB203_56:                             ;   in Loop: Header=BB203_57 Depth=2
	v_cmp_lt_i64_e32 vcc, s[8:9], v[28:29]
	s_and_b64 s[22:23], s[22:23], vcc
	s_add_u32 s10, s10, 4
	s_addc_u32 s11, s11, 0
	v_add_co_u32_e32 v26, vcc, s54, v26
	v_addc_co_u32_e32 v27, vcc, v27, v51, vcc
	s_add_u32 s8, s8, 1
	s_addc_u32 s9, s9, 0
	s_mov_b32 s15, s58
	s_and_b64 vcc, exec, s[22:23]
	s_cbranch_vccz .LBB203_62
.LBB203_57:                             ;   Parent Loop BB203_14 Depth=1
                                        ; =>  This Inner Loop Header: Depth=2
	s_load_dword s22, s[10:11], 0x0
                                        ; implicit-def: $sgpr58
	s_waitcnt lgkmcnt(0)
	s_sub_i32 s59, s22, s31
	s_cmp_lt_i32 s59, s26
	s_cselect_b64 s[56:57], -1, 0
	s_cmp_lt_i32 s59, s70
	s_cselect_b64 s[22:23], -1, 0
	s_cmp_ge_i32 s59, s70
	s_cselect_b64 s[60:61], -1, 0
	s_or_b64 s[60:61], s[56:57], s[60:61]
	s_mov_b64 s[56:57], -1
	s_and_b64 vcc, exec, s[60:61]
	s_cbranch_vccz .LBB203_59
; %bb.58:                               ;   in Loop: Header=BB203_57 Depth=2
	s_min_i32 s58, s59, s15
	s_and_b64 s[56:57], s[22:23], exec
	s_cselect_b32 s58, s15, s58
	s_mov_b64 s[56:57], 0
.LBB203_59:                             ;   in Loop: Header=BB203_57 Depth=2
	s_andn2_b64 vcc, exec, s[56:57]
	s_cbranch_vccnz .LBB203_56
; %bb.60:                               ;   in Loop: Header=BB203_57 Depth=2
	s_sub_i32 s56, s59, s26
	v_mov_b32_e32 v9, s56
	ds_write_b8 v9, v52 offset:16384
	s_and_saveexec_b64 s[22:23], s[48:49]
	s_cbranch_execz .LBB203_55
; %bb.61:                               ;   in Loop: Header=BB203_57 Depth=2
	global_load_dwordx2 v[30:31], v[26:27], off
	s_lshl_b32 s56, s56, 8
	v_or3_b32 v9, s56, v42, v13
	v_lshlrev_b32_e32 v9, 3, v9
	ds_read_b64 v[32:33], v9
	s_waitcnt vmcnt(0) lgkmcnt(0)
	v_fmac_f64_e32 v[32:33], v[4:5], v[30:31]
	ds_write_b64 v9, v[32:33]
	s_branch .LBB203_55
.LBB203_62:                             ;   in Loop: Header=BB203_14 Depth=1
	s_barrier
	ds_read_u8 v9, v8 offset:16384
	s_add_i32 s10, s26, s30
	s_mov_b32 s11, 0
	s_waitcnt lgkmcnt(0)
	v_cmp_eq_u32_e32 vcc, 0, v9
	s_cbranch_vccnz .LBB203_66
; %bb.63:                               ;   in Loop: Header=BB203_14 Depth=1
	v_lshlrev_b64 v[26:27], 2, v[24:25]
	v_mov_b32_e32 v9, s41
	v_add_co_u32_e32 v26, vcc, s40, v26
	v_addc_co_u32_e32 v27, vcc, v9, v27, vcc
	v_mov_b32_e32 v9, s10
	global_store_dword v[26:27], v9, off
	s_and_saveexec_b64 s[8:9], s[48:49]
	s_cbranch_execz .LBB203_65
; %bb.64:                               ;   in Loop: Header=BB203_14 Depth=1
	v_mad_u64_u32 v[26:27], s[22:23], v24, s50, 0
	v_mov_b32_e32 v28, v27
	v_mad_u64_u32 v[28:29], s[22:23], v25, s50, v[28:29]
	v_mov_b32_e32 v27, v28
	ds_read_b64 v[28:29], v47
	v_lshlrev_b64 v[26:27], 3, v[26:27]
	v_add_co_u32_e32 v26, vcc, v12, v26
	v_addc_co_u32_e32 v27, vcc, v1, v27, vcc
	s_waitcnt lgkmcnt(0)
	global_store_dwordx2 v[26:27], v[28:29], off
.LBB203_65:                             ;   in Loop: Header=BB203_14 Depth=1
	s_or_b64 exec, exec, s[8:9]
	s_mov_b32 s11, 1
.LBB203_66:                             ;   in Loop: Header=BB203_14 Depth=1
	ds_read_u8 v9, v8 offset:16385
	s_waitcnt lgkmcnt(0)
	v_cmp_eq_u32_e32 vcc, 0, v9
	v_add_co_u32_e64 v9, s[8:9], -1, v24
	v_addc_co_u32_e64 v28, s[8:9], -1, v25, s[8:9]
	s_cbranch_vccz .LBB203_72
; %bb.67:                               ;   in Loop: Header=BB203_14 Depth=1
	ds_read_u8 v26, v8 offset:16386
	s_waitcnt lgkmcnt(0)
	v_cmp_eq_u32_e32 vcc, 0, v26
	s_cbranch_vccz .LBB203_75
.LBB203_68:                             ;   in Loop: Header=BB203_14 Depth=1
	ds_read_u8 v26, v8 offset:16387
	s_waitcnt lgkmcnt(0)
	v_cmp_eq_u32_e32 vcc, 0, v26
	s_cbranch_vccz .LBB203_78
.LBB203_69:                             ;   in Loop: Header=BB203_14 Depth=1
	ds_read_u8 v26, v8 offset:16388
	s_waitcnt lgkmcnt(0)
	v_cmp_eq_u32_e32 vcc, 0, v26
	s_cbranch_vccz .LBB203_81
.LBB203_70:                             ;   in Loop: Header=BB203_14 Depth=1
	ds_read_u8 v26, v8 offset:16389
	s_waitcnt lgkmcnt(0)
	v_cmp_eq_u32_e32 vcc, 0, v26
	s_cbranch_vccz .LBB203_84
.LBB203_71:                             ;   in Loop: Header=BB203_14 Depth=1
	ds_read_u8 v26, v8 offset:16390
	s_waitcnt lgkmcnt(0)
	v_cmp_eq_u32_e32 vcc, 0, v26
	s_cbranch_vccz .LBB203_87
	s_branch .LBB203_90
.LBB203_72:                             ;   in Loop: Header=BB203_14 Depth=1
	s_add_i32 s11, s11, 1
	v_add_co_u32_e32 v26, vcc, s11, v24
	v_addc_co_u32_e32 v27, vcc, 0, v25, vcc
	v_lshlrev_b64 v[26:27], 2, v[26:27]
	s_add_i32 s8, s10, 1
	v_mov_b32_e32 v29, s68
	v_add_co_u32_e32 v26, vcc, s67, v26
	v_addc_co_u32_e32 v27, vcc, v29, v27, vcc
	v_mov_b32_e32 v29, s8
	global_store_dword v[26:27], v29, off
	s_and_saveexec_b64 s[8:9], s[48:49]
	s_cbranch_execz .LBB203_74
; %bb.73:                               ;   in Loop: Header=BB203_14 Depth=1
	v_mov_b32_e32 v26, s27
	v_add_co_u32_e32 v27, vcc, s11, v9
	v_addc_co_u32_e32 v29, vcc, v28, v26, vcc
	v_mad_u64_u32 v[26:27], s[22:23], v27, s50, 0
	v_mov_b32_e32 v30, v27
	v_mad_u64_u32 v[30:31], s[22:23], v29, s50, v[30:31]
	v_mov_b32_e32 v27, v30
	ds_read_b64 v[30:31], v48 offset:2048
	v_lshlrev_b64 v[26:27], 3, v[26:27]
	v_add_co_u32_e32 v26, vcc, v12, v26
	v_addc_co_u32_e32 v27, vcc, v1, v27, vcc
	s_waitcnt lgkmcnt(0)
	global_store_dwordx2 v[26:27], v[30:31], off
.LBB203_74:                             ;   in Loop: Header=BB203_14 Depth=1
	s_or_b64 exec, exec, s[8:9]
	ds_read_u8 v26, v8 offset:16386
	s_waitcnt lgkmcnt(0)
	v_cmp_eq_u32_e32 vcc, 0, v26
	s_cbranch_vccnz .LBB203_68
.LBB203_75:                             ;   in Loop: Header=BB203_14 Depth=1
	s_add_i32 s11, s11, 1
	v_add_co_u32_e32 v26, vcc, s11, v24
	v_addc_co_u32_e32 v27, vcc, 0, v25, vcc
	v_lshlrev_b64 v[26:27], 2, v[26:27]
	s_add_i32 s8, s10, 2
	v_mov_b32_e32 v29, s68
	v_add_co_u32_e32 v26, vcc, s67, v26
	v_addc_co_u32_e32 v27, vcc, v29, v27, vcc
	v_mov_b32_e32 v29, s8
	global_store_dword v[26:27], v29, off
	s_and_saveexec_b64 s[8:9], s[48:49]
	s_cbranch_execz .LBB203_77
; %bb.76:                               ;   in Loop: Header=BB203_14 Depth=1
	v_mov_b32_e32 v26, s27
	v_add_co_u32_e32 v27, vcc, s11, v9
	v_addc_co_u32_e32 v29, vcc, v28, v26, vcc
	v_mad_u64_u32 v[26:27], s[22:23], v27, s50, 0
	v_mov_b32_e32 v30, v27
	v_mad_u64_u32 v[30:31], s[22:23], v29, s50, v[30:31]
	v_mov_b32_e32 v27, v30
	ds_read_b64 v[30:31], v48 offset:4096
	v_lshlrev_b64 v[26:27], 3, v[26:27]
	v_add_co_u32_e32 v26, vcc, v12, v26
	v_addc_co_u32_e32 v27, vcc, v1, v27, vcc
	s_waitcnt lgkmcnt(0)
	global_store_dwordx2 v[26:27], v[30:31], off
.LBB203_77:                             ;   in Loop: Header=BB203_14 Depth=1
	s_or_b64 exec, exec, s[8:9]
	ds_read_u8 v26, v8 offset:16387
	s_waitcnt lgkmcnt(0)
	v_cmp_eq_u32_e32 vcc, 0, v26
	s_cbranch_vccnz .LBB203_69
.LBB203_78:                             ;   in Loop: Header=BB203_14 Depth=1
	s_add_i32 s11, s11, 1
	v_add_co_u32_e32 v26, vcc, s11, v24
	v_addc_co_u32_e32 v27, vcc, 0, v25, vcc
	v_lshlrev_b64 v[26:27], 2, v[26:27]
	s_add_i32 s8, s10, 3
	v_mov_b32_e32 v29, s68
	v_add_co_u32_e32 v26, vcc, s67, v26
	v_addc_co_u32_e32 v27, vcc, v29, v27, vcc
	v_mov_b32_e32 v29, s8
	global_store_dword v[26:27], v29, off
	s_and_saveexec_b64 s[8:9], s[48:49]
	s_cbranch_execz .LBB203_80
; %bb.79:                               ;   in Loop: Header=BB203_14 Depth=1
	v_mov_b32_e32 v26, s27
	v_add_co_u32_e32 v27, vcc, s11, v9
	v_addc_co_u32_e32 v29, vcc, v28, v26, vcc
	v_mad_u64_u32 v[26:27], s[22:23], v27, s50, 0
	v_mov_b32_e32 v30, v27
	v_mad_u64_u32 v[30:31], s[22:23], v29, s50, v[30:31]
	v_mov_b32_e32 v27, v30
	ds_read_b64 v[30:31], v48 offset:6144
	v_lshlrev_b64 v[26:27], 3, v[26:27]
	v_add_co_u32_e32 v26, vcc, v12, v26
	v_addc_co_u32_e32 v27, vcc, v1, v27, vcc
	s_waitcnt lgkmcnt(0)
	global_store_dwordx2 v[26:27], v[30:31], off
.LBB203_80:                             ;   in Loop: Header=BB203_14 Depth=1
	s_or_b64 exec, exec, s[8:9]
	ds_read_u8 v26, v8 offset:16388
	s_waitcnt lgkmcnt(0)
	v_cmp_eq_u32_e32 vcc, 0, v26
	s_cbranch_vccnz .LBB203_70
.LBB203_81:                             ;   in Loop: Header=BB203_14 Depth=1
	s_add_i32 s11, s11, 1
	v_add_co_u32_e32 v26, vcc, s11, v24
	v_addc_co_u32_e32 v27, vcc, 0, v25, vcc
	v_lshlrev_b64 v[26:27], 2, v[26:27]
	s_add_i32 s8, s10, 4
	v_mov_b32_e32 v29, s68
	v_add_co_u32_e32 v26, vcc, s67, v26
	v_addc_co_u32_e32 v27, vcc, v29, v27, vcc
	v_mov_b32_e32 v29, s8
	global_store_dword v[26:27], v29, off
	s_and_saveexec_b64 s[8:9], s[48:49]
	s_cbranch_execz .LBB203_83
; %bb.82:                               ;   in Loop: Header=BB203_14 Depth=1
	v_mov_b32_e32 v26, s27
	v_add_co_u32_e32 v27, vcc, s11, v9
	v_addc_co_u32_e32 v29, vcc, v28, v26, vcc
	v_mad_u64_u32 v[26:27], s[22:23], v27, s50, 0
	v_mov_b32_e32 v30, v27
	v_mad_u64_u32 v[30:31], s[22:23], v29, s50, v[30:31]
	v_mov_b32_e32 v27, v30
	ds_read_b64 v[30:31], v47 offset:8192
	v_lshlrev_b64 v[26:27], 3, v[26:27]
	v_add_co_u32_e32 v26, vcc, v12, v26
	v_addc_co_u32_e32 v27, vcc, v1, v27, vcc
	s_waitcnt lgkmcnt(0)
	global_store_dwordx2 v[26:27], v[30:31], off
.LBB203_83:                             ;   in Loop: Header=BB203_14 Depth=1
	s_or_b64 exec, exec, s[8:9]
	ds_read_u8 v26, v8 offset:16389
	s_waitcnt lgkmcnt(0)
	v_cmp_eq_u32_e32 vcc, 0, v26
	s_cbranch_vccnz .LBB203_71
.LBB203_84:                             ;   in Loop: Header=BB203_14 Depth=1
	s_add_i32 s11, s11, 1
	v_add_co_u32_e32 v26, vcc, s11, v24
	v_addc_co_u32_e32 v27, vcc, 0, v25, vcc
	v_lshlrev_b64 v[26:27], 2, v[26:27]
	s_add_i32 s8, s10, 5
	v_mov_b32_e32 v29, s68
	v_add_co_u32_e32 v26, vcc, s67, v26
	v_addc_co_u32_e32 v27, vcc, v29, v27, vcc
	v_mov_b32_e32 v29, s8
	global_store_dword v[26:27], v29, off
	s_and_saveexec_b64 s[8:9], s[48:49]
	s_cbranch_execz .LBB203_86
; %bb.85:                               ;   in Loop: Header=BB203_14 Depth=1
	v_mov_b32_e32 v26, s27
	v_add_co_u32_e32 v27, vcc, s11, v9
	v_addc_co_u32_e32 v29, vcc, v28, v26, vcc
	v_mad_u64_u32 v[26:27], s[22:23], v27, s50, 0
	v_mov_b32_e32 v30, v27
	v_mad_u64_u32 v[30:31], s[22:23], v29, s50, v[30:31]
	v_mov_b32_e32 v27, v30
	ds_read_b64 v[30:31], v48 offset:10240
	v_lshlrev_b64 v[26:27], 3, v[26:27]
	v_add_co_u32_e32 v26, vcc, v12, v26
	v_addc_co_u32_e32 v27, vcc, v1, v27, vcc
	s_waitcnt lgkmcnt(0)
	global_store_dwordx2 v[26:27], v[30:31], off
.LBB203_86:                             ;   in Loop: Header=BB203_14 Depth=1
	s_or_b64 exec, exec, s[8:9]
	ds_read_u8 v26, v8 offset:16390
	s_waitcnt lgkmcnt(0)
	v_cmp_eq_u32_e32 vcc, 0, v26
	s_cbranch_vccnz .LBB203_90
.LBB203_87:                             ;   in Loop: Header=BB203_14 Depth=1
	s_add_i32 s11, s11, 1
	v_add_co_u32_e32 v26, vcc, s11, v24
	v_addc_co_u32_e32 v27, vcc, 0, v25, vcc
	v_lshlrev_b64 v[26:27], 2, v[26:27]
	s_add_i32 s8, s10, 6
	v_mov_b32_e32 v29, s68
	v_add_co_u32_e32 v26, vcc, s67, v26
	v_addc_co_u32_e32 v27, vcc, v29, v27, vcc
	v_mov_b32_e32 v29, s8
	global_store_dword v[26:27], v29, off
	s_and_saveexec_b64 s[8:9], s[48:49]
	s_cbranch_execz .LBB203_89
; %bb.88:                               ;   in Loop: Header=BB203_14 Depth=1
	v_mov_b32_e32 v26, s27
	v_add_co_u32_e32 v27, vcc, s11, v9
	v_addc_co_u32_e32 v29, vcc, v28, v26, vcc
	v_mad_u64_u32 v[26:27], s[22:23], v27, s50, 0
	v_mov_b32_e32 v30, v27
	v_mad_u64_u32 v[30:31], s[22:23], v29, s50, v[30:31]
	v_mov_b32_e32 v27, v30
	ds_read_b64 v[30:31], v48 offset:12288
	v_lshlrev_b64 v[26:27], 3, v[26:27]
	v_add_co_u32_e32 v26, vcc, v12, v26
	v_addc_co_u32_e32 v27, vcc, v1, v27, vcc
	s_waitcnt lgkmcnt(0)
	global_store_dwordx2 v[26:27], v[30:31], off
.LBB203_89:                             ;   in Loop: Header=BB203_14 Depth=1
	s_or_b64 exec, exec, s[8:9]
.LBB203_90:                             ;   in Loop: Header=BB203_14 Depth=1
	ds_read_u8 v26, v8 offset:16391
	s_waitcnt lgkmcnt(0)
	v_readfirstlane_b32 s8, v26
	s_bitcmp1_b32 s8, 0
	s_cselect_b64 s[8:9], -1, 0
	s_and_b64 vcc, exec, s[8:9]
	s_cbranch_vccnz .LBB203_92
; %bb.91:                               ;   in Loop: Header=BB203_14 Depth=1
	v_add_co_u32_e32 v26, vcc, s11, v24
	v_addc_co_u32_e32 v27, vcc, 0, v25, vcc
	s_cbranch_execnz .LBB203_13
	s_branch .LBB203_93
.LBB203_92:                             ;   in Loop: Header=BB203_14 Depth=1
                                        ; implicit-def: $vgpr26_vgpr27
.LBB203_93:                             ;   in Loop: Header=BB203_14 Depth=1
	s_add_i32 s11, s11, 1
	v_add_co_u32_e32 v26, vcc, s11, v24
	v_addc_co_u32_e32 v27, vcc, 0, v25, vcc
	v_lshlrev_b64 v[24:25], 2, v[26:27]
	s_add_i32 s8, s10, 7
	v_mov_b32_e32 v29, s68
	v_add_co_u32_e32 v24, vcc, s67, v24
	v_addc_co_u32_e32 v25, vcc, v29, v25, vcc
	v_mov_b32_e32 v29, s8
	global_store_dword v[24:25], v29, off
	s_and_saveexec_b64 s[8:9], s[48:49]
	s_cbranch_execz .LBB203_12
; %bb.94:                               ;   in Loop: Header=BB203_14 Depth=1
	v_mov_b32_e32 v24, s27
	v_add_co_u32_e32 v9, vcc, s11, v9
	v_addc_co_u32_e32 v25, vcc, v28, v24, vcc
	v_mad_u64_u32 v[28:29], s[10:11], v9, s50, 0
	v_mov_b32_e32 v24, v29
	v_mad_u64_u32 v[30:31], s[10:11], v25, s50, v[24:25]
	ds_read_b64 v[24:25], v48 offset:14336
	v_mov_b32_e32 v29, v30
	s_andn2_b64 vcc, exec, s[24:25]
	v_lshlrev_b64 v[28:29], 3, v[28:29]
	s_cbranch_vccnz .LBB203_96
; %bb.95:                               ;   in Loop: Header=BB203_14 Depth=1
	v_add_co_u32_e32 v30, vcc, v43, v28
	v_addc_co_u32_e32 v31, vcc, v44, v29, vcc
	s_waitcnt lgkmcnt(0)
	global_store_dwordx2 v[30:31], v[24:25], off
	s_cbranch_execnz .LBB203_12
	s_branch .LBB203_97
.LBB203_96:                             ;   in Loop: Header=BB203_14 Depth=1
.LBB203_97:                             ;   in Loop: Header=BB203_14 Depth=1
	v_add_co_u32_e32 v28, vcc, v45, v28
	v_addc_co_u32_e32 v29, vcc, v46, v29, vcc
	s_waitcnt lgkmcnt(0)
	global_store_dwordx2 v[28:29], v[24:25], off
	s_branch .LBB203_12
.LBB203_98:
	s_endpgm
	.section	.rodata,"a",@progbits
	.p2align	6, 0x0
	.amdhsa_kernel _ZN9rocsparseL31bsrgemm_block_per_row_multipassILj256ELj8ELj16ElidEEv20rocsparse_direction_T3_S2_PKS2_S4_NS_24const_host_device_scalarIT4_EEPKT2_S4_PKS6_SA_S4_SC_S7_SA_S4_SC_SA_PS2_PS6_PS8_21rocsparse_index_base_SG_SG_SG_bbb
		.amdhsa_group_segment_fixed_size 16392
		.amdhsa_private_segment_fixed_size 0
		.amdhsa_kernarg_size 172
		.amdhsa_user_sgpr_count 6
		.amdhsa_user_sgpr_private_segment_buffer 1
		.amdhsa_user_sgpr_dispatch_ptr 0
		.amdhsa_user_sgpr_queue_ptr 0
		.amdhsa_user_sgpr_kernarg_segment_ptr 1
		.amdhsa_user_sgpr_dispatch_id 0
		.amdhsa_user_sgpr_flat_scratch_init 0
		.amdhsa_user_sgpr_kernarg_preload_length 0
		.amdhsa_user_sgpr_kernarg_preload_offset 0
		.amdhsa_user_sgpr_private_segment_size 0
		.amdhsa_uses_dynamic_stack 0
		.amdhsa_system_sgpr_private_segment_wavefront_offset 0
		.amdhsa_system_sgpr_workgroup_id_x 1
		.amdhsa_system_sgpr_workgroup_id_y 0
		.amdhsa_system_sgpr_workgroup_id_z 0
		.amdhsa_system_sgpr_workgroup_info 0
		.amdhsa_system_vgpr_workitem_id 0
		.amdhsa_next_free_vgpr 58
		.amdhsa_next_free_sgpr 73
		.amdhsa_accum_offset 60
		.amdhsa_reserve_vcc 1
		.amdhsa_reserve_flat_scratch 0
		.amdhsa_float_round_mode_32 0
		.amdhsa_float_round_mode_16_64 0
		.amdhsa_float_denorm_mode_32 3
		.amdhsa_float_denorm_mode_16_64 3
		.amdhsa_dx10_clamp 1
		.amdhsa_ieee_mode 1
		.amdhsa_fp16_overflow 0
		.amdhsa_tg_split 0
		.amdhsa_exception_fp_ieee_invalid_op 0
		.amdhsa_exception_fp_denorm_src 0
		.amdhsa_exception_fp_ieee_div_zero 0
		.amdhsa_exception_fp_ieee_overflow 0
		.amdhsa_exception_fp_ieee_underflow 0
		.amdhsa_exception_fp_ieee_inexact 0
		.amdhsa_exception_int_div_zero 0
	.end_amdhsa_kernel
	.section	.text._ZN9rocsparseL31bsrgemm_block_per_row_multipassILj256ELj8ELj16ElidEEv20rocsparse_direction_T3_S2_PKS2_S4_NS_24const_host_device_scalarIT4_EEPKT2_S4_PKS6_SA_S4_SC_S7_SA_S4_SC_SA_PS2_PS6_PS8_21rocsparse_index_base_SG_SG_SG_bbb,"axG",@progbits,_ZN9rocsparseL31bsrgemm_block_per_row_multipassILj256ELj8ELj16ElidEEv20rocsparse_direction_T3_S2_PKS2_S4_NS_24const_host_device_scalarIT4_EEPKT2_S4_PKS6_SA_S4_SC_S7_SA_S4_SC_SA_PS2_PS6_PS8_21rocsparse_index_base_SG_SG_SG_bbb,comdat
.Lfunc_end203:
	.size	_ZN9rocsparseL31bsrgemm_block_per_row_multipassILj256ELj8ELj16ElidEEv20rocsparse_direction_T3_S2_PKS2_S4_NS_24const_host_device_scalarIT4_EEPKT2_S4_PKS6_SA_S4_SC_S7_SA_S4_SC_SA_PS2_PS6_PS8_21rocsparse_index_base_SG_SG_SG_bbb, .Lfunc_end203-_ZN9rocsparseL31bsrgemm_block_per_row_multipassILj256ELj8ELj16ElidEEv20rocsparse_direction_T3_S2_PKS2_S4_NS_24const_host_device_scalarIT4_EEPKT2_S4_PKS6_SA_S4_SC_S7_SA_S4_SC_SA_PS2_PS6_PS8_21rocsparse_index_base_SG_SG_SG_bbb
                                        ; -- End function
	.section	.AMDGPU.csdata,"",@progbits
; Kernel info:
; codeLenInByte = 3744
; NumSgprs: 77
; NumVgprs: 58
; NumAgprs: 0
; TotalNumVgprs: 58
; ScratchSize: 0
; MemoryBound: 1
; FloatMode: 240
; IeeeMode: 1
; LDSByteSize: 16392 bytes/workgroup (compile time only)
; SGPRBlocks: 9
; VGPRBlocks: 7
; NumSGPRsForWavesPerEU: 77
; NumVGPRsForWavesPerEU: 58
; AccumOffset: 60
; Occupancy: 3
; WaveLimiterHint : 1
; COMPUTE_PGM_RSRC2:SCRATCH_EN: 0
; COMPUTE_PGM_RSRC2:USER_SGPR: 6
; COMPUTE_PGM_RSRC2:TRAP_HANDLER: 0
; COMPUTE_PGM_RSRC2:TGID_X_EN: 1
; COMPUTE_PGM_RSRC2:TGID_Y_EN: 0
; COMPUTE_PGM_RSRC2:TGID_Z_EN: 0
; COMPUTE_PGM_RSRC2:TIDIG_COMP_CNT: 0
; COMPUTE_PGM_RSRC3_GFX90A:ACCUM_OFFSET: 14
; COMPUTE_PGM_RSRC3_GFX90A:TG_SPLIT: 0
	.section	.text._ZN9rocsparseL31bsrgemm_block_per_row_multipassILj256ELj2ELj32ElidEEv20rocsparse_direction_T3_S2_PKS2_S4_NS_24const_host_device_scalarIT4_EEPKT2_S4_PKS6_SA_S4_SC_S7_SA_S4_SC_SA_PS2_PS6_PS8_21rocsparse_index_base_SG_SG_SG_bbb,"axG",@progbits,_ZN9rocsparseL31bsrgemm_block_per_row_multipassILj256ELj2ELj32ElidEEv20rocsparse_direction_T3_S2_PKS2_S4_NS_24const_host_device_scalarIT4_EEPKT2_S4_PKS6_SA_S4_SC_S7_SA_S4_SC_SA_PS2_PS6_PS8_21rocsparse_index_base_SG_SG_SG_bbb,comdat
	.globl	_ZN9rocsparseL31bsrgemm_block_per_row_multipassILj256ELj2ELj32ElidEEv20rocsparse_direction_T3_S2_PKS2_S4_NS_24const_host_device_scalarIT4_EEPKT2_S4_PKS6_SA_S4_SC_S7_SA_S4_SC_SA_PS2_PS6_PS8_21rocsparse_index_base_SG_SG_SG_bbb ; -- Begin function _ZN9rocsparseL31bsrgemm_block_per_row_multipassILj256ELj2ELj32ElidEEv20rocsparse_direction_T3_S2_PKS2_S4_NS_24const_host_device_scalarIT4_EEPKT2_S4_PKS6_SA_S4_SC_S7_SA_S4_SC_SA_PS2_PS6_PS8_21rocsparse_index_base_SG_SG_SG_bbb
	.p2align	8
	.type	_ZN9rocsparseL31bsrgemm_block_per_row_multipassILj256ELj2ELj32ElidEEv20rocsparse_direction_T3_S2_PKS2_S4_NS_24const_host_device_scalarIT4_EEPKT2_S4_PKS6_SA_S4_SC_S7_SA_S4_SC_SA_PS2_PS6_PS8_21rocsparse_index_base_SG_SG_SG_bbb,@function
_ZN9rocsparseL31bsrgemm_block_per_row_multipassILj256ELj2ELj32ElidEEv20rocsparse_direction_T3_S2_PKS2_S4_NS_24const_host_device_scalarIT4_EEPKT2_S4_PKS6_SA_S4_SC_S7_SA_S4_SC_SA_PS2_PS6_PS8_21rocsparse_index_base_SG_SG_SG_bbb: ; @_ZN9rocsparseL31bsrgemm_block_per_row_multipassILj256ELj2ELj32ElidEEv20rocsparse_direction_T3_S2_PKS2_S4_NS_24const_host_device_scalarIT4_EEPKT2_S4_PKS6_SA_S4_SC_S7_SA_S4_SC_SA_PS2_PS6_PS8_21rocsparse_index_base_SG_SG_SG_bbb
; %bb.0:
	s_load_dword s7, s[4:5], 0xa8
	s_load_dwordx4 s[24:27], s[4:5], 0x98
	s_load_dwordx2 s[8:9], s[4:5], 0x20
	s_waitcnt lgkmcnt(0)
	s_and_b32 s0, 1, s7
	s_bitcmp1_b32 s7, 16
	s_cselect_b64 s[2:3], -1, 0
	s_cmp_eq_u32 s0, 1
	s_load_dwordx2 s[0:1], s[4:5], 0x58
	s_cselect_b64 s[40:41], -1, 0
	s_and_b64 s[10:11], s[40:41], exec
	s_cselect_b32 s11, s9, 0
	s_cselect_b32 s10, s8, 0
	s_xor_b64 s[12:13], s[40:41], -1
	s_or_b64 s[12:13], s[12:13], s[2:3]
	s_and_b64 vcc, exec, s[12:13]
	v_pk_mov_b32 v[2:3], s[10:11], s[10:11] op_sel:[0,1]
	s_cbranch_vccnz .LBB204_2
; %bb.1:
	v_pk_mov_b32 v[2:3], s[8:9], s[8:9] op_sel:[0,1]
	flat_load_dwordx2 v[2:3], v[2:3]
.LBB204_2:
	s_bitcmp1_b32 s7, 8
	s_load_dwordx2 s[8:9], s[4:5], 0x18
	s_cselect_b64 s[34:35], -1, 0
	s_and_b64 s[10:11], s[34:35], exec
	s_waitcnt lgkmcnt(0)
	s_cselect_b32 s11, s1, 0
	s_cselect_b32 s10, s0, 0
	s_xor_b64 s[12:13], s[34:35], -1
	s_or_b64 s[2:3], s[12:13], s[2:3]
	s_and_b64 vcc, exec, s[2:3]
	v_pk_mov_b32 v[4:5], s[10:11], s[10:11] op_sel:[0,1]
	s_cbranch_vccnz .LBB204_4
; %bb.3:
	v_pk_mov_b32 v[4:5], s[0:1], s[0:1] op_sel:[0,1]
	flat_load_dwordx2 v[4:5], v[4:5]
.LBB204_4:
	s_load_dwordx2 s[2:3], s[4:5], 0x28
	s_cmp_eq_u64 s[8:9], 0
	s_mov_b64 s[44:45], 0
	s_cbranch_scc1 .LBB204_6
; %bb.5:
	s_load_dwordx2 s[0:1], s[4:5], 0x10
	s_waitcnt lgkmcnt(0)
	s_load_dword s0, s[0:1], 0x0
	s_mov_b32 s1, 0
	s_waitcnt lgkmcnt(0)
	s_add_i32 s0, s0, s6
	s_lshl_b64 s[0:1], s[0:1], 2
	s_add_u32 s0, s8, s0
	s_addc_u32 s1, s9, s1
	s_load_dword s6, s[0:1], 0x0
.LBB204_6:
	v_cndmask_b32_e64 v1, 0, 1, s[40:41]
	v_cmp_ne_u32_e64 s[0:1], 1, v1
	s_andn2_b64 vcc, exec, s[40:41]
	s_cbranch_vccz .LBB204_9
; %bb.7:
	s_and_b64 vcc, exec, s[0:1]
	s_mov_b64 s[46:47], 0
	s_cbranch_vccz .LBB204_10
.LBB204_8:
	s_load_dwordx4 s[28:31], s[4:5], 0x0
	s_waitcnt lgkmcnt(0)
	s_cmp_lt_i32 s29, 1
	s_cbranch_scc0 .LBB204_11
	s_branch .LBB204_125
.LBB204_9:
	s_waitcnt lgkmcnt(0)
	s_ashr_i32 s7, s6, 31
	s_lshl_b64 s[8:9], s[6:7], 3
	s_add_u32 s8, s2, s8
	s_addc_u32 s9, s3, s9
	s_load_dwordx2 s[8:9], s[8:9], 0x0
	s_waitcnt lgkmcnt(0)
	s_sub_u32 s44, s8, s24
	s_subb_u32 s45, s9, 0
	s_and_b64 vcc, exec, s[0:1]
	s_mov_b64 s[46:47], 0
	s_cbranch_vccnz .LBB204_8
.LBB204_10:
	s_waitcnt lgkmcnt(0)
	s_ashr_i32 s7, s6, 31
	s_lshl_b64 s[0:1], s[6:7], 3
	s_add_u32 s0, s2, s0
	s_addc_u32 s1, s3, s1
	s_load_dwordx2 s[0:1], s[0:1], 0x8
	s_waitcnt lgkmcnt(0)
	s_sub_u32 s46, s0, s24
	s_subb_u32 s47, s1, 0
	s_load_dwordx4 s[28:31], s[4:5], 0x0
	s_waitcnt lgkmcnt(0)
	s_cmp_lt_i32 s29, 1
	s_cbranch_scc1 .LBB204_125
.LBB204_11:
	s_load_dwordx8 s[8:15], s[4:5], 0x60
	s_load_dwordx2 s[48:49], s[4:5], 0x90
	s_load_dwordx4 s[36:39], s[4:5], 0x80
	s_load_dwordx2 s[42:43], s[4:5], 0x50
	s_ashr_i32 s7, s6, 31
	s_lshl_b64 s[6:7], s[6:7], 3
	s_waitcnt lgkmcnt(0)
	s_add_u32 s0, s14, s6
	s_addc_u32 s1, s15, s7
	s_load_dwordx2 s[2:3], s[0:1], 0x0
	s_load_dwordx8 s[16:23], s[4:5], 0x30
	v_pk_mov_b32 v[8:9], s[46:47], s[46:47] op_sel:[0,1]
	v_lshrrev_b32_e32 v14, 3, v0
	v_cmp_lt_i64_e64 s[4:5], s[44:45], v[8:9]
	v_mov_b32_e32 v8, 0
	v_and_b32_e32 v6, 7, v0
	v_mul_lo_u32 v10, v14, s30
	v_mov_b32_e32 v11, v8
	s_waitcnt lgkmcnt(0)
	s_sub_u32 s68, s2, s26
	v_lshlrev_b64 v[18:19], 3, v[10:11]
	v_lshlrev_b32_e32 v16, 3, v6
	s_subb_u32 s69, s3, 0
	v_mul_lo_u32 v12, v6, s30
	v_mov_b32_e32 v13, v8
	v_add_co_u32_e64 v1, s[2:3], v18, v16
	v_and_b32_e32 v9, 0xf8, v0
	v_lshlrev_b64 v[10:11], 3, v[12:13]
	v_addc_co_u32_e64 v7, s[2:3], 0, v19, s[2:3]
	v_add_co_u32_e64 v42, s[2:3], v9, v10
	s_cmp_eq_u32 s28, 0
	v_addc_co_u32_e64 v43, s[2:3], 0, v11, s[2:3]
	s_cselect_b64 s[2:3], -1, 0
	s_cmp_lg_u32 s28, 0
	s_cselect_b64 s[50:51], -1, 0
	s_cmp_gt_i32 s30, 0
	s_cselect_b64 s[52:53], -1, 0
	s_add_u32 s54, s8, s6
	s_addc_u32 s55, s9, s7
	v_mov_b32_e32 v13, s39
	v_add_co_u32_e64 v69, s[6:7], s38, v9
	v_addc_co_u32_e64 v70, s[6:7], 0, v13, s[6:7]
	v_add_co_u32_e64 v71, s[6:7], s38, v18
	v_addc_co_u32_e64 v72, s[6:7], v13, v19, s[6:7]
	v_cmp_gt_i32_e32 vcc, s30, v14
	s_and_b64 s[38:39], s[40:41], s[4:5]
	v_cmp_gt_u32_e64 s[4:5], s30, v6
	v_or_b32_e32 v13, 8, v6
	s_lshl_b32 s6, s30, 3
	s_and_b64 s[58:59], vcc, s[4:5]
	v_cmp_gt_u32_e64 s[4:5], s30, v13
	v_add_u32_e32 v20, s6, v12
	v_or_b32_e32 v12, 16, v6
	v_lshlrev_b32_e32 v68, 5, v14
	s_and_b64 s[60:61], vcc, s[4:5]
	v_cmp_gt_u32_e64 s[4:5], s30, v12
	v_or_b32_e32 v14, 24, v6
	s_and_b64 s[62:63], vcc, s[4:5]
	v_cmp_gt_u32_e64 s[4:5], s30, v14
	s_and_b64 s[64:65], vcc, s[4:5]
	s_add_u32 s28, s20, 8
	s_mul_i32 s14, s30, s30
	s_addc_u32 s80, s21, 0
	v_or_b32_e32 v12, v68, v12
	s_add_u32 s81, s36, -4
	s_mul_i32 s31, s45, s14
	s_mul_hi_u32 s40, s44, s14
	s_mov_b32 s15, 0
	v_lshlrev_b32_e32 v75, 3, v12
	v_or_b32_e32 v12, v68, v14
	s_addc_u32 s82, s37, -1
	s_add_i32 s41, s40, s31
	s_mul_i32 s40, s44, s14
	v_lshlrev_b32_e32 v76, 3, v12
	v_or_b32_e32 v12, 0x400, v0
	s_movk_i32 s4, 0x700
	s_lshl_b64 s[66:67], s[14:15], 3
	s_lshl_b64 s[40:41], s[40:41], 3
	v_or_b32_e32 v13, v68, v13
	v_cmp_gt_u32_e64 s[4:5], s4, v12
	v_mov_b32_e32 v35, s43
	v_add_co_u32_e32 v12, vcc, s42, v10
	s_add_u32 s40, s18, s40
	v_or_b32_e32 v15, v68, v6
	v_lshlrev_b32_e32 v74, 3, v13
	v_addc_co_u32_e32 v13, vcc, v35, v11, vcc
	s_addc_u32 s41, s19, s41
	v_lshlrev_b32_e32 v73, 3, v15
	v_mov_b32_e32 v15, s41
	v_add_co_u32_e32 v14, vcc, s40, v9
	v_addc_co_u32_e32 v15, vcc, 0, v15, vcc
	v_add_co_u32_e32 v16, vcc, s42, v16
	v_addc_co_u32_e32 v17, vcc, 0, v35, vcc
	v_mov_b32_e32 v21, v8
	v_mov_b32_e32 v22, s41
	v_add_co_u32_e32 v18, vcc, s40, v18
	v_add_u32_e32 v26, s6, v20
	v_addc_co_u32_e32 v19, vcc, v22, v19, vcc
	v_lshlrev_b64 v[20:21], 3, v[20:21]
	v_add_co_u32_e32 v22, vcc, s42, v20
	v_addc_co_u32_e32 v23, vcc, v35, v21, vcc
	v_mov_b32_e32 v27, v8
	v_add_co_u32_e32 v24, vcc, 64, v16
	v_add_u32_e32 v32, s6, v26
	v_addc_co_u32_e32 v25, vcc, 0, v17, vcc
	v_lshlrev_b64 v[26:27], 3, v[26:27]
	s_mov_b32 s31, s15
	v_add_co_u32_e32 v28, vcc, s42, v26
	s_lshl_b64 s[18:19], s[30:31], 3
	v_addc_co_u32_e32 v29, vcc, v35, v27, vcc
	s_movk_i32 s31, 0x80
	v_mov_b32_e32 v33, v8
	v_add_co_u32_e32 v30, vcc, s31, v16
	v_addc_co_u32_e32 v31, vcc, 0, v17, vcc
	v_lshlrev_b64 v[32:33], 3, v[32:33]
	v_add_co_u32_e32 v34, vcc, s42, v32
	v_addc_co_u32_e32 v35, vcc, v35, v33, vcc
	s_movk_i32 s31, 0xc0
	v_add_co_u32_e32 v36, vcc, s31, v16
	v_addc_co_u32_e32 v37, vcc, 0, v17, vcc
	s_mov_b32 s56, s27
	s_mov_b32 s57, s15
	v_add_co_u32_e32 v78, vcc, v9, v20
	s_lshl_b64 s[40:41], s[56:57], 2
	v_addc_co_u32_e32 v79, vcc, 0, v21, vcc
	s_sub_u32 s31, s10, s40
	v_add_co_u32_e32 v80, vcc, v9, v26
	s_subb_u32 s57, s11, s41
	v_addc_co_u32_e32 v81, vcc, 0, v27, vcc
	s_movk_i32 s6, 0x200
	s_movk_i32 s8, 0x100
	v_add_co_u32_e32 v82, vcc, v9, v32
	s_sub_u32 s83, 1, s27
	s_mov_b32 s10, s15
	s_mov_b32 s11, s15
	;; [unrolled: 1-line block ×3, first 2 shown]
	v_cmp_gt_u32_e64 s[0:1], 2, v0
	s_mov_b32 s33, s25
	v_lshlrev_b32_e32 v77, 3, v0
	v_cmp_gt_u32_e64 s[6:7], s6, v0
	v_cmp_gt_u32_e64 s[8:9], s8, v0
	v_addc_co_u32_e32 v83, vcc, 0, v33, vcc
	s_subb_u32 s84, 0, 0
	v_pk_mov_b32 v[40:41], s[68:69], s[68:69] op_sel:[0,1]
	v_pk_mov_b32 v[38:39], s[10:11], s[10:11] op_sel:[0,1]
	v_cndmask_b32_e64 v84, 0, 1, s[52:53]
	v_mov_b32_e32 v85, 1
	v_mov_b32_e32 v86, s19
	v_cndmask_b32_e64 v87, v43, v7, s[2:3]
	v_cndmask_b32_e64 v88, v42, v1, s[2:3]
	s_branch .LBB204_14
.LBB204_12:                             ;   in Loop: Header=BB204_14 Depth=1
	s_or_b64 exec, exec, s[10:11]
.LBB204_13:                             ;   in Loop: Header=BB204_14 Depth=1
	s_min_i32 s15, s87, s29
	s_add_i32 s85, s15, 2
	s_cmp_lt_i32 s87, s29
	s_waitcnt lgkmcnt(0)
	v_pk_mov_b32 v[40:41], v[42:43], v[42:43] op_sel:[0,1]
	s_barrier
	s_barrier
	s_cbranch_scc0 .LBB204_125
.LBB204_14:                             ; =>This Loop Header: Depth=1
                                        ;     Child Loop BB204_24 Depth 2
                                        ;       Child Loop BB204_29 Depth 3
                                        ;         Child Loop BB204_41 Depth 4
                                        ;         Child Loop BB204_46 Depth 4
	;; [unrolled: 1-line block ×8, first 2 shown]
                                        ;     Child Loop BB204_90 Depth 2
	s_and_saveexec_b64 s[10:11], s[0:1]
	s_cbranch_execz .LBB204_16
; %bb.15:                               ;   in Loop: Header=BB204_14 Depth=1
	ds_write_b8 v0, v8 offset:16384
.LBB204_16:                             ;   in Loop: Header=BB204_14 Depth=1
	s_or_b64 exec, exec, s[10:11]
	ds_write2st64_b64 v77, v[38:39], v[38:39] offset1:4
	ds_write2st64_b64 v77, v[38:39], v[38:39] offset0:8 offset1:12
	ds_write_b64 v77, v[38:39] offset:8192
	s_and_saveexec_b64 s[10:11], s[4:5]
	s_xor_b64 s[10:11], exec, s[10:11]
	s_cbranch_execz .LBB204_22
; %bb.17:                               ;   in Loop: Header=BB204_14 Depth=1
	v_mov_b32_e32 v9, v8
	ds_write_b64 v77, v[8:9] offset:10240
	s_and_saveexec_b64 s[40:41], s[6:7]
	s_xor_b64 s[40:41], exec, s[40:41]
	s_cbranch_execz .LBB204_21
; %bb.18:                               ;   in Loop: Header=BB204_14 Depth=1
	ds_write_b64 v77, v[8:9] offset:12288
	s_and_saveexec_b64 s[42:43], s[8:9]
	s_xor_b64 s[42:43], exec, s[42:43]
	s_cbranch_execz .LBB204_20
; %bb.19:                               ;   in Loop: Header=BB204_14 Depth=1
	v_mov_b32_e32 v9, v8
	ds_write_b64 v77, v[8:9] offset:14336
.LBB204_20:                             ;   in Loop: Header=BB204_14 Depth=1
	s_or_b64 exec, exec, s[42:43]
.LBB204_21:                             ;   in Loop: Header=BB204_14 Depth=1
	s_or_b64 exec, exec, s[40:41]
.LBB204_22:                             ;   in Loop: Header=BB204_14 Depth=1
	s_or_b64 exec, exec, s[10:11]
	s_andn2_b64 vcc, exec, s[38:39]
	s_mov_b32 s87, s29
	s_waitcnt lgkmcnt(0)
	s_barrier
	s_cbranch_vccnz .LBB204_85
; %bb.23:                               ;   in Loop: Header=BB204_14 Depth=1
	s_cmp_lg_u32 s15, 0
	s_cselect_b64 s[40:41], -1, 0
	v_pk_mov_b32 v[42:43], v[18:19], v[18:19] op_sel:[0,1]
	v_pk_mov_b32 v[44:45], v[14:15], v[14:15] op_sel:[0,1]
	s_mov_b32 s86, s29
	s_mov_b64 s[42:43], s[44:45]
.LBB204_24:                             ;   Parent Loop BB204_14 Depth=1
                                        ; =>  This Loop Header: Depth=2
                                        ;       Child Loop BB204_29 Depth 3
                                        ;         Child Loop BB204_41 Depth 4
                                        ;         Child Loop BB204_46 Depth 4
	;; [unrolled: 1-line block ×8, first 2 shown]
	s_lshl_b64 s[10:11], s[42:43], 2
	s_add_u32 s10, s16, s10
	s_addc_u32 s11, s17, s11
	s_load_dword s10, s[10:11], 0x0
	s_and_b64 vcc, exec, s[40:41]
	s_waitcnt lgkmcnt(0)
	s_sub_i32 s10, s10, s24
	s_cbranch_vccz .LBB204_84
; %bb.25:                               ;   in Loop: Header=BB204_24 Depth=2
	s_lshl_b64 s[68:69], s[42:43], 3
	s_add_u32 s68, s48, s68
	s_addc_u32 s69, s49, s69
	global_load_dwordx2 v[46:47], v8, s[68:69]
	s_ashr_i32 s11, s10, 31
	s_waitcnt vmcnt(0)
	v_readfirstlane_b32 s68, v46
	v_readfirstlane_b32 s69, v47
	s_cbranch_execnz .LBB204_27
.LBB204_26:                             ;   in Loop: Header=BB204_24 Depth=2
	s_ashr_i32 s11, s10, 31
	s_lshl_b64 s[68:69], s[10:11], 3
	s_add_u32 s68, s20, s68
	s_addc_u32 s69, s21, s69
	s_load_dwordx2 s[68:69], s[68:69], 0x0
	s_waitcnt lgkmcnt(0)
	s_sub_u32 s68, s68, s33
	s_subb_u32 s69, s69, 0
.LBB204_27:                             ;   in Loop: Header=BB204_24 Depth=2
	s_lshl_b64 s[10:11], s[10:11], 3
	s_add_u32 s10, s28, s10
	s_addc_u32 s11, s80, s11
	s_load_dwordx2 s[10:11], s[10:11], 0x0
	s_waitcnt lgkmcnt(0)
	s_sub_u32 s70, s10, s33
	s_subb_u32 s71, s11, 0
	v_pk_mov_b32 v[46:47], s[70:71], s[70:71] op_sel:[0,1]
	v_cmp_ge_i64_e32 vcc, s[68:69], v[46:47]
	s_cbranch_vccnz .LBB204_81
; %bb.28:                               ;   in Loop: Header=BB204_24 Depth=2
	v_mov_b32_e32 v9, s68
	v_mad_u64_u32 v[46:47], s[10:11], s66, v9, v[12:13]
	s_mul_i32 s10, s67, s68
	s_mul_i32 s11, s66, s69
	s_add_i32 s72, s11, s10
	v_mad_u64_u32 v[48:49], s[10:11], s66, v9, v[16:17]
	v_mad_u64_u32 v[50:51], s[10:11], s66, v9, v[22:23]
	;; [unrolled: 1-line block ×7, first 2 shown]
	v_add_u32_e32 v47, s72, v47
	v_add_u32_e32 v49, s72, v49
	;; [unrolled: 1-line block ×8, first 2 shown]
	s_mov_b64 s[72:73], s[68:69]
.LBB204_29:                             ;   Parent Loop BB204_14 Depth=1
                                        ;     Parent Loop BB204_24 Depth=2
                                        ; =>    This Loop Header: Depth=3
                                        ;         Child Loop BB204_41 Depth 4
                                        ;         Child Loop BB204_46 Depth 4
	;; [unrolled: 1-line block ×8, first 2 shown]
	s_lshl_b64 s[10:11], s[68:69], 2
	s_add_u32 s10, s22, s10
	s_addc_u32 s11, s23, s11
	s_load_dword s10, s[10:11], 0x0
	s_mov_b64 s[76:77], -1
                                        ; implicit-def: $sgpr87
                                        ; implicit-def: $sgpr74_sgpr75
	s_waitcnt lgkmcnt(0)
	s_sub_i32 s88, s10, s25
	s_cmp_lt_i32 s88, s15
	s_cselect_b64 s[10:11], -1, 0
	s_cmp_ge_i32 s88, s85
	s_cselect_b64 s[78:79], -1, 0
	s_or_b64 s[10:11], s[10:11], s[78:79]
	s_and_b64 vcc, exec, s[10:11]
                                        ; implicit-def: $sgpr10_sgpr11
	s_cbranch_vccz .LBB204_33
; %bb.30:                               ;   in Loop: Header=BB204_29 Depth=3
	s_mov_b64 s[74:75], -1
	s_andn2_b64 vcc, exec, s[78:79]
	s_mov_b64 s[10:11], s[72:73]
	s_mov_b32 s87, s86
	s_cbranch_vccnz .LBB204_32
; %bb.31:                               ;   in Loop: Header=BB204_29 Depth=3
	s_min_i32 s87, s88, s86
	s_mov_b64 s[74:75], 0
	s_mov_b64 s[10:11], s[68:69]
.LBB204_32:                             ;   in Loop: Header=BB204_29 Depth=3
	s_mov_b64 s[76:77], 0
.LBB204_33:                             ;   in Loop: Header=BB204_29 Depth=3
	s_andn2_b64 vcc, exec, s[76:77]
	s_cbranch_vccnz .LBB204_79
; %bb.34:                               ;   in Loop: Header=BB204_29 Depth=3
	s_sub_i32 s10, s88, s15
	v_mov_b32_e32 v9, s10
	ds_write_b8 v9, v85 offset:16384
	v_lshl_or_b32 v9, s10, 10, v68
	s_and_saveexec_b64 s[10:11], s[58:59]
	s_cbranch_execnz .LBB204_38
; %bb.35:                               ;   in Loop: Header=BB204_29 Depth=3
	s_or_b64 exec, exec, s[10:11]
	s_and_saveexec_b64 s[10:11], s[60:61]
	s_cbranch_execnz .LBB204_48
.LBB204_36:                             ;   in Loop: Header=BB204_29 Depth=3
	s_or_b64 exec, exec, s[10:11]
	s_and_saveexec_b64 s[10:11], s[62:63]
	s_cbranch_execnz .LBB204_58
.LBB204_37:                             ;   in Loop: Header=BB204_29 Depth=3
	s_or_b64 exec, exec, s[10:11]
	s_and_saveexec_b64 s[74:75], s[64:65]
	s_cbranch_execnz .LBB204_68
	s_branch .LBB204_78
.LBB204_38:                             ;   in Loop: Header=BB204_29 Depth=3
	s_andn2_b64 vcc, exec, s[50:51]
	s_cbranch_vccnz .LBB204_43
; %bb.39:                               ;   in Loop: Header=BB204_29 Depth=3
	v_pk_mov_b32 v[62:63], 0, 0
	s_andn2_b64 vcc, exec, s[52:53]
	s_cbranch_vccnz .LBB204_42
; %bb.40:                               ;   in Loop: Header=BB204_29 Depth=3
	v_pk_mov_b32 v[64:65], v[44:45], v[44:45] op_sel:[0,1]
	v_pk_mov_b32 v[66:67], v[46:47], v[46:47] op_sel:[0,1]
	s_mov_b32 s74, s30
.LBB204_41:                             ;   Parent Loop BB204_14 Depth=1
                                        ;     Parent Loop BB204_24 Depth=2
                                        ;       Parent Loop BB204_29 Depth=3
                                        ; =>      This Inner Loop Header: Depth=4
	global_load_dwordx2 v[90:91], v[64:65], off
	global_load_dwordx2 v[92:93], v[66:67], off
	v_add_co_u32_e32 v66, vcc, 8, v66
	v_addc_co_u32_e32 v67, vcc, 0, v67, vcc
	s_add_i32 s74, s74, -1
	v_add_co_u32_e32 v64, vcc, s18, v64
	v_addc_co_u32_e32 v65, vcc, v65, v86, vcc
	s_cmp_lg_u32 s74, 0
	s_waitcnt vmcnt(0)
	v_fmac_f64_e32 v[62:63], v[90:91], v[92:93]
	s_cbranch_scc1 .LBB204_41
.LBB204_42:                             ;   in Loop: Header=BB204_29 Depth=3
	s_cbranch_execz .LBB204_44
	s_branch .LBB204_47
.LBB204_43:                             ;   in Loop: Header=BB204_29 Depth=3
                                        ; implicit-def: $vgpr62_vgpr63
.LBB204_44:                             ;   in Loop: Header=BB204_29 Depth=3
	v_pk_mov_b32 v[62:63], 0, 0
	s_andn2_b64 vcc, exec, s[52:53]
	s_cbranch_vccnz .LBB204_47
; %bb.45:                               ;   in Loop: Header=BB204_29 Depth=3
	v_pk_mov_b32 v[64:65], v[42:43], v[42:43] op_sel:[0,1]
	v_pk_mov_b32 v[66:67], v[48:49], v[48:49] op_sel:[0,1]
	s_mov_b32 s74, s30
.LBB204_46:                             ;   Parent Loop BB204_14 Depth=1
                                        ;     Parent Loop BB204_24 Depth=2
                                        ;       Parent Loop BB204_29 Depth=3
                                        ; =>      This Inner Loop Header: Depth=4
	global_load_dwordx2 v[90:91], v[64:65], off
	global_load_dwordx2 v[92:93], v[66:67], off
	v_add_co_u32_e32 v66, vcc, s18, v66
	v_addc_co_u32_e32 v67, vcc, v67, v86, vcc
	s_add_i32 s74, s74, -1
	v_add_co_u32_e32 v64, vcc, 8, v64
	v_addc_co_u32_e32 v65, vcc, 0, v65, vcc
	s_cmp_eq_u32 s74, 0
	s_waitcnt vmcnt(0)
	v_fmac_f64_e32 v[62:63], v[90:91], v[92:93]
	s_cbranch_scc0 .LBB204_46
.LBB204_47:                             ;   in Loop: Header=BB204_29 Depth=3
	v_or_b32_e32 v64, v9, v6
	v_lshlrev_b32_e32 v66, 3, v64
	ds_read_b64 v[64:65], v66
	s_waitcnt vmcnt(0) lgkmcnt(0)
	v_fmac_f64_e32 v[64:65], v[2:3], v[62:63]
	ds_write_b64 v66, v[64:65]
	s_or_b64 exec, exec, s[10:11]
	s_and_saveexec_b64 s[10:11], s[60:61]
	s_cbranch_execz .LBB204_36
.LBB204_48:                             ;   in Loop: Header=BB204_29 Depth=3
	s_andn2_b64 vcc, exec, s[50:51]
	s_cbranch_vccnz .LBB204_53
; %bb.49:                               ;   in Loop: Header=BB204_29 Depth=3
	v_pk_mov_b32 v[62:63], 0, 0
	s_andn2_b64 vcc, exec, s[52:53]
	s_cbranch_vccnz .LBB204_52
; %bb.50:                               ;   in Loop: Header=BB204_29 Depth=3
	v_pk_mov_b32 v[64:65], v[44:45], v[44:45] op_sel:[0,1]
	v_pk_mov_b32 v[66:67], v[50:51], v[50:51] op_sel:[0,1]
	s_mov_b32 s74, s30
.LBB204_51:                             ;   Parent Loop BB204_14 Depth=1
                                        ;     Parent Loop BB204_24 Depth=2
                                        ;       Parent Loop BB204_29 Depth=3
                                        ; =>      This Inner Loop Header: Depth=4
	global_load_dwordx2 v[90:91], v[64:65], off
	global_load_dwordx2 v[92:93], v[66:67], off
	v_add_co_u32_e32 v66, vcc, 8, v66
	v_addc_co_u32_e32 v67, vcc, 0, v67, vcc
	s_add_i32 s74, s74, -1
	v_mov_b32_e32 v89, s19
	v_add_co_u32_e32 v64, vcc, s18, v64
	v_addc_co_u32_e32 v65, vcc, v65, v89, vcc
	s_cmp_eq_u32 s74, 0
	s_waitcnt vmcnt(0)
	v_fmac_f64_e32 v[62:63], v[90:91], v[92:93]
	s_cbranch_scc0 .LBB204_51
.LBB204_52:                             ;   in Loop: Header=BB204_29 Depth=3
	s_cbranch_execz .LBB204_54
	s_branch .LBB204_57
.LBB204_53:                             ;   in Loop: Header=BB204_29 Depth=3
                                        ; implicit-def: $vgpr62_vgpr63
.LBB204_54:                             ;   in Loop: Header=BB204_29 Depth=3
	v_pk_mov_b32 v[62:63], 0, 0
	s_andn2_b64 vcc, exec, s[52:53]
	s_cbranch_vccnz .LBB204_57
; %bb.55:                               ;   in Loop: Header=BB204_29 Depth=3
	v_pk_mov_b32 v[64:65], v[42:43], v[42:43] op_sel:[0,1]
	v_pk_mov_b32 v[66:67], v[52:53], v[52:53] op_sel:[0,1]
	s_mov_b32 s74, s30
.LBB204_56:                             ;   Parent Loop BB204_14 Depth=1
                                        ;     Parent Loop BB204_24 Depth=2
                                        ;       Parent Loop BB204_29 Depth=3
                                        ; =>      This Inner Loop Header: Depth=4
	global_load_dwordx2 v[90:91], v[64:65], off
	global_load_dwordx2 v[92:93], v[66:67], off
	v_add_co_u32_e32 v64, vcc, 8, v64
	v_addc_co_u32_e32 v65, vcc, 0, v65, vcc
	s_add_i32 s74, s74, -1
	v_mov_b32_e32 v89, s19
	v_add_co_u32_e32 v66, vcc, s18, v66
	v_addc_co_u32_e32 v67, vcc, v67, v89, vcc
	s_cmp_eq_u32 s74, 0
	s_waitcnt vmcnt(0)
	v_fmac_f64_e32 v[62:63], v[90:91], v[92:93]
	s_cbranch_scc0 .LBB204_56
.LBB204_57:                             ;   in Loop: Header=BB204_29 Depth=3
	v_add_lshl_u32 v66, v9, v6, 3
	ds_read_b64 v[64:65], v66 offset:64
	s_waitcnt vmcnt(0) lgkmcnt(0)
	v_fmac_f64_e32 v[64:65], v[2:3], v[62:63]
	ds_write_b64 v66, v[64:65] offset:64
	s_or_b64 exec, exec, s[10:11]
	s_and_saveexec_b64 s[10:11], s[62:63]
	s_cbranch_execz .LBB204_37
.LBB204_58:                             ;   in Loop: Header=BB204_29 Depth=3
	s_andn2_b64 vcc, exec, s[50:51]
	s_cbranch_vccnz .LBB204_63
; %bb.59:                               ;   in Loop: Header=BB204_29 Depth=3
	v_pk_mov_b32 v[62:63], 0, 0
	s_andn2_b64 vcc, exec, s[52:53]
	s_cbranch_vccnz .LBB204_62
; %bb.60:                               ;   in Loop: Header=BB204_29 Depth=3
	v_pk_mov_b32 v[64:65], v[44:45], v[44:45] op_sel:[0,1]
	v_pk_mov_b32 v[66:67], v[54:55], v[54:55] op_sel:[0,1]
	s_mov_b32 s74, s30
.LBB204_61:                             ;   Parent Loop BB204_14 Depth=1
                                        ;     Parent Loop BB204_24 Depth=2
                                        ;       Parent Loop BB204_29 Depth=3
                                        ; =>      This Inner Loop Header: Depth=4
	global_load_dwordx2 v[90:91], v[64:65], off
	global_load_dwordx2 v[92:93], v[66:67], off
	v_add_co_u32_e32 v66, vcc, 8, v66
	v_addc_co_u32_e32 v67, vcc, 0, v67, vcc
	s_add_i32 s74, s74, -1
	v_mov_b32_e32 v89, s19
	v_add_co_u32_e32 v64, vcc, s18, v64
	v_addc_co_u32_e32 v65, vcc, v65, v89, vcc
	s_cmp_eq_u32 s74, 0
	s_waitcnt vmcnt(0)
	v_fmac_f64_e32 v[62:63], v[90:91], v[92:93]
	s_cbranch_scc0 .LBB204_61
.LBB204_62:                             ;   in Loop: Header=BB204_29 Depth=3
	s_cbranch_execz .LBB204_64
	s_branch .LBB204_67
.LBB204_63:                             ;   in Loop: Header=BB204_29 Depth=3
                                        ; implicit-def: $vgpr62_vgpr63
.LBB204_64:                             ;   in Loop: Header=BB204_29 Depth=3
	v_pk_mov_b32 v[62:63], 0, 0
	s_andn2_b64 vcc, exec, s[52:53]
	s_cbranch_vccnz .LBB204_67
; %bb.65:                               ;   in Loop: Header=BB204_29 Depth=3
	v_pk_mov_b32 v[64:65], v[42:43], v[42:43] op_sel:[0,1]
	v_pk_mov_b32 v[66:67], v[56:57], v[56:57] op_sel:[0,1]
	s_mov_b32 s74, s30
.LBB204_66:                             ;   Parent Loop BB204_14 Depth=1
                                        ;     Parent Loop BB204_24 Depth=2
                                        ;       Parent Loop BB204_29 Depth=3
                                        ; =>      This Inner Loop Header: Depth=4
	global_load_dwordx2 v[90:91], v[64:65], off
	global_load_dwordx2 v[92:93], v[66:67], off
	v_add_co_u32_e32 v64, vcc, 8, v64
	v_addc_co_u32_e32 v65, vcc, 0, v65, vcc
	s_add_i32 s74, s74, -1
	v_mov_b32_e32 v89, s19
	v_add_co_u32_e32 v66, vcc, s18, v66
	v_addc_co_u32_e32 v67, vcc, v67, v89, vcc
	s_cmp_eq_u32 s74, 0
	s_waitcnt vmcnt(0)
	v_fmac_f64_e32 v[62:63], v[90:91], v[92:93]
	s_cbranch_scc0 .LBB204_66
.LBB204_67:                             ;   in Loop: Header=BB204_29 Depth=3
	v_add_lshl_u32 v66, v9, v6, 3
	ds_read_b64 v[64:65], v66 offset:128
	s_waitcnt vmcnt(0) lgkmcnt(0)
	v_fmac_f64_e32 v[64:65], v[2:3], v[62:63]
	ds_write_b64 v66, v[64:65] offset:128
	s_or_b64 exec, exec, s[10:11]
	s_and_saveexec_b64 s[74:75], s[64:65]
	s_cbranch_execz .LBB204_78
.LBB204_68:                             ;   in Loop: Header=BB204_29 Depth=3
	s_andn2_b64 vcc, exec, s[50:51]
	v_cmp_ne_u32_e64 s[10:11], 1, v84
	s_cbranch_vccnz .LBB204_73
; %bb.69:                               ;   in Loop: Header=BB204_29 Depth=3
	v_pk_mov_b32 v[62:63], 0, 0
	s_and_b64 vcc, exec, s[10:11]
	s_cbranch_vccnz .LBB204_72
; %bb.70:                               ;   in Loop: Header=BB204_29 Depth=3
	v_pk_mov_b32 v[64:65], v[44:45], v[44:45] op_sel:[0,1]
	v_pk_mov_b32 v[66:67], v[58:59], v[58:59] op_sel:[0,1]
	s_mov_b32 s76, s30
.LBB204_71:                             ;   Parent Loop BB204_14 Depth=1
                                        ;     Parent Loop BB204_24 Depth=2
                                        ;       Parent Loop BB204_29 Depth=3
                                        ; =>      This Inner Loop Header: Depth=4
	global_load_dwordx2 v[90:91], v[64:65], off
	global_load_dwordx2 v[92:93], v[66:67], off
	v_add_co_u32_e32 v66, vcc, 8, v66
	v_addc_co_u32_e32 v67, vcc, 0, v67, vcc
	s_add_i32 s76, s76, -1
	v_mov_b32_e32 v89, s19
	v_add_co_u32_e32 v64, vcc, s18, v64
	v_addc_co_u32_e32 v65, vcc, v65, v89, vcc
	s_cmp_eq_u32 s76, 0
	s_waitcnt vmcnt(0)
	v_fmac_f64_e32 v[62:63], v[90:91], v[92:93]
	s_cbranch_scc0 .LBB204_71
.LBB204_72:                             ;   in Loop: Header=BB204_29 Depth=3
	s_cbranch_execz .LBB204_74
	s_branch .LBB204_77
.LBB204_73:                             ;   in Loop: Header=BB204_29 Depth=3
                                        ; implicit-def: $vgpr62_vgpr63
.LBB204_74:                             ;   in Loop: Header=BB204_29 Depth=3
	v_pk_mov_b32 v[62:63], 0, 0
	s_and_b64 vcc, exec, s[10:11]
	s_cbranch_vccnz .LBB204_77
; %bb.75:                               ;   in Loop: Header=BB204_29 Depth=3
	v_pk_mov_b32 v[64:65], v[42:43], v[42:43] op_sel:[0,1]
	v_pk_mov_b32 v[66:67], v[60:61], v[60:61] op_sel:[0,1]
	s_mov_b32 s10, s30
.LBB204_76:                             ;   Parent Loop BB204_14 Depth=1
                                        ;     Parent Loop BB204_24 Depth=2
                                        ;       Parent Loop BB204_29 Depth=3
                                        ; =>      This Inner Loop Header: Depth=4
	global_load_dwordx2 v[90:91], v[64:65], off
	global_load_dwordx2 v[92:93], v[66:67], off
	v_add_co_u32_e32 v64, vcc, 8, v64
	v_addc_co_u32_e32 v65, vcc, 0, v65, vcc
	s_add_i32 s10, s10, -1
	v_mov_b32_e32 v89, s19
	v_add_co_u32_e32 v66, vcc, s18, v66
	v_addc_co_u32_e32 v67, vcc, v67, v89, vcc
	s_cmp_eq_u32 s10, 0
	s_waitcnt vmcnt(0)
	v_fmac_f64_e32 v[62:63], v[90:91], v[92:93]
	s_cbranch_scc0 .LBB204_76
.LBB204_77:                             ;   in Loop: Header=BB204_29 Depth=3
	v_add_lshl_u32 v9, v9, v6, 3
	ds_read_b64 v[64:65], v9 offset:192
	s_waitcnt vmcnt(0) lgkmcnt(0)
	v_fmac_f64_e32 v[64:65], v[2:3], v[62:63]
	ds_write_b64 v9, v[64:65] offset:192
.LBB204_78:                             ;   in Loop: Header=BB204_29 Depth=3
	s_or_b64 exec, exec, s[74:75]
	s_mov_b64 s[74:75], -1
	s_mov_b64 s[10:11], s[72:73]
	s_mov_b32 s87, s86
	s_waitcnt lgkmcnt(0)
	s_barrier
.LBB204_79:                             ;   in Loop: Header=BB204_29 Depth=3
	s_add_u32 s68, s68, 1
	s_addc_u32 s69, s69, 0
	v_pk_mov_b32 v[62:63], s[70:71], s[70:71] op_sel:[0,1]
	v_cmp_lt_i64_e32 vcc, s[68:69], v[62:63]
	s_and_b64 s[72:73], s[74:75], vcc
	v_mov_b32_e32 v9, s67
	v_add_co_u32_e32 v46, vcc, s66, v46
	v_addc_co_u32_e32 v47, vcc, v47, v9, vcc
	v_add_co_u32_e32 v48, vcc, s66, v48
	v_addc_co_u32_e32 v49, vcc, v49, v9, vcc
	;; [unrolled: 2-line block ×8, first 2 shown]
	s_and_b64 vcc, exec, s[72:73]
	s_cbranch_vccz .LBB204_82
; %bb.80:                               ;   in Loop: Header=BB204_29 Depth=3
	s_mov_b64 s[72:73], s[10:11]
	s_mov_b32 s86, s87
	s_branch .LBB204_29
.LBB204_81:                             ;   in Loop: Header=BB204_24 Depth=2
	s_mov_b64 s[10:11], s[68:69]
	s_mov_b32 s87, s86
.LBB204_82:                             ;   in Loop: Header=BB204_24 Depth=2
	s_lshl_b64 s[68:69], s[42:43], 3
	s_add_u32 s68, s48, s68
	v_mov_b32_e32 v9, s67
	v_add_co_u32_e32 v44, vcc, s66, v44
	s_addc_u32 s69, s49, s69
	v_addc_co_u32_e32 v45, vcc, v45, v9, vcc
	v_pk_mov_b32 v[46:47], s[10:11], s[10:11] op_sel:[0,1]
	s_add_u32 s42, s42, 1
	v_add_co_u32_e32 v42, vcc, s66, v42
	global_store_dwordx2 v8, v[46:47], s[68:69]
	s_addc_u32 s43, s43, 0
	v_addc_co_u32_e32 v43, vcc, v43, v9, vcc
	v_pk_mov_b32 v[46:47], s[46:47], s[46:47] op_sel:[0,1]
	v_cmp_lt_i64_e32 vcc, s[42:43], v[46:47]
	s_cbranch_vccz .LBB204_85
; %bb.83:                               ;   in Loop: Header=BB204_24 Depth=2
	s_mov_b32 s86, s87
	s_branch .LBB204_24
.LBB204_84:                             ;   in Loop: Header=BB204_24 Depth=2
                                        ; implicit-def: $sgpr68_sgpr69
	s_branch .LBB204_26
.LBB204_85:                             ;   in Loop: Header=BB204_14 Depth=1
	s_andn2_b64 vcc, exec, s[34:35]
	s_cbranch_vccnz .LBB204_101
; %bb.86:                               ;   in Loop: Header=BB204_14 Depth=1
	s_load_dwordx4 s[40:43], s[54:55], 0x0
	s_waitcnt lgkmcnt(0)
	v_pk_mov_b32 v[42:43], s[42:43], s[42:43] op_sel:[0,1]
	v_cmp_ge_i64_e32 vcc, s[40:41], v[42:43]
	s_cbranch_vccnz .LBB204_101
; %bb.87:                               ;   in Loop: Header=BB204_14 Depth=1
	s_sub_u32 s10, s42, s56
	s_subb_u32 s11, s43, 0
	s_sub_u32 s68, s40, s56
	s_subb_u32 s69, s41, 0
	s_lshl_b64 s[42:43], s[40:41], 2
	s_add_u32 s42, s31, s42
	s_mul_i32 s69, s66, s69
	s_mul_hi_u32 s70, s66, s68
	s_addc_u32 s43, s57, s43
	s_add_i32 s69, s70, s69
	s_mul_i32 s70, s67, s68
	s_add_i32 s69, s69, s70
	s_mul_i32 s68, s66, s68
	s_add_u32 s72, s12, s68
	s_addc_u32 s73, s13, s69
	s_add_u32 s40, s83, s40
	s_addc_u32 s41, s84, s41
	s_branch .LBB204_90
.LBB204_88:                             ;   in Loop: Header=BB204_90 Depth=2
	s_or_b64 exec, exec, s[68:69]
	s_mov_b64 s[68:69], -1
	s_mov_b32 s74, s87
	s_waitcnt lgkmcnt(0)
	s_barrier
.LBB204_89:                             ;   in Loop: Header=BB204_90 Depth=2
	v_pk_mov_b32 v[42:43], s[10:11], s[10:11] op_sel:[0,1]
	v_cmp_lt_i64_e32 vcc, s[40:41], v[42:43]
	s_and_b64 s[68:69], s[68:69], vcc
	s_add_u32 s42, s42, 4
	s_addc_u32 s43, s43, 0
	s_add_u32 s72, s72, s66
	s_addc_u32 s73, s73, s67
	;; [unrolled: 2-line block ×3, first 2 shown]
	s_mov_b32 s87, s74
	s_and_b64 vcc, exec, s[68:69]
	s_cbranch_vccz .LBB204_101
.LBB204_90:                             ;   Parent Loop BB204_14 Depth=1
                                        ; =>  This Inner Loop Header: Depth=2
	s_load_dword s68, s[42:43], 0x0
                                        ; implicit-def: $sgpr74
	s_waitcnt lgkmcnt(0)
	s_sub_i32 s75, s68, s27
	s_cmp_lt_i32 s75, s15
	s_cselect_b64 s[70:71], -1, 0
	s_cmp_lt_i32 s75, s85
	s_cselect_b64 s[68:69], -1, 0
	s_cmp_ge_i32 s75, s85
	s_cselect_b64 s[76:77], -1, 0
	s_or_b64 s[76:77], s[70:71], s[76:77]
	s_mov_b64 s[70:71], -1
	s_and_b64 vcc, exec, s[76:77]
	s_cbranch_vccz .LBB204_92
; %bb.91:                               ;   in Loop: Header=BB204_90 Depth=2
	s_min_i32 s74, s75, s87
	s_and_b64 s[70:71], s[68:69], exec
	s_cselect_b32 s74, s87, s74
	s_mov_b64 s[70:71], 0
.LBB204_92:                             ;   in Loop: Header=BB204_90 Depth=2
	s_andn2_b64 vcc, exec, s[70:71]
	s_cbranch_vccnz .LBB204_89
; %bb.93:                               ;   in Loop: Header=BB204_90 Depth=2
	s_sub_i32 s68, s75, s15
	v_mov_b32_e32 v9, s68
	ds_write_b8 v9, v85 offset:16384
	v_lshl_or_b32 v9, s68, 10, v68
	s_and_saveexec_b64 s[68:69], s[58:59]
	s_cbranch_execnz .LBB204_97
; %bb.94:                               ;   in Loop: Header=BB204_90 Depth=2
	s_or_b64 exec, exec, s[68:69]
	v_add_lshl_u32 v9, v9, v6, 3
	s_and_saveexec_b64 s[68:69], s[60:61]
	s_cbranch_execnz .LBB204_98
.LBB204_95:                             ;   in Loop: Header=BB204_90 Depth=2
	s_or_b64 exec, exec, s[68:69]
	s_and_saveexec_b64 s[68:69], s[62:63]
	s_cbranch_execnz .LBB204_99
.LBB204_96:                             ;   in Loop: Header=BB204_90 Depth=2
	s_or_b64 exec, exec, s[68:69]
	s_and_saveexec_b64 s[68:69], s[64:65]
	s_cbranch_execz .LBB204_88
	s_branch .LBB204_100
.LBB204_97:                             ;   in Loop: Header=BB204_90 Depth=2
	v_mov_b32_e32 v43, s73
	v_add_co_u32_e32 v42, vcc, s72, v88
	v_addc_co_u32_e32 v43, vcc, v43, v87, vcc
	global_load_dwordx2 v[42:43], v[42:43], off
	v_or_b32_e32 v44, v9, v6
	v_lshlrev_b32_e32 v46, 3, v44
	ds_read_b64 v[44:45], v46
	s_waitcnt vmcnt(0) lgkmcnt(0)
	v_fmac_f64_e32 v[44:45], v[4:5], v[42:43]
	ds_write_b64 v46, v[44:45]
	s_or_b64 exec, exec, s[68:69]
	v_add_lshl_u32 v9, v9, v6, 3
	s_and_saveexec_b64 s[68:69], s[60:61]
	s_cbranch_execz .LBB204_95
.LBB204_98:                             ;   in Loop: Header=BB204_90 Depth=2
	v_mov_b32_e32 v42, s73
	v_add_co_u32_e32 v43, vcc, s72, v1
	v_addc_co_u32_e32 v44, vcc, v42, v7, vcc
	v_add_co_u32_e32 v45, vcc, 64, v43
	v_addc_co_u32_e32 v43, vcc, 0, v44, vcc
	;; [unrolled: 2-line block ×3, first 2 shown]
	v_cndmask_b32_e64 v43, v42, v43, s[2:3]
	v_cndmask_b32_e64 v42, v44, v45, s[2:3]
	global_load_dwordx2 v[42:43], v[42:43], off
	ds_read_b64 v[44:45], v9 offset:64
	s_waitcnt vmcnt(0) lgkmcnt(0)
	v_fmac_f64_e32 v[44:45], v[4:5], v[42:43]
	ds_write_b64 v9, v[44:45] offset:64
	s_or_b64 exec, exec, s[68:69]
	s_and_saveexec_b64 s[68:69], s[62:63]
	s_cbranch_execz .LBB204_96
.LBB204_99:                             ;   in Loop: Header=BB204_90 Depth=2
	v_mov_b32_e32 v42, s73
	v_add_co_u32_e32 v43, vcc, s72, v1
	v_addc_co_u32_e32 v44, vcc, v42, v7, vcc
	v_add_co_u32_e32 v45, vcc, 0x80, v43
	v_addc_co_u32_e32 v43, vcc, 0, v44, vcc
	;; [unrolled: 2-line block ×3, first 2 shown]
	v_cndmask_b32_e64 v43, v42, v43, s[2:3]
	v_cndmask_b32_e64 v42, v44, v45, s[2:3]
	global_load_dwordx2 v[42:43], v[42:43], off
	ds_read_b64 v[44:45], v9 offset:128
	s_waitcnt vmcnt(0) lgkmcnt(0)
	v_fmac_f64_e32 v[44:45], v[4:5], v[42:43]
	ds_write_b64 v9, v[44:45] offset:128
	s_or_b64 exec, exec, s[68:69]
	s_and_saveexec_b64 s[68:69], s[64:65]
	s_cbranch_execz .LBB204_88
.LBB204_100:                            ;   in Loop: Header=BB204_90 Depth=2
	v_mov_b32_e32 v42, s73
	v_add_co_u32_e32 v43, vcc, s72, v1
	v_addc_co_u32_e32 v44, vcc, v42, v7, vcc
	v_add_co_u32_e32 v45, vcc, 0xc0, v43
	v_addc_co_u32_e32 v43, vcc, 0, v44, vcc
	;; [unrolled: 2-line block ×3, first 2 shown]
	v_cndmask_b32_e64 v43, v42, v43, s[2:3]
	v_cndmask_b32_e64 v42, v44, v45, s[2:3]
	global_load_dwordx2 v[42:43], v[42:43], off
	ds_read_b64 v[44:45], v9 offset:192
	s_waitcnt vmcnt(0) lgkmcnt(0)
	v_fmac_f64_e32 v[44:45], v[4:5], v[42:43]
	ds_write_b64 v9, v[44:45] offset:192
	s_branch .LBB204_88
.LBB204_101:                            ;   in Loop: Header=BB204_14 Depth=1
	s_barrier
	ds_read_u8 v9, v8 offset:16384
	s_add_i32 s15, s15, s26
	s_mov_b32 s40, 0
	s_waitcnt lgkmcnt(0)
	v_cmp_eq_u32_e32 vcc, 0, v9
	s_cbranch_vccnz .LBB204_108
; %bb.102:                              ;   in Loop: Header=BB204_14 Depth=1
	v_lshlrev_b64 v[42:43], 2, v[40:41]
	v_mov_b32_e32 v9, s37
	v_add_co_u32_e32 v42, vcc, s36, v42
	v_addc_co_u32_e32 v43, vcc, v9, v43, vcc
	v_mov_b32_e32 v9, s15
	global_store_dword v[42:43], v9, off
	v_mad_u64_u32 v[42:43], s[10:11], v40, s14, 0
	v_mov_b32_e32 v44, v43
	v_mad_u64_u32 v[44:45], s[10:11], v41, s14, v[44:45]
	v_mov_b32_e32 v43, v44
	v_lshlrev_b64 v[44:45], 3, v[42:43]
	v_add_co_u32_e32 v9, vcc, v69, v44
	v_addc_co_u32_e32 v42, vcc, v70, v45, vcc
	v_add_co_u32_e32 v43, vcc, v71, v44
	v_addc_co_u32_e32 v44, vcc, v72, v45, vcc
	s_and_saveexec_b64 s[10:11], s[58:59]
	s_cbranch_execnz .LBB204_115
; %bb.103:                              ;   in Loop: Header=BB204_14 Depth=1
	s_or_b64 exec, exec, s[10:11]
	s_and_saveexec_b64 s[10:11], s[60:61]
	s_cbranch_execnz .LBB204_116
.LBB204_104:                            ;   in Loop: Header=BB204_14 Depth=1
	s_or_b64 exec, exec, s[10:11]
	s_and_saveexec_b64 s[10:11], s[62:63]
	s_cbranch_execnz .LBB204_117
.LBB204_105:                            ;   in Loop: Header=BB204_14 Depth=1
	s_or_b64 exec, exec, s[10:11]
	s_and_saveexec_b64 s[10:11], s[64:65]
	s_cbranch_execz .LBB204_107
.LBB204_106:                            ;   in Loop: Header=BB204_14 Depth=1
	v_lshlrev_b32_e32 v45, 3, v6
	v_add_co_u32_e32 v43, vcc, v43, v45
	v_addc_co_u32_e32 v44, vcc, 0, v44, vcc
	ds_read_b64 v[46:47], v73 offset:192
	v_add_co_u32_e32 v45, vcc, 0xc0, v43
	v_addc_co_u32_e32 v43, vcc, 0, v44, vcc
	v_add_co_u32_e32 v9, vcc, v9, v32
	v_addc_co_u32_e32 v42, vcc, v42, v33, vcc
	v_cndmask_b32_e64 v43, v42, v43, s[2:3]
	v_cndmask_b32_e64 v42, v9, v45, s[2:3]
	s_waitcnt lgkmcnt(0)
	global_store_dwordx2 v[42:43], v[46:47], off
.LBB204_107:                            ;   in Loop: Header=BB204_14 Depth=1
	s_or_b64 exec, exec, s[10:11]
	s_mov_b32 s40, 1
.LBB204_108:                            ;   in Loop: Header=BB204_14 Depth=1
	ds_read_u8 v9, v8 offset:16385
	s_waitcnt lgkmcnt(0)
	v_readfirstlane_b32 s10, v9
	s_bitcmp1_b32 s10, 0
	s_cselect_b64 s[10:11], -1, 0
	s_and_b64 vcc, exec, s[10:11]
	s_cbranch_vccnz .LBB204_110
; %bb.109:                              ;   in Loop: Header=BB204_14 Depth=1
	v_add_co_u32_e32 v42, vcc, s40, v40
	v_addc_co_u32_e32 v43, vcc, 0, v41, vcc
	s_cbranch_execnz .LBB204_13
	s_branch .LBB204_111
.LBB204_110:                            ;   in Loop: Header=BB204_14 Depth=1
                                        ; implicit-def: $vgpr42_vgpr43
.LBB204_111:                            ;   in Loop: Header=BB204_14 Depth=1
	s_add_i32 s10, s40, 1
	v_add_co_u32_e32 v42, vcc, s10, v40
	v_addc_co_u32_e32 v43, vcc, 0, v41, vcc
	v_add_co_u32_e32 v9, vcc, -1, v42
	v_addc_co_u32_e32 v45, vcc, -1, v43, vcc
	v_lshlrev_b64 v[40:41], 2, v[42:43]
	s_add_i32 s10, s15, 1
	v_mov_b32_e32 v44, s82
	v_add_co_u32_e32 v40, vcc, s81, v40
	v_addc_co_u32_e32 v41, vcc, v44, v41, vcc
	v_mov_b32_e32 v44, s10
	global_store_dword v[40:41], v44, off
	v_mad_u64_u32 v[40:41], s[10:11], v9, s14, 0
	v_mov_b32_e32 v44, v41
	v_mad_u64_u32 v[44:45], s[10:11], v45, s14, v[44:45]
	v_mov_b32_e32 v41, v44
	v_lshlrev_b64 v[40:41], 3, v[40:41]
	v_add_co_u32_e32 v45, vcc, v69, v40
	v_addc_co_u32_e32 v46, vcc, v70, v41, vcc
	v_add_co_u32_e32 v9, vcc, v71, v40
	v_addc_co_u32_e32 v44, vcc, v72, v41, vcc
	s_and_saveexec_b64 s[10:11], s[58:59]
	s_cbranch_execnz .LBB204_118
; %bb.112:                              ;   in Loop: Header=BB204_14 Depth=1
	s_or_b64 exec, exec, s[10:11]
	s_and_saveexec_b64 s[10:11], s[60:61]
	s_cbranch_execnz .LBB204_119
.LBB204_113:                            ;   in Loop: Header=BB204_14 Depth=1
	s_or_b64 exec, exec, s[10:11]
	s_and_saveexec_b64 s[10:11], s[62:63]
	s_cbranch_execnz .LBB204_120
.LBB204_114:                            ;   in Loop: Header=BB204_14 Depth=1
	s_or_b64 exec, exec, s[10:11]
	s_and_saveexec_b64 s[10:11], s[64:65]
	s_cbranch_execz .LBB204_12
	s_branch .LBB204_121
.LBB204_115:                            ;   in Loop: Header=BB204_14 Depth=1
	ds_read_b64 v[46:47], v73
	v_add_co_u32_e32 v45, vcc, v9, v10
	v_addc_co_u32_e32 v48, vcc, v42, v11, vcc
	v_lshlrev_b32_e32 v49, 3, v6
	v_add_co_u32_e32 v50, vcc, v43, v49
	v_addc_co_u32_e32 v49, vcc, 0, v44, vcc
	v_cndmask_b32_e64 v49, v48, v49, s[2:3]
	v_cndmask_b32_e64 v48, v45, v50, s[2:3]
	s_waitcnt lgkmcnt(0)
	global_store_dwordx2 v[48:49], v[46:47], off
	s_or_b64 exec, exec, s[10:11]
	s_and_saveexec_b64 s[10:11], s[60:61]
	s_cbranch_execz .LBB204_104
.LBB204_116:                            ;   in Loop: Header=BB204_14 Depth=1
	v_lshlrev_b32_e32 v45, 3, v6
	v_add_co_u32_e32 v45, vcc, v43, v45
	v_addc_co_u32_e32 v48, vcc, 0, v44, vcc
	ds_read_b64 v[46:47], v73 offset:64
	v_add_co_u32_e32 v45, vcc, 64, v45
	v_addc_co_u32_e32 v48, vcc, 0, v48, vcc
	v_add_co_u32_e32 v50, vcc, v9, v20
	v_addc_co_u32_e32 v49, vcc, v42, v21, vcc
	v_cndmask_b32_e64 v49, v49, v48, s[2:3]
	v_cndmask_b32_e64 v48, v50, v45, s[2:3]
	s_waitcnt lgkmcnt(0)
	global_store_dwordx2 v[48:49], v[46:47], off
	s_or_b64 exec, exec, s[10:11]
	s_and_saveexec_b64 s[10:11], s[62:63]
	s_cbranch_execz .LBB204_105
.LBB204_117:                            ;   in Loop: Header=BB204_14 Depth=1
	v_lshlrev_b32_e32 v45, 3, v6
	v_add_co_u32_e32 v45, vcc, v43, v45
	v_addc_co_u32_e32 v48, vcc, 0, v44, vcc
	ds_read_b64 v[46:47], v73 offset:128
	v_add_co_u32_e32 v45, vcc, 0x80, v45
	v_addc_co_u32_e32 v48, vcc, 0, v48, vcc
	v_add_co_u32_e32 v50, vcc, v9, v26
	v_addc_co_u32_e32 v49, vcc, v42, v27, vcc
	v_cndmask_b32_e64 v49, v49, v48, s[2:3]
	v_cndmask_b32_e64 v48, v50, v45, s[2:3]
	s_waitcnt lgkmcnt(0)
	global_store_dwordx2 v[48:49], v[46:47], off
	s_or_b64 exec, exec, s[10:11]
	s_and_saveexec_b64 s[10:11], s[64:65]
	s_cbranch_execnz .LBB204_106
	s_branch .LBB204_107
.LBB204_118:                            ;   in Loop: Header=BB204_14 Depth=1
	v_lshlrev_b32_e32 v47, 3, v6
	ds_read_b64 v[40:41], v73 offset:8192
	v_add_co_u32_e32 v47, vcc, v9, v47
	v_addc_co_u32_e32 v48, vcc, 0, v44, vcc
	v_add_co_u32_e32 v50, vcc, v45, v10
	v_addc_co_u32_e32 v49, vcc, v46, v11, vcc
	v_cndmask_b32_e64 v49, v49, v48, s[2:3]
	v_cndmask_b32_e64 v48, v50, v47, s[2:3]
	s_waitcnt lgkmcnt(0)
	global_store_dwordx2 v[48:49], v[40:41], off
	s_or_b64 exec, exec, s[10:11]
	s_and_saveexec_b64 s[10:11], s[60:61]
	s_cbranch_execz .LBB204_113
.LBB204_119:                            ;   in Loop: Header=BB204_14 Depth=1
	v_lshlrev_b32_e32 v47, 3, v6
	v_add_co_u32_e32 v47, vcc, v9, v47
	v_addc_co_u32_e32 v48, vcc, 0, v44, vcc
	ds_read_b64 v[40:41], v74 offset:8192
	v_add_co_u32_e32 v47, vcc, 64, v47
	v_addc_co_u32_e32 v48, vcc, 0, v48, vcc
	v_add_co_u32_e32 v50, vcc, v45, v20
	v_addc_co_u32_e32 v49, vcc, v46, v21, vcc
	v_cndmask_b32_e64 v49, v49, v48, s[2:3]
	v_cndmask_b32_e64 v48, v50, v47, s[2:3]
	s_waitcnt lgkmcnt(0)
	global_store_dwordx2 v[48:49], v[40:41], off
	s_or_b64 exec, exec, s[10:11]
	s_and_saveexec_b64 s[10:11], s[62:63]
	s_cbranch_execz .LBB204_114
.LBB204_120:                            ;   in Loop: Header=BB204_14 Depth=1
	v_lshlrev_b32_e32 v47, 3, v6
	v_add_co_u32_e32 v47, vcc, v9, v47
	v_addc_co_u32_e32 v48, vcc, 0, v44, vcc
	ds_read_b64 v[40:41], v75 offset:8192
	v_add_co_u32_e32 v47, vcc, 0x80, v47
	v_addc_co_u32_e32 v48, vcc, 0, v48, vcc
	v_add_co_u32_e32 v50, vcc, v45, v26
	v_addc_co_u32_e32 v49, vcc, v46, v27, vcc
	v_cndmask_b32_e64 v49, v49, v48, s[2:3]
	v_cndmask_b32_e64 v48, v50, v47, s[2:3]
	s_waitcnt lgkmcnt(0)
	global_store_dwordx2 v[48:49], v[40:41], off
	s_or_b64 exec, exec, s[10:11]
	s_and_saveexec_b64 s[10:11], s[64:65]
	s_cbranch_execz .LBB204_12
.LBB204_121:                            ;   in Loop: Header=BB204_14 Depth=1
	ds_read_b64 v[40:41], v76 offset:8192
	s_andn2_b64 vcc, exec, s[50:51]
	s_cbranch_vccnz .LBB204_123
; %bb.122:                              ;   in Loop: Header=BB204_14 Depth=1
	v_add_co_u32_e32 v48, vcc, v45, v32
	v_addc_co_u32_e32 v49, vcc, v46, v33, vcc
	s_waitcnt lgkmcnt(0)
	global_store_dwordx2 v[48:49], v[40:41], off
	s_cbranch_execnz .LBB204_12
	s_branch .LBB204_124
.LBB204_123:                            ;   in Loop: Header=BB204_14 Depth=1
.LBB204_124:                            ;   in Loop: Header=BB204_14 Depth=1
	v_lshlrev_b32_e32 v45, 3, v6
	v_add_co_u32_e32 v46, vcc, v9, v45
	v_addc_co_u32_e32 v47, vcc, 0, v44, vcc
	s_waitcnt lgkmcnt(0)
	global_store_dwordx2 v[46:47], v[40:41], off offset:192
	s_branch .LBB204_12
.LBB204_125:
	s_endpgm
	.section	.rodata,"a",@progbits
	.p2align	6, 0x0
	.amdhsa_kernel _ZN9rocsparseL31bsrgemm_block_per_row_multipassILj256ELj2ELj32ElidEEv20rocsparse_direction_T3_S2_PKS2_S4_NS_24const_host_device_scalarIT4_EEPKT2_S4_PKS6_SA_S4_SC_S7_SA_S4_SC_SA_PS2_PS6_PS8_21rocsparse_index_base_SG_SG_SG_bbb
		.amdhsa_group_segment_fixed_size 16392
		.amdhsa_private_segment_fixed_size 0
		.amdhsa_kernarg_size 172
		.amdhsa_user_sgpr_count 6
		.amdhsa_user_sgpr_private_segment_buffer 1
		.amdhsa_user_sgpr_dispatch_ptr 0
		.amdhsa_user_sgpr_queue_ptr 0
		.amdhsa_user_sgpr_kernarg_segment_ptr 1
		.amdhsa_user_sgpr_dispatch_id 0
		.amdhsa_user_sgpr_flat_scratch_init 0
		.amdhsa_user_sgpr_kernarg_preload_length 0
		.amdhsa_user_sgpr_kernarg_preload_offset 0
		.amdhsa_user_sgpr_private_segment_size 0
		.amdhsa_uses_dynamic_stack 0
		.amdhsa_system_sgpr_private_segment_wavefront_offset 0
		.amdhsa_system_sgpr_workgroup_id_x 1
		.amdhsa_system_sgpr_workgroup_id_y 0
		.amdhsa_system_sgpr_workgroup_id_z 0
		.amdhsa_system_sgpr_workgroup_info 0
		.amdhsa_system_vgpr_workitem_id 0
		.amdhsa_next_free_vgpr 94
		.amdhsa_next_free_sgpr 89
		.amdhsa_accum_offset 96
		.amdhsa_reserve_vcc 1
		.amdhsa_reserve_flat_scratch 0
		.amdhsa_float_round_mode_32 0
		.amdhsa_float_round_mode_16_64 0
		.amdhsa_float_denorm_mode_32 3
		.amdhsa_float_denorm_mode_16_64 3
		.amdhsa_dx10_clamp 1
		.amdhsa_ieee_mode 1
		.amdhsa_fp16_overflow 0
		.amdhsa_tg_split 0
		.amdhsa_exception_fp_ieee_invalid_op 0
		.amdhsa_exception_fp_denorm_src 0
		.amdhsa_exception_fp_ieee_div_zero 0
		.amdhsa_exception_fp_ieee_overflow 0
		.amdhsa_exception_fp_ieee_underflow 0
		.amdhsa_exception_fp_ieee_inexact 0
		.amdhsa_exception_int_div_zero 0
	.end_amdhsa_kernel
	.section	.text._ZN9rocsparseL31bsrgemm_block_per_row_multipassILj256ELj2ELj32ElidEEv20rocsparse_direction_T3_S2_PKS2_S4_NS_24const_host_device_scalarIT4_EEPKT2_S4_PKS6_SA_S4_SC_S7_SA_S4_SC_SA_PS2_PS6_PS8_21rocsparse_index_base_SG_SG_SG_bbb,"axG",@progbits,_ZN9rocsparseL31bsrgemm_block_per_row_multipassILj256ELj2ELj32ElidEEv20rocsparse_direction_T3_S2_PKS2_S4_NS_24const_host_device_scalarIT4_EEPKT2_S4_PKS6_SA_S4_SC_S7_SA_S4_SC_SA_PS2_PS6_PS8_21rocsparse_index_base_SG_SG_SG_bbb,comdat
.Lfunc_end204:
	.size	_ZN9rocsparseL31bsrgemm_block_per_row_multipassILj256ELj2ELj32ElidEEv20rocsparse_direction_T3_S2_PKS2_S4_NS_24const_host_device_scalarIT4_EEPKT2_S4_PKS6_SA_S4_SC_S7_SA_S4_SC_SA_PS2_PS6_PS8_21rocsparse_index_base_SG_SG_SG_bbb, .Lfunc_end204-_ZN9rocsparseL31bsrgemm_block_per_row_multipassILj256ELj2ELj32ElidEEv20rocsparse_direction_T3_S2_PKS2_S4_NS_24const_host_device_scalarIT4_EEPKT2_S4_PKS6_SA_S4_SC_S7_SA_S4_SC_SA_PS2_PS6_PS8_21rocsparse_index_base_SG_SG_SG_bbb
                                        ; -- End function
	.section	.AMDGPU.csdata,"",@progbits
; Kernel info:
; codeLenInByte = 4676
; NumSgprs: 93
; NumVgprs: 94
; NumAgprs: 0
; TotalNumVgprs: 94
; ScratchSize: 0
; MemoryBound: 1
; FloatMode: 240
; IeeeMode: 1
; LDSByteSize: 16392 bytes/workgroup (compile time only)
; SGPRBlocks: 11
; VGPRBlocks: 11
; NumSGPRsForWavesPerEU: 93
; NumVGPRsForWavesPerEU: 94
; AccumOffset: 96
; Occupancy: 3
; WaveLimiterHint : 1
; COMPUTE_PGM_RSRC2:SCRATCH_EN: 0
; COMPUTE_PGM_RSRC2:USER_SGPR: 6
; COMPUTE_PGM_RSRC2:TRAP_HANDLER: 0
; COMPUTE_PGM_RSRC2:TGID_X_EN: 1
; COMPUTE_PGM_RSRC2:TGID_Y_EN: 0
; COMPUTE_PGM_RSRC2:TGID_Z_EN: 0
; COMPUTE_PGM_RSRC2:TIDIG_COMP_CNT: 0
; COMPUTE_PGM_RSRC3_GFX90A:ACCUM_OFFSET: 23
; COMPUTE_PGM_RSRC3_GFX90A:TG_SPLIT: 0
	.section	.text._ZN9rocsparseL26bsrgemm_group_reduce_part2ILj256ELj8ELj2E21rocsparse_complex_numIfEliEEvT4_PKT3_PS3_Pi,"axG",@progbits,_ZN9rocsparseL26bsrgemm_group_reduce_part2ILj256ELj8ELj2E21rocsparse_complex_numIfEliEEvT4_PKT3_PS3_Pi,comdat
	.globl	_ZN9rocsparseL26bsrgemm_group_reduce_part2ILj256ELj8ELj2E21rocsparse_complex_numIfEliEEvT4_PKT3_PS3_Pi ; -- Begin function _ZN9rocsparseL26bsrgemm_group_reduce_part2ILj256ELj8ELj2E21rocsparse_complex_numIfEliEEvT4_PKT3_PS3_Pi
	.p2align	8
	.type	_ZN9rocsparseL26bsrgemm_group_reduce_part2ILj256ELj8ELj2E21rocsparse_complex_numIfEliEEvT4_PKT3_PS3_Pi,@function
_ZN9rocsparseL26bsrgemm_group_reduce_part2ILj256ELj8ELj2E21rocsparse_complex_numIfEliEEvT4_PKT3_PS3_Pi: ; @_ZN9rocsparseL26bsrgemm_group_reduce_part2ILj256ELj8ELj2E21rocsparse_complex_numIfEliEEvT4_PKT3_PS3_Pi
; %bb.0:
	s_mov_b32 s8, 0
	s_load_dword s7, s[4:5], 0x0
	s_load_dwordx2 s[2:3], s[4:5], 0x10
	s_mov_b32 s9, s8
	s_mov_b32 s10, s8
	;; [unrolled: 1-line block ×3, first 2 shown]
	v_pk_mov_b32 v[2:3], s[8:9], s[8:9] op_sel:[0,1]
	v_lshlrev_b32_e32 v1, 5, v0
	v_pk_mov_b32 v[4:5], s[10:11], s[10:11] op_sel:[0,1]
	ds_write_b128 v1, v[2:5]
	ds_write_b128 v1, v[2:5] offset:16
	v_lshl_or_b32 v2, s6, 8, v0
	s_waitcnt lgkmcnt(0)
	v_cmp_gt_i32_e32 vcc, s7, v2
	s_and_saveexec_b64 s[8:9], vcc
	s_cbranch_execz .LBB205_31
; %bb.1:
	s_load_dword s0, s[4:5], 0x20
	s_load_dwordx2 s[10:11], s[4:5], 0x8
	s_load_dwordx2 s[12:13], s[4:5], 0x18
	s_mov_b64 s[4:5], 0
	s_mov_b64 s[14:15], 0x80
	s_waitcnt lgkmcnt(0)
	s_lshl_b32 s33, s0, 8
	v_mov_b32_e32 v6, s11
	s_mov_b64 s[16:17], 0x100
	s_mov_b64 s[18:19], 0x200
	v_mov_b32_e32 v7, 7
	v_mov_b32_e32 v8, 6
	;; [unrolled: 1-line block ×8, first 2 shown]
	s_branch .LBB205_3
.LBB205_2:                              ;   in Loop: Header=BB205_3 Depth=1
	s_or_b64 exec, exec, s[0:1]
	v_add_u32_e32 v2, s33, v2
	v_cmp_le_i32_e32 vcc, s7, v2
	s_or_b64 s[4:5], vcc, s[4:5]
	s_andn2_b64 exec, exec, s[4:5]
	s_cbranch_execz .LBB205_31
.LBB205_3:                              ; =>This Inner Loop Header: Depth=1
	v_ashrrev_i32_e32 v3, 31, v2
	v_lshlrev_b64 v[4:5], 3, v[2:3]
	v_add_co_u32_e32 v4, vcc, s10, v4
	v_addc_co_u32_e32 v5, vcc, v6, v5, vcc
	global_load_dwordx4 v[16:19], v[4:5], off
	s_waitcnt vmcnt(0)
	v_sub_co_u32_e32 v4, vcc, v18, v16
	v_subb_co_u32_e32 v5, vcc, v19, v17, vcc
	v_cmp_lt_i64_e32 vcc, 8, v[4:5]
	s_and_saveexec_b64 s[0:1], vcc
	s_xor_b64 s[20:21], exec, s[0:1]
	s_cbranch_execz .LBB205_29
; %bb.4:                                ;   in Loop: Header=BB205_3 Depth=1
	v_cmp_lt_u64_e32 vcc, 16, v[4:5]
	s_and_saveexec_b64 s[0:1], vcc
	s_xor_b64 s[22:23], exec, s[0:1]
	s_cbranch_execz .LBB205_26
; %bb.5:                                ;   in Loop: Header=BB205_3 Depth=1
	v_cmp_lt_u64_e32 vcc, 32, v[4:5]
	;; [unrolled: 5-line block ×6, first 2 shown]
	v_lshlrev_b64 v[4:5], 2, v[2:3]
	v_mov_b32_e32 v15, s13
	v_add_co_u32_e64 v4, s[0:1], s12, v4
	v_addc_co_u32_e64 v5, s[0:1], v15, v5, s[0:1]
	s_and_saveexec_b64 s[0:1], vcc
	s_xor_b64 s[0:1], exec, s[0:1]
	s_cbranch_execz .LBB205_11
; %bb.10:                               ;   in Loop: Header=BB205_3 Depth=1
	ds_read_b32 v15, v1 offset:28
	global_store_dword v[4:5], v7, off
                                        ; implicit-def: $vgpr4_vgpr5
	s_waitcnt lgkmcnt(0)
	v_add_u32_e32 v15, 1, v15
	ds_write_b32 v1, v15 offset:28
.LBB205_11:                             ;   in Loop: Header=BB205_3 Depth=1
	s_andn2_saveexec_b64 s[0:1], s[0:1]
	s_cbranch_execz .LBB205_13
; %bb.12:                               ;   in Loop: Header=BB205_3 Depth=1
	ds_read_b32 v15, v1 offset:24
	global_store_dword v[4:5], v8, off
	s_waitcnt lgkmcnt(0)
	v_add_u32_e32 v15, 1, v15
	ds_write_b32 v1, v15 offset:24
.LBB205_13:                             ;   in Loop: Header=BB205_3 Depth=1
	s_or_b64 exec, exec, s[0:1]
.LBB205_14:                             ;   in Loop: Header=BB205_3 Depth=1
	s_andn2_saveexec_b64 s[0:1], s[30:31]
	s_cbranch_execz .LBB205_16
; %bb.15:                               ;   in Loop: Header=BB205_3 Depth=1
	ds_read_b32 v15, v1 offset:20
	v_lshlrev_b64 v[4:5], 2, v[2:3]
	v_mov_b32_e32 v16, s13
	v_add_co_u32_e32 v4, vcc, s12, v4
	s_waitcnt lgkmcnt(0)
	v_add_u32_e32 v15, 1, v15
	v_addc_co_u32_e32 v5, vcc, v16, v5, vcc
	ds_write_b32 v1, v15 offset:20
	global_store_dword v[4:5], v9, off
.LBB205_16:                             ;   in Loop: Header=BB205_3 Depth=1
	s_or_b64 exec, exec, s[0:1]
.LBB205_17:                             ;   in Loop: Header=BB205_3 Depth=1
	s_andn2_saveexec_b64 s[0:1], s[28:29]
	s_cbranch_execz .LBB205_19
; %bb.18:                               ;   in Loop: Header=BB205_3 Depth=1
	ds_read_b32 v15, v1 offset:16
	v_lshlrev_b64 v[4:5], 2, v[2:3]
	v_mov_b32_e32 v16, s13
	v_add_co_u32_e32 v4, vcc, s12, v4
	s_waitcnt lgkmcnt(0)
	v_add_u32_e32 v15, 1, v15
	v_addc_co_u32_e32 v5, vcc, v16, v5, vcc
	ds_write_b32 v1, v15 offset:16
	global_store_dword v[4:5], v10, off
.LBB205_19:                             ;   in Loop: Header=BB205_3 Depth=1
	s_or_b64 exec, exec, s[0:1]
.LBB205_20:                             ;   in Loop: Header=BB205_3 Depth=1
	s_andn2_saveexec_b64 s[0:1], s[26:27]
	s_cbranch_execz .LBB205_22
; %bb.21:                               ;   in Loop: Header=BB205_3 Depth=1
	ds_read_b32 v15, v1 offset:12
	v_lshlrev_b64 v[4:5], 2, v[2:3]
	v_mov_b32_e32 v16, s13
	v_add_co_u32_e32 v4, vcc, s12, v4
	s_waitcnt lgkmcnt(0)
	v_add_u32_e32 v15, 1, v15
	v_addc_co_u32_e32 v5, vcc, v16, v5, vcc
	ds_write_b32 v1, v15 offset:12
	global_store_dword v[4:5], v11, off
.LBB205_22:                             ;   in Loop: Header=BB205_3 Depth=1
	s_or_b64 exec, exec, s[0:1]
.LBB205_23:                             ;   in Loop: Header=BB205_3 Depth=1
	s_andn2_saveexec_b64 s[0:1], s[24:25]
	s_cbranch_execz .LBB205_25
; %bb.24:                               ;   in Loop: Header=BB205_3 Depth=1
	ds_read_b32 v15, v1 offset:8
	v_lshlrev_b64 v[4:5], 2, v[2:3]
	v_mov_b32_e32 v16, s13
	v_add_co_u32_e32 v4, vcc, s12, v4
	s_waitcnt lgkmcnt(0)
	v_add_u32_e32 v15, 1, v15
	v_addc_co_u32_e32 v5, vcc, v16, v5, vcc
	ds_write_b32 v1, v15 offset:8
	global_store_dword v[4:5], v12, off
.LBB205_25:                             ;   in Loop: Header=BB205_3 Depth=1
	s_or_b64 exec, exec, s[0:1]
.LBB205_26:                             ;   in Loop: Header=BB205_3 Depth=1
	s_andn2_saveexec_b64 s[0:1], s[22:23]
	s_cbranch_execz .LBB205_28
; %bb.27:                               ;   in Loop: Header=BB205_3 Depth=1
	ds_read_b32 v15, v1 offset:4
	v_lshlrev_b64 v[4:5], 2, v[2:3]
	v_mov_b32_e32 v16, s13
	v_add_co_u32_e32 v4, vcc, s12, v4
	s_waitcnt lgkmcnt(0)
	v_add_u32_e32 v15, 1, v15
	v_addc_co_u32_e32 v5, vcc, v16, v5, vcc
	ds_write_b32 v1, v15 offset:4
	global_store_dword v[4:5], v13, off
.LBB205_28:                             ;   in Loop: Header=BB205_3 Depth=1
	s_or_b64 exec, exec, s[0:1]
.LBB205_29:                             ;   in Loop: Header=BB205_3 Depth=1
	s_andn2_saveexec_b64 s[0:1], s[20:21]
	s_cbranch_execz .LBB205_2
; %bb.30:                               ;   in Loop: Header=BB205_3 Depth=1
	ds_read_b32 v15, v1
	v_lshlrev_b64 v[4:5], 2, v[2:3]
	v_mov_b32_e32 v3, s13
	v_add_co_u32_e32 v4, vcc, s12, v4
	s_waitcnt lgkmcnt(0)
	v_add_u32_e32 v15, 1, v15
	v_addc_co_u32_e32 v5, vcc, v3, v5, vcc
	ds_write_b32 v1, v15
	global_store_dword v[4:5], v14, off
	s_branch .LBB205_2
.LBB205_31:
	s_or_b64 exec, exec, s[8:9]
	s_movk_i32 s0, 0x80
	v_cmp_gt_u32_e32 vcc, s0, v0
	s_waitcnt lgkmcnt(0)
	s_barrier
	s_barrier
	;; [unrolled: 1-line block ×3, first 2 shown]
	s_and_saveexec_b64 s[0:1], vcc
	s_cbranch_execz .LBB205_33
; %bb.32:
	ds_read_b128 v[2:5], v1 offset:4096
	ds_read_b128 v[6:9], v1
	ds_read_b128 v[10:13], v1 offset:16
	ds_read_b128 v[14:17], v1 offset:4112
	s_waitcnt lgkmcnt(2)
	v_add_u32_e32 v3, v7, v3
	v_add_u32_e32 v2, v6, v2
	v_add_u32_e32 v5, v9, v5
	v_add_u32_e32 v4, v8, v4
	ds_write_b128 v1, v[2:5]
	s_waitcnt lgkmcnt(1)
	v_add_u32_e32 v3, v11, v15
	v_add_u32_e32 v2, v10, v14
	v_add_u32_e32 v5, v13, v17
	v_add_u32_e32 v4, v12, v16
	ds_write_b128 v1, v[2:5] offset:16
.LBB205_33:
	s_or_b64 exec, exec, s[0:1]
	v_cmp_gt_u32_e32 vcc, 64, v0
	s_waitcnt lgkmcnt(0)
	s_barrier
	s_and_saveexec_b64 s[0:1], vcc
	s_cbranch_execz .LBB205_35
; %bb.34:
	ds_read_b128 v[2:5], v1 offset:2048
	ds_read_b128 v[6:9], v1
	ds_read_b128 v[10:13], v1 offset:16
	ds_read_b128 v[14:17], v1 offset:2064
	s_waitcnt lgkmcnt(2)
	v_add_u32_e32 v3, v7, v3
	v_add_u32_e32 v2, v6, v2
	v_add_u32_e32 v5, v9, v5
	v_add_u32_e32 v4, v8, v4
	ds_write_b128 v1, v[2:5]
	s_waitcnt lgkmcnt(1)
	v_add_u32_e32 v3, v11, v15
	v_add_u32_e32 v2, v10, v14
	v_add_u32_e32 v5, v13, v17
	v_add_u32_e32 v4, v12, v16
	ds_write_b128 v1, v[2:5] offset:16
.LBB205_35:
	s_or_b64 exec, exec, s[0:1]
	v_cmp_gt_u32_e32 vcc, 32, v0
	s_waitcnt lgkmcnt(0)
	s_barrier
	;; [unrolled: 24-line block ×4, first 2 shown]
	s_and_saveexec_b64 s[0:1], vcc
	s_cbranch_execz .LBB205_41
; %bb.40:
	ds_read_b128 v[2:5], v1 offset:256
	ds_read_b128 v[6:9], v1
	ds_read_b128 v[10:13], v1 offset:16
	ds_read_b128 v[14:17], v1 offset:272
	s_waitcnt lgkmcnt(2)
	v_add_u32_e32 v3, v7, v3
	v_add_u32_e32 v2, v6, v2
	;; [unrolled: 1-line block ×4, first 2 shown]
	ds_write_b128 v1, v[2:5]
	s_waitcnt lgkmcnt(1)
	v_add_u32_e32 v3, v11, v15
	v_add_u32_e32 v2, v10, v14
	;; [unrolled: 1-line block ×4, first 2 shown]
	ds_write_b128 v1, v[2:5] offset:16
.LBB205_41:
	s_or_b64 exec, exec, s[0:1]
	v_cmp_gt_u32_e64 s[0:1], 4, v0
	s_waitcnt lgkmcnt(0)
	s_barrier
	s_and_saveexec_b64 s[4:5], s[0:1]
	s_cbranch_execz .LBB205_43
; %bb.42:
	ds_read_b128 v[2:5], v1 offset:128
	ds_read_b128 v[6:9], v1
	ds_read_b128 v[10:13], v1 offset:16
	ds_read_b128 v[14:17], v1 offset:144
	s_waitcnt lgkmcnt(2)
	v_add_u32_e32 v3, v7, v3
	v_add_u32_e32 v2, v6, v2
	;; [unrolled: 1-line block ×4, first 2 shown]
	ds_write_b128 v1, v[2:5]
	s_waitcnt lgkmcnt(1)
	v_add_u32_e32 v3, v11, v15
	v_add_u32_e32 v2, v10, v14
	;; [unrolled: 1-line block ×4, first 2 shown]
	ds_write_b128 v1, v[2:5] offset:16
.LBB205_43:
	s_or_b64 exec, exec, s[4:5]
	v_cmp_gt_u32_e64 s[0:1], 2, v0
	s_waitcnt lgkmcnt(0)
	s_barrier
	s_and_saveexec_b64 s[4:5], s[0:1]
	s_cbranch_execz .LBB205_45
; %bb.44:
	ds_read_b128 v[2:5], v1 offset:64
	ds_read_b128 v[6:9], v1
	ds_read_b128 v[10:13], v1 offset:16
	ds_read_b128 v[14:17], v1 offset:80
	s_waitcnt lgkmcnt(2)
	v_add_u32_e32 v3, v7, v3
	v_add_u32_e32 v2, v6, v2
	;; [unrolled: 1-line block ×4, first 2 shown]
	ds_write_b128 v1, v[2:5]
	s_waitcnt lgkmcnt(1)
	v_add_u32_e32 v3, v11, v15
	v_add_u32_e32 v2, v10, v14
	;; [unrolled: 1-line block ×4, first 2 shown]
	ds_write_b128 v1, v[2:5] offset:16
.LBB205_45:
	s_or_b64 exec, exec, s[4:5]
	v_cmp_eq_u32_e64 s[0:1], 0, v0
	s_waitcnt lgkmcnt(0)
	s_barrier
	s_and_saveexec_b64 s[4:5], s[0:1]
	s_cbranch_execz .LBB205_47
; %bb.46:
	v_mov_b32_e32 v1, 0
	ds_read_b128 v[2:5], v1 offset:32
	ds_read_b128 v[6:9], v1
	ds_read_b128 v[10:13], v1 offset:16
	ds_read_b128 v[14:17], v1 offset:48
	s_waitcnt lgkmcnt(2)
	v_add_u32_e32 v3, v7, v3
	v_add_u32_e32 v2, v6, v2
	;; [unrolled: 1-line block ×4, first 2 shown]
	ds_write_b128 v1, v[2:5]
	s_waitcnt lgkmcnt(1)
	v_add_u32_e32 v3, v11, v15
	v_add_u32_e32 v2, v10, v14
	;; [unrolled: 1-line block ×4, first 2 shown]
	ds_write_b128 v1, v[2:5] offset:16
.LBB205_47:
	s_or_b64 exec, exec, s[4:5]
	s_waitcnt lgkmcnt(0)
	s_barrier
	s_and_saveexec_b64 s[0:1], vcc
	s_cbranch_execz .LBB205_49
; %bb.48:
	v_lshl_or_b32 v2, s6, 3, v0
	v_lshlrev_b32_e32 v0, 2, v0
	ds_read_b32 v4, v0
	v_mov_b32_e32 v3, 0
	v_lshlrev_b64 v[2:3], 2, v[2:3]
	v_mov_b32_e32 v1, s3
	v_add_co_u32_e32 v0, vcc, s2, v2
	v_addc_co_u32_e32 v1, vcc, v1, v3, vcc
	s_waitcnt lgkmcnt(0)
	global_store_dword v[0:1], v4, off
.LBB205_49:
	s_endpgm
	.section	.rodata,"a",@progbits
	.p2align	6, 0x0
	.amdhsa_kernel _ZN9rocsparseL26bsrgemm_group_reduce_part2ILj256ELj8ELj2E21rocsparse_complex_numIfEliEEvT4_PKT3_PS3_Pi
		.amdhsa_group_segment_fixed_size 8192
		.amdhsa_private_segment_fixed_size 0
		.amdhsa_kernarg_size 288
		.amdhsa_user_sgpr_count 6
		.amdhsa_user_sgpr_private_segment_buffer 1
		.amdhsa_user_sgpr_dispatch_ptr 0
		.amdhsa_user_sgpr_queue_ptr 0
		.amdhsa_user_sgpr_kernarg_segment_ptr 1
		.amdhsa_user_sgpr_dispatch_id 0
		.amdhsa_user_sgpr_flat_scratch_init 0
		.amdhsa_user_sgpr_kernarg_preload_length 0
		.amdhsa_user_sgpr_kernarg_preload_offset 0
		.amdhsa_user_sgpr_private_segment_size 0
		.amdhsa_uses_dynamic_stack 0
		.amdhsa_system_sgpr_private_segment_wavefront_offset 0
		.amdhsa_system_sgpr_workgroup_id_x 1
		.amdhsa_system_sgpr_workgroup_id_y 0
		.amdhsa_system_sgpr_workgroup_id_z 0
		.amdhsa_system_sgpr_workgroup_info 0
		.amdhsa_system_vgpr_workitem_id 0
		.amdhsa_next_free_vgpr 20
		.amdhsa_next_free_sgpr 34
		.amdhsa_accum_offset 20
		.amdhsa_reserve_vcc 1
		.amdhsa_reserve_flat_scratch 0
		.amdhsa_float_round_mode_32 0
		.amdhsa_float_round_mode_16_64 0
		.amdhsa_float_denorm_mode_32 3
		.amdhsa_float_denorm_mode_16_64 3
		.amdhsa_dx10_clamp 1
		.amdhsa_ieee_mode 1
		.amdhsa_fp16_overflow 0
		.amdhsa_tg_split 0
		.amdhsa_exception_fp_ieee_invalid_op 0
		.amdhsa_exception_fp_denorm_src 0
		.amdhsa_exception_fp_ieee_div_zero 0
		.amdhsa_exception_fp_ieee_overflow 0
		.amdhsa_exception_fp_ieee_underflow 0
		.amdhsa_exception_fp_ieee_inexact 0
		.amdhsa_exception_int_div_zero 0
	.end_amdhsa_kernel
	.section	.text._ZN9rocsparseL26bsrgemm_group_reduce_part2ILj256ELj8ELj2E21rocsparse_complex_numIfEliEEvT4_PKT3_PS3_Pi,"axG",@progbits,_ZN9rocsparseL26bsrgemm_group_reduce_part2ILj256ELj8ELj2E21rocsparse_complex_numIfEliEEvT4_PKT3_PS3_Pi,comdat
.Lfunc_end205:
	.size	_ZN9rocsparseL26bsrgemm_group_reduce_part2ILj256ELj8ELj2E21rocsparse_complex_numIfEliEEvT4_PKT3_PS3_Pi, .Lfunc_end205-_ZN9rocsparseL26bsrgemm_group_reduce_part2ILj256ELj8ELj2E21rocsparse_complex_numIfEliEEvT4_PKT3_PS3_Pi
                                        ; -- End function
	.section	.AMDGPU.csdata,"",@progbits
; Kernel info:
; codeLenInByte = 1860
; NumSgprs: 38
; NumVgprs: 20
; NumAgprs: 0
; TotalNumVgprs: 20
; ScratchSize: 0
; MemoryBound: 0
; FloatMode: 240
; IeeeMode: 1
; LDSByteSize: 8192 bytes/workgroup (compile time only)
; SGPRBlocks: 4
; VGPRBlocks: 2
; NumSGPRsForWavesPerEU: 38
; NumVGPRsForWavesPerEU: 20
; AccumOffset: 20
; Occupancy: 8
; WaveLimiterHint : 0
; COMPUTE_PGM_RSRC2:SCRATCH_EN: 0
; COMPUTE_PGM_RSRC2:USER_SGPR: 6
; COMPUTE_PGM_RSRC2:TRAP_HANDLER: 0
; COMPUTE_PGM_RSRC2:TGID_X_EN: 1
; COMPUTE_PGM_RSRC2:TGID_Y_EN: 0
; COMPUTE_PGM_RSRC2:TGID_Z_EN: 0
; COMPUTE_PGM_RSRC2:TIDIG_COMP_CNT: 0
; COMPUTE_PGM_RSRC3_GFX90A:ACCUM_OFFSET: 4
; COMPUTE_PGM_RSRC3_GFX90A:TG_SPLIT: 0
	.section	.text._ZN9rocsparseL26bsrgemm_group_reduce_part2ILj256ELj8ELj8E21rocsparse_complex_numIfEliEEvT4_PKT3_PS3_Pi,"axG",@progbits,_ZN9rocsparseL26bsrgemm_group_reduce_part2ILj256ELj8ELj8E21rocsparse_complex_numIfEliEEvT4_PKT3_PS3_Pi,comdat
	.globl	_ZN9rocsparseL26bsrgemm_group_reduce_part2ILj256ELj8ELj8E21rocsparse_complex_numIfEliEEvT4_PKT3_PS3_Pi ; -- Begin function _ZN9rocsparseL26bsrgemm_group_reduce_part2ILj256ELj8ELj8E21rocsparse_complex_numIfEliEEvT4_PKT3_PS3_Pi
	.p2align	8
	.type	_ZN9rocsparseL26bsrgemm_group_reduce_part2ILj256ELj8ELj8E21rocsparse_complex_numIfEliEEvT4_PKT3_PS3_Pi,@function
_ZN9rocsparseL26bsrgemm_group_reduce_part2ILj256ELj8ELj8E21rocsparse_complex_numIfEliEEvT4_PKT3_PS3_Pi: ; @_ZN9rocsparseL26bsrgemm_group_reduce_part2ILj256ELj8ELj8E21rocsparse_complex_numIfEliEEvT4_PKT3_PS3_Pi
; %bb.0:
	s_mov_b32 s8, 0
	s_load_dword s7, s[4:5], 0x0
	s_load_dwordx2 s[2:3], s[4:5], 0x10
	s_mov_b32 s9, s8
	s_mov_b32 s10, s8
	;; [unrolled: 1-line block ×3, first 2 shown]
	v_pk_mov_b32 v[2:3], s[8:9], s[8:9] op_sel:[0,1]
	v_lshlrev_b32_e32 v1, 5, v0
	v_pk_mov_b32 v[4:5], s[10:11], s[10:11] op_sel:[0,1]
	ds_write_b128 v1, v[2:5]
	ds_write_b128 v1, v[2:5] offset:16
	v_lshl_or_b32 v2, s6, 8, v0
	s_waitcnt lgkmcnt(0)
	v_cmp_gt_i32_e32 vcc, s7, v2
	s_and_saveexec_b64 s[8:9], vcc
	s_cbranch_execz .LBB206_31
; %bb.1:
	s_load_dword s0, s[4:5], 0x20
	s_load_dwordx2 s[10:11], s[4:5], 0x8
	s_load_dwordx2 s[12:13], s[4:5], 0x18
	s_mov_b64 s[4:5], 0
	s_mov_b64 s[14:15], 0x80
	s_waitcnt lgkmcnt(0)
	s_lshl_b32 s33, s0, 8
	v_mov_b32_e32 v6, s11
	s_mov_b64 s[16:17], 0x100
	s_mov_b64 s[18:19], 0x200
	v_mov_b32_e32 v7, 7
	v_mov_b32_e32 v8, 6
	;; [unrolled: 1-line block ×8, first 2 shown]
	s_branch .LBB206_3
.LBB206_2:                              ;   in Loop: Header=BB206_3 Depth=1
	s_or_b64 exec, exec, s[0:1]
	v_add_u32_e32 v2, s33, v2
	v_cmp_le_i32_e32 vcc, s7, v2
	s_or_b64 s[4:5], vcc, s[4:5]
	s_andn2_b64 exec, exec, s[4:5]
	s_cbranch_execz .LBB206_31
.LBB206_3:                              ; =>This Inner Loop Header: Depth=1
	v_ashrrev_i32_e32 v3, 31, v2
	v_lshlrev_b64 v[4:5], 3, v[2:3]
	v_add_co_u32_e32 v4, vcc, s10, v4
	v_addc_co_u32_e32 v5, vcc, v6, v5, vcc
	global_load_dwordx4 v[16:19], v[4:5], off
	s_waitcnt vmcnt(0)
	v_sub_co_u32_e32 v4, vcc, v18, v16
	v_subb_co_u32_e32 v5, vcc, v19, v17, vcc
	v_cmp_lt_i64_e32 vcc, 8, v[4:5]
	s_and_saveexec_b64 s[0:1], vcc
	s_xor_b64 s[20:21], exec, s[0:1]
	s_cbranch_execz .LBB206_29
; %bb.4:                                ;   in Loop: Header=BB206_3 Depth=1
	v_cmp_lt_u64_e32 vcc, 16, v[4:5]
	s_and_saveexec_b64 s[0:1], vcc
	s_xor_b64 s[22:23], exec, s[0:1]
	s_cbranch_execz .LBB206_26
; %bb.5:                                ;   in Loop: Header=BB206_3 Depth=1
	v_cmp_lt_u64_e32 vcc, 32, v[4:5]
	;; [unrolled: 5-line block ×6, first 2 shown]
	v_lshlrev_b64 v[4:5], 2, v[2:3]
	v_mov_b32_e32 v15, s13
	v_add_co_u32_e64 v4, s[0:1], s12, v4
	v_addc_co_u32_e64 v5, s[0:1], v15, v5, s[0:1]
	s_and_saveexec_b64 s[0:1], vcc
	s_xor_b64 s[0:1], exec, s[0:1]
	s_cbranch_execz .LBB206_11
; %bb.10:                               ;   in Loop: Header=BB206_3 Depth=1
	ds_read_b32 v15, v1 offset:28
	global_store_dword v[4:5], v7, off
                                        ; implicit-def: $vgpr4_vgpr5
	s_waitcnt lgkmcnt(0)
	v_add_u32_e32 v15, 1, v15
	ds_write_b32 v1, v15 offset:28
.LBB206_11:                             ;   in Loop: Header=BB206_3 Depth=1
	s_andn2_saveexec_b64 s[0:1], s[0:1]
	s_cbranch_execz .LBB206_13
; %bb.12:                               ;   in Loop: Header=BB206_3 Depth=1
	ds_read_b32 v15, v1 offset:24
	global_store_dword v[4:5], v8, off
	s_waitcnt lgkmcnt(0)
	v_add_u32_e32 v15, 1, v15
	ds_write_b32 v1, v15 offset:24
.LBB206_13:                             ;   in Loop: Header=BB206_3 Depth=1
	s_or_b64 exec, exec, s[0:1]
.LBB206_14:                             ;   in Loop: Header=BB206_3 Depth=1
	s_andn2_saveexec_b64 s[0:1], s[30:31]
	s_cbranch_execz .LBB206_16
; %bb.15:                               ;   in Loop: Header=BB206_3 Depth=1
	ds_read_b32 v15, v1 offset:20
	v_lshlrev_b64 v[4:5], 2, v[2:3]
	v_mov_b32_e32 v16, s13
	v_add_co_u32_e32 v4, vcc, s12, v4
	s_waitcnt lgkmcnt(0)
	v_add_u32_e32 v15, 1, v15
	v_addc_co_u32_e32 v5, vcc, v16, v5, vcc
	ds_write_b32 v1, v15 offset:20
	global_store_dword v[4:5], v9, off
.LBB206_16:                             ;   in Loop: Header=BB206_3 Depth=1
	s_or_b64 exec, exec, s[0:1]
.LBB206_17:                             ;   in Loop: Header=BB206_3 Depth=1
	s_andn2_saveexec_b64 s[0:1], s[28:29]
	s_cbranch_execz .LBB206_19
; %bb.18:                               ;   in Loop: Header=BB206_3 Depth=1
	ds_read_b32 v15, v1 offset:16
	v_lshlrev_b64 v[4:5], 2, v[2:3]
	v_mov_b32_e32 v16, s13
	v_add_co_u32_e32 v4, vcc, s12, v4
	s_waitcnt lgkmcnt(0)
	v_add_u32_e32 v15, 1, v15
	v_addc_co_u32_e32 v5, vcc, v16, v5, vcc
	ds_write_b32 v1, v15 offset:16
	global_store_dword v[4:5], v10, off
.LBB206_19:                             ;   in Loop: Header=BB206_3 Depth=1
	s_or_b64 exec, exec, s[0:1]
.LBB206_20:                             ;   in Loop: Header=BB206_3 Depth=1
	s_andn2_saveexec_b64 s[0:1], s[26:27]
	s_cbranch_execz .LBB206_22
; %bb.21:                               ;   in Loop: Header=BB206_3 Depth=1
	ds_read_b32 v15, v1 offset:12
	v_lshlrev_b64 v[4:5], 2, v[2:3]
	v_mov_b32_e32 v16, s13
	v_add_co_u32_e32 v4, vcc, s12, v4
	s_waitcnt lgkmcnt(0)
	v_add_u32_e32 v15, 1, v15
	v_addc_co_u32_e32 v5, vcc, v16, v5, vcc
	ds_write_b32 v1, v15 offset:12
	global_store_dword v[4:5], v11, off
.LBB206_22:                             ;   in Loop: Header=BB206_3 Depth=1
	s_or_b64 exec, exec, s[0:1]
.LBB206_23:                             ;   in Loop: Header=BB206_3 Depth=1
	s_andn2_saveexec_b64 s[0:1], s[24:25]
	s_cbranch_execz .LBB206_25
; %bb.24:                               ;   in Loop: Header=BB206_3 Depth=1
	ds_read_b32 v15, v1 offset:8
	v_lshlrev_b64 v[4:5], 2, v[2:3]
	v_mov_b32_e32 v16, s13
	v_add_co_u32_e32 v4, vcc, s12, v4
	s_waitcnt lgkmcnt(0)
	v_add_u32_e32 v15, 1, v15
	v_addc_co_u32_e32 v5, vcc, v16, v5, vcc
	ds_write_b32 v1, v15 offset:8
	global_store_dword v[4:5], v12, off
.LBB206_25:                             ;   in Loop: Header=BB206_3 Depth=1
	s_or_b64 exec, exec, s[0:1]
.LBB206_26:                             ;   in Loop: Header=BB206_3 Depth=1
	s_andn2_saveexec_b64 s[0:1], s[22:23]
	s_cbranch_execz .LBB206_28
; %bb.27:                               ;   in Loop: Header=BB206_3 Depth=1
	ds_read_b32 v15, v1 offset:4
	v_lshlrev_b64 v[4:5], 2, v[2:3]
	v_mov_b32_e32 v16, s13
	v_add_co_u32_e32 v4, vcc, s12, v4
	s_waitcnt lgkmcnt(0)
	v_add_u32_e32 v15, 1, v15
	v_addc_co_u32_e32 v5, vcc, v16, v5, vcc
	ds_write_b32 v1, v15 offset:4
	global_store_dword v[4:5], v13, off
.LBB206_28:                             ;   in Loop: Header=BB206_3 Depth=1
	s_or_b64 exec, exec, s[0:1]
.LBB206_29:                             ;   in Loop: Header=BB206_3 Depth=1
	s_andn2_saveexec_b64 s[0:1], s[20:21]
	s_cbranch_execz .LBB206_2
; %bb.30:                               ;   in Loop: Header=BB206_3 Depth=1
	ds_read_b32 v15, v1
	v_lshlrev_b64 v[4:5], 2, v[2:3]
	v_mov_b32_e32 v3, s13
	v_add_co_u32_e32 v4, vcc, s12, v4
	s_waitcnt lgkmcnt(0)
	v_add_u32_e32 v15, 1, v15
	v_addc_co_u32_e32 v5, vcc, v3, v5, vcc
	ds_write_b32 v1, v15
	global_store_dword v[4:5], v14, off
	s_branch .LBB206_2
.LBB206_31:
	s_or_b64 exec, exec, s[8:9]
	s_movk_i32 s0, 0x80
	v_cmp_gt_u32_e32 vcc, s0, v0
	s_waitcnt lgkmcnt(0)
	s_barrier
	s_barrier
	;; [unrolled: 1-line block ×3, first 2 shown]
	s_and_saveexec_b64 s[0:1], vcc
	s_cbranch_execz .LBB206_33
; %bb.32:
	ds_read_b128 v[2:5], v1 offset:4096
	ds_read_b128 v[6:9], v1
	ds_read_b128 v[10:13], v1 offset:16
	ds_read_b128 v[14:17], v1 offset:4112
	s_waitcnt lgkmcnt(2)
	v_add_u32_e32 v3, v7, v3
	v_add_u32_e32 v2, v6, v2
	v_add_u32_e32 v5, v9, v5
	v_add_u32_e32 v4, v8, v4
	ds_write_b128 v1, v[2:5]
	s_waitcnt lgkmcnt(1)
	v_add_u32_e32 v3, v11, v15
	v_add_u32_e32 v2, v10, v14
	v_add_u32_e32 v5, v13, v17
	v_add_u32_e32 v4, v12, v16
	ds_write_b128 v1, v[2:5] offset:16
.LBB206_33:
	s_or_b64 exec, exec, s[0:1]
	v_cmp_gt_u32_e32 vcc, 64, v0
	s_waitcnt lgkmcnt(0)
	s_barrier
	s_and_saveexec_b64 s[0:1], vcc
	s_cbranch_execz .LBB206_35
; %bb.34:
	ds_read_b128 v[2:5], v1 offset:2048
	ds_read_b128 v[6:9], v1
	ds_read_b128 v[10:13], v1 offset:16
	ds_read_b128 v[14:17], v1 offset:2064
	s_waitcnt lgkmcnt(2)
	v_add_u32_e32 v3, v7, v3
	v_add_u32_e32 v2, v6, v2
	v_add_u32_e32 v5, v9, v5
	v_add_u32_e32 v4, v8, v4
	ds_write_b128 v1, v[2:5]
	s_waitcnt lgkmcnt(1)
	v_add_u32_e32 v3, v11, v15
	v_add_u32_e32 v2, v10, v14
	v_add_u32_e32 v5, v13, v17
	v_add_u32_e32 v4, v12, v16
	ds_write_b128 v1, v[2:5] offset:16
.LBB206_35:
	s_or_b64 exec, exec, s[0:1]
	v_cmp_gt_u32_e32 vcc, 32, v0
	s_waitcnt lgkmcnt(0)
	s_barrier
	;; [unrolled: 24-line block ×4, first 2 shown]
	s_and_saveexec_b64 s[0:1], vcc
	s_cbranch_execz .LBB206_41
; %bb.40:
	ds_read_b128 v[2:5], v1 offset:256
	ds_read_b128 v[6:9], v1
	ds_read_b128 v[10:13], v1 offset:16
	ds_read_b128 v[14:17], v1 offset:272
	s_waitcnt lgkmcnt(2)
	v_add_u32_e32 v3, v7, v3
	v_add_u32_e32 v2, v6, v2
	;; [unrolled: 1-line block ×4, first 2 shown]
	ds_write_b128 v1, v[2:5]
	s_waitcnt lgkmcnt(1)
	v_add_u32_e32 v3, v11, v15
	v_add_u32_e32 v2, v10, v14
	;; [unrolled: 1-line block ×4, first 2 shown]
	ds_write_b128 v1, v[2:5] offset:16
.LBB206_41:
	s_or_b64 exec, exec, s[0:1]
	v_cmp_gt_u32_e64 s[0:1], 4, v0
	s_waitcnt lgkmcnt(0)
	s_barrier
	s_and_saveexec_b64 s[4:5], s[0:1]
	s_cbranch_execz .LBB206_43
; %bb.42:
	ds_read_b128 v[2:5], v1 offset:128
	ds_read_b128 v[6:9], v1
	ds_read_b128 v[10:13], v1 offset:16
	ds_read_b128 v[14:17], v1 offset:144
	s_waitcnt lgkmcnt(2)
	v_add_u32_e32 v3, v7, v3
	v_add_u32_e32 v2, v6, v2
	;; [unrolled: 1-line block ×4, first 2 shown]
	ds_write_b128 v1, v[2:5]
	s_waitcnt lgkmcnt(1)
	v_add_u32_e32 v3, v11, v15
	v_add_u32_e32 v2, v10, v14
	;; [unrolled: 1-line block ×4, first 2 shown]
	ds_write_b128 v1, v[2:5] offset:16
.LBB206_43:
	s_or_b64 exec, exec, s[4:5]
	v_cmp_gt_u32_e64 s[0:1], 2, v0
	s_waitcnt lgkmcnt(0)
	s_barrier
	s_and_saveexec_b64 s[4:5], s[0:1]
	s_cbranch_execz .LBB206_45
; %bb.44:
	ds_read_b128 v[2:5], v1 offset:64
	ds_read_b128 v[6:9], v1
	ds_read_b128 v[10:13], v1 offset:16
	ds_read_b128 v[14:17], v1 offset:80
	s_waitcnt lgkmcnt(2)
	v_add_u32_e32 v3, v7, v3
	v_add_u32_e32 v2, v6, v2
	;; [unrolled: 1-line block ×4, first 2 shown]
	ds_write_b128 v1, v[2:5]
	s_waitcnt lgkmcnt(1)
	v_add_u32_e32 v3, v11, v15
	v_add_u32_e32 v2, v10, v14
	;; [unrolled: 1-line block ×4, first 2 shown]
	ds_write_b128 v1, v[2:5] offset:16
.LBB206_45:
	s_or_b64 exec, exec, s[4:5]
	v_cmp_eq_u32_e64 s[0:1], 0, v0
	s_waitcnt lgkmcnt(0)
	s_barrier
	s_and_saveexec_b64 s[4:5], s[0:1]
	s_cbranch_execz .LBB206_47
; %bb.46:
	v_mov_b32_e32 v1, 0
	ds_read_b128 v[2:5], v1 offset:32
	ds_read_b128 v[6:9], v1
	ds_read_b128 v[10:13], v1 offset:16
	ds_read_b128 v[14:17], v1 offset:48
	s_waitcnt lgkmcnt(2)
	v_add_u32_e32 v3, v7, v3
	v_add_u32_e32 v2, v6, v2
	;; [unrolled: 1-line block ×4, first 2 shown]
	ds_write_b128 v1, v[2:5]
	s_waitcnt lgkmcnt(1)
	v_add_u32_e32 v3, v11, v15
	v_add_u32_e32 v2, v10, v14
	v_add_u32_e32 v5, v13, v17
	v_add_u32_e32 v4, v12, v16
	ds_write_b128 v1, v[2:5] offset:16
.LBB206_47:
	s_or_b64 exec, exec, s[4:5]
	s_waitcnt lgkmcnt(0)
	s_barrier
	s_and_saveexec_b64 s[0:1], vcc
	s_cbranch_execz .LBB206_49
; %bb.48:
	v_lshl_or_b32 v2, s6, 3, v0
	v_lshlrev_b32_e32 v0, 2, v0
	ds_read_b32 v4, v0
	v_mov_b32_e32 v3, 0
	v_lshlrev_b64 v[2:3], 2, v[2:3]
	v_mov_b32_e32 v1, s3
	v_add_co_u32_e32 v0, vcc, s2, v2
	v_addc_co_u32_e32 v1, vcc, v1, v3, vcc
	s_waitcnt lgkmcnt(0)
	global_store_dword v[0:1], v4, off
.LBB206_49:
	s_endpgm
	.section	.rodata,"a",@progbits
	.p2align	6, 0x0
	.amdhsa_kernel _ZN9rocsparseL26bsrgemm_group_reduce_part2ILj256ELj8ELj8E21rocsparse_complex_numIfEliEEvT4_PKT3_PS3_Pi
		.amdhsa_group_segment_fixed_size 8192
		.amdhsa_private_segment_fixed_size 0
		.amdhsa_kernarg_size 288
		.amdhsa_user_sgpr_count 6
		.amdhsa_user_sgpr_private_segment_buffer 1
		.amdhsa_user_sgpr_dispatch_ptr 0
		.amdhsa_user_sgpr_queue_ptr 0
		.amdhsa_user_sgpr_kernarg_segment_ptr 1
		.amdhsa_user_sgpr_dispatch_id 0
		.amdhsa_user_sgpr_flat_scratch_init 0
		.amdhsa_user_sgpr_kernarg_preload_length 0
		.amdhsa_user_sgpr_kernarg_preload_offset 0
		.amdhsa_user_sgpr_private_segment_size 0
		.amdhsa_uses_dynamic_stack 0
		.amdhsa_system_sgpr_private_segment_wavefront_offset 0
		.amdhsa_system_sgpr_workgroup_id_x 1
		.amdhsa_system_sgpr_workgroup_id_y 0
		.amdhsa_system_sgpr_workgroup_id_z 0
		.amdhsa_system_sgpr_workgroup_info 0
		.amdhsa_system_vgpr_workitem_id 0
		.amdhsa_next_free_vgpr 20
		.amdhsa_next_free_sgpr 34
		.amdhsa_accum_offset 20
		.amdhsa_reserve_vcc 1
		.amdhsa_reserve_flat_scratch 0
		.amdhsa_float_round_mode_32 0
		.amdhsa_float_round_mode_16_64 0
		.amdhsa_float_denorm_mode_32 3
		.amdhsa_float_denorm_mode_16_64 3
		.amdhsa_dx10_clamp 1
		.amdhsa_ieee_mode 1
		.amdhsa_fp16_overflow 0
		.amdhsa_tg_split 0
		.amdhsa_exception_fp_ieee_invalid_op 0
		.amdhsa_exception_fp_denorm_src 0
		.amdhsa_exception_fp_ieee_div_zero 0
		.amdhsa_exception_fp_ieee_overflow 0
		.amdhsa_exception_fp_ieee_underflow 0
		.amdhsa_exception_fp_ieee_inexact 0
		.amdhsa_exception_int_div_zero 0
	.end_amdhsa_kernel
	.section	.text._ZN9rocsparseL26bsrgemm_group_reduce_part2ILj256ELj8ELj8E21rocsparse_complex_numIfEliEEvT4_PKT3_PS3_Pi,"axG",@progbits,_ZN9rocsparseL26bsrgemm_group_reduce_part2ILj256ELj8ELj8E21rocsparse_complex_numIfEliEEvT4_PKT3_PS3_Pi,comdat
.Lfunc_end206:
	.size	_ZN9rocsparseL26bsrgemm_group_reduce_part2ILj256ELj8ELj8E21rocsparse_complex_numIfEliEEvT4_PKT3_PS3_Pi, .Lfunc_end206-_ZN9rocsparseL26bsrgemm_group_reduce_part2ILj256ELj8ELj8E21rocsparse_complex_numIfEliEEvT4_PKT3_PS3_Pi
                                        ; -- End function
	.section	.AMDGPU.csdata,"",@progbits
; Kernel info:
; codeLenInByte = 1860
; NumSgprs: 38
; NumVgprs: 20
; NumAgprs: 0
; TotalNumVgprs: 20
; ScratchSize: 0
; MemoryBound: 0
; FloatMode: 240
; IeeeMode: 1
; LDSByteSize: 8192 bytes/workgroup (compile time only)
; SGPRBlocks: 4
; VGPRBlocks: 2
; NumSGPRsForWavesPerEU: 38
; NumVGPRsForWavesPerEU: 20
; AccumOffset: 20
; Occupancy: 8
; WaveLimiterHint : 0
; COMPUTE_PGM_RSRC2:SCRATCH_EN: 0
; COMPUTE_PGM_RSRC2:USER_SGPR: 6
; COMPUTE_PGM_RSRC2:TRAP_HANDLER: 0
; COMPUTE_PGM_RSRC2:TGID_X_EN: 1
; COMPUTE_PGM_RSRC2:TGID_Y_EN: 0
; COMPUTE_PGM_RSRC2:TGID_Z_EN: 0
; COMPUTE_PGM_RSRC2:TIDIG_COMP_CNT: 0
; COMPUTE_PGM_RSRC3_GFX90A:ACCUM_OFFSET: 4
; COMPUTE_PGM_RSRC3_GFX90A:TG_SPLIT: 0
	.section	.text._ZN9rocsparseL27bsrgemm_fill_wf_per_row_2x2ILj256ELj16ELj8ELj137Eli21rocsparse_complex_numIfEEEv20rocsparse_direction_T4_S4_PKS4_S6_NS_24const_host_device_scalarIT5_EEPKT3_S6_PKS8_SC_S6_SE_S9_SC_S6_SE_SC_PS4_PS8_21rocsparse_index_base_SH_SH_SH_bbb,"axG",@progbits,_ZN9rocsparseL27bsrgemm_fill_wf_per_row_2x2ILj256ELj16ELj8ELj137Eli21rocsparse_complex_numIfEEEv20rocsparse_direction_T4_S4_PKS4_S6_NS_24const_host_device_scalarIT5_EEPKT3_S6_PKS8_SC_S6_SE_S9_SC_S6_SE_SC_PS4_PS8_21rocsparse_index_base_SH_SH_SH_bbb,comdat
	.globl	_ZN9rocsparseL27bsrgemm_fill_wf_per_row_2x2ILj256ELj16ELj8ELj137Eli21rocsparse_complex_numIfEEEv20rocsparse_direction_T4_S4_PKS4_S6_NS_24const_host_device_scalarIT5_EEPKT3_S6_PKS8_SC_S6_SE_S9_SC_S6_SE_SC_PS4_PS8_21rocsparse_index_base_SH_SH_SH_bbb ; -- Begin function _ZN9rocsparseL27bsrgemm_fill_wf_per_row_2x2ILj256ELj16ELj8ELj137Eli21rocsparse_complex_numIfEEEv20rocsparse_direction_T4_S4_PKS4_S6_NS_24const_host_device_scalarIT5_EEPKT3_S6_PKS8_SC_S6_SE_S9_SC_S6_SE_SC_PS4_PS8_21rocsparse_index_base_SH_SH_SH_bbb
	.p2align	8
	.type	_ZN9rocsparseL27bsrgemm_fill_wf_per_row_2x2ILj256ELj16ELj8ELj137Eli21rocsparse_complex_numIfEEEv20rocsparse_direction_T4_S4_PKS4_S6_NS_24const_host_device_scalarIT5_EEPKT3_S6_PKS8_SC_S6_SE_S9_SC_S6_SE_SC_PS4_PS8_21rocsparse_index_base_SH_SH_SH_bbb,@function
_ZN9rocsparseL27bsrgemm_fill_wf_per_row_2x2ILj256ELj16ELj8ELj137Eli21rocsparse_complex_numIfEEEv20rocsparse_direction_T4_S4_PKS4_S6_NS_24const_host_device_scalarIT5_EEPKT3_S6_PKS8_SC_S6_SE_S9_SC_S6_SE_SC_PS4_PS8_21rocsparse_index_base_SH_SH_SH_bbb: ; @_ZN9rocsparseL27bsrgemm_fill_wf_per_row_2x2ILj256ELj16ELj8ELj137Eli21rocsparse_complex_numIfEEEv20rocsparse_direction_T4_S4_PKS4_S6_NS_24const_host_device_scalarIT5_EEPKT3_S6_PKS8_SC_S6_SE_S9_SC_S6_SE_SC_PS4_PS8_21rocsparse_index_base_SH_SH_SH_bbb
; %bb.0:
	s_load_dwordx8 s[8:15], s[4:5], 0x68
	s_load_dwordx8 s[16:23], s[4:5], 0x48
	s_load_dword s7, s[4:5], 0xa0
	s_load_dwordx4 s[44:47], s[4:5], 0x10
	s_load_dwordx8 s[24:31], s[4:5], 0x28
	s_load_dwordx2 s[2:3], s[4:5], 0x88
	s_load_dwordx4 s[36:39], s[4:5], 0x90
	s_waitcnt lgkmcnt(0)
	s_bitcmp1_b32 s7, 0
	s_cselect_b64 s[50:51], -1, 0
	s_bitcmp1_b32 s7, 16
	s_cselect_b64 s[0:1], -1, 0
	s_xor_b64 s[0:1], s[0:1], -1
	v_cndmask_b32_e64 v1, 0, 1, s[0:1]
	s_mov_b32 s35, 0
	s_bitcmp0_b32 s7, 0
	v_cmp_ne_u32_e64 s[0:1], 1, v1
	s_mov_b32 s58, 0
	s_cbranch_scc1 .LBB207_5
; %bb.1:
	s_load_dwordx2 s[34:35], s[4:5], 0x20
	s_and_b64 vcc, exec, s[0:1]
	s_waitcnt lgkmcnt(0)
	s_mov_b32 s58, s34
	s_cbranch_vccnz .LBB207_3
; %bb.2:
	s_load_dword s58, s[34:35], 0x0
.LBB207_3:
	s_and_b64 vcc, exec, s[0:1]
	s_cbranch_vccnz .LBB207_5
; %bb.4:
	s_load_dword s35, s[34:35], 0x4
.LBB207_5:
	s_bitcmp1_b32 s7, 8
	s_cselect_b64 s[48:49], -1, 0
	s_bfe_u32 s7, s7, 0x10008
	s_mov_b32 s34, 0
	s_cmp_eq_u32 s7, 0
	s_mov_b32 s33, 0
	s_cbranch_scc1 .LBB207_11
; %bb.6:
	s_and_b64 vcc, exec, s[0:1]
	s_mov_b32 s33, s20
	s_cbranch_vccnz .LBB207_8
; %bb.7:
	s_load_dword s33, s[20:21], 0x0
.LBB207_8:
	s_and_b64 vcc, exec, s[0:1]
	s_cbranch_vccnz .LBB207_10
; %bb.9:
	s_load_dword s21, s[20:21], 0x4
.LBB207_10:
	s_waitcnt lgkmcnt(0)
	s_mov_b32 s34, s21
.LBB207_11:
	s_load_dwordx4 s[40:43], s[4:5], 0x0
	v_and_b32_e32 v18, 15, v0
	v_lshrrev_b32_e32 v2, 4, v0
	v_mov_b32_e32 v0, 0x1000
	v_lshl_or_b32 v19, v2, 5, v0
	v_cmp_gt_u32_e64 s[0:1], 8, v18
	s_and_saveexec_b64 s[4:5], s[0:1]
	s_cbranch_execz .LBB207_13
; %bb.12:
	v_lshl_add_u32 v0, v18, 2, v19
	s_waitcnt lgkmcnt(0)
	v_mov_b32_e32 v1, s42
	ds_write_b32 v0, v1
.LBB207_13:
	s_or_b64 exec, exec, s[4:5]
	v_lshlrev_b32_e32 v0, 3, v18
	v_lshl_or_b32 v4, v2, 8, v0
	v_mov_b32_e32 v0, 0
	v_or_b32_e32 v3, -16, v18
	s_mov_b64 s[4:5], 0
	v_mov_b32_e32 v1, v0
.LBB207_14:                             ; =>This Inner Loop Header: Depth=1
	v_add_co_u32_e32 v3, vcc, 16, v3
	s_xor_b64 s[20:21], vcc, -1
	s_and_b64 s[20:21], exec, s[20:21]
	ds_write_b64 v4, v[0:1]
	s_or_b64 s[4:5], s[20:21], s[4:5]
	v_add_u32_e32 v4, 0x80, v4
	s_andn2_b64 exec, exec, s[4:5]
	s_cbranch_execnz .LBB207_14
; %bb.15:
	s_or_b64 exec, exec, s[4:5]
	v_lshl_or_b32 v4, s6, 4, v2
	s_waitcnt lgkmcnt(0)
	v_cmp_gt_i32_e32 vcc, s41, v4
	s_barrier
	s_and_saveexec_b64 s[4:5], vcc
	s_cbranch_execz .LBB207_21
; %bb.16:
	s_cmp_eq_u64 s[46:47], 0
	s_cbranch_scc1 .LBB207_18
; %bb.17:
	s_load_dword s4, s[44:45], 0x0
	v_mov_b32_e32 v3, s47
	s_waitcnt lgkmcnt(0)
	v_add_u32_e32 v0, s4, v4
	v_ashrrev_i32_e32 v1, 31, v0
	v_lshlrev_b64 v[0:1], 2, v[0:1]
	v_add_co_u32_e32 v0, vcc, s46, v0
	v_addc_co_u32_e32 v1, vcc, v3, v1, vcc
	global_load_dword v4, v[0:1], off
.LBB207_18:
	v_lshlrev_b32_e32 v20, 8, v2
	s_andn2_b64 vcc, exec, s[50:51]
	s_waitcnt vmcnt(0)
	v_ashrrev_i32_e32 v5, 31, v4
	s_cbranch_vccz .LBB207_22
; %bb.19:
	s_andn2_b64 vcc, exec, s[48:49]
	s_cbranch_vccz .LBB207_77
.LBB207_20:
	s_and_b64 exec, exec, s[0:1]
	s_cbranch_execnz .LBB207_129
.LBB207_21:
	s_endpgm
.LBB207_22:
	v_lshlrev_b64 v[0:1], 3, v[4:5]
	v_mov_b32_e32 v2, s25
	v_add_co_u32_e32 v0, vcc, s24, v0
	v_addc_co_u32_e32 v1, vcc, v2, v1, vcc
	global_load_dwordx4 v[0:3], v[0:1], off
	v_subrev_co_u32_e32 v8, vcc, s36, v18
	v_subb_co_u32_e64 v9, s[4:5], 0, 0, vcc
	s_mov_b32 s41, 0
	s_waitcnt vmcnt(0)
	v_subrev_co_u32_e32 v6, vcc, s36, v2
	v_subbrev_co_u32_e32 v7, vcc, 0, v3, vcc
	v_add_co_u32_e32 v8, vcc, v0, v8
	v_addc_co_u32_e32 v9, vcc, v1, v9, vcc
	v_cmp_lt_i64_e32 vcc, v[8:9], v[6:7]
	s_and_saveexec_b64 s[4:5], vcc
	s_cbranch_execz .LBB207_76
; %bb.23:
	s_cmp_eq_u32 s40, 0
	s_mov_b32 s43, s37
	s_cselect_b32 s59, 2, 1
	s_cselect_b32 s60, 1, 2
	v_add_u32_e32 v21, 8, v20
	v_add_u32_e32 v22, 16, v20
	;; [unrolled: 1-line block ×3, first 2 shown]
	s_mov_b64 s[6:7], 0
	v_mov_b32_e32 v24, s27
	v_mov_b32_e32 v25, s31
	s_branch .LBB207_25
.LBB207_24:                             ;   in Loop: Header=BB207_25 Depth=1
	s_or_b64 exec, exec, s[20:21]
	v_add_co_u32_e32 v8, vcc, 16, v8
	v_addc_co_u32_e32 v9, vcc, 0, v9, vcc
	v_cmp_ge_i64_e32 vcc, v[8:9], v[6:7]
	s_or_b64 s[6:7], vcc, s[6:7]
	s_andn2_b64 exec, exec, s[6:7]
	s_cbranch_execz .LBB207_76
.LBB207_25:                             ; =>This Loop Header: Depth=1
                                        ;     Child Loop BB207_28 Depth 2
                                        ;       Child Loop BB207_30 Depth 3
                                        ;       Child Loop BB207_42 Depth 3
	;; [unrolled: 1-line block ×4, first 2 shown]
	v_lshlrev_b64 v[10:11], 2, v[8:9]
	v_add_co_u32_e32 v0, vcc, s26, v10
	v_addc_co_u32_e32 v1, vcc, v24, v11, vcc
	global_load_dword v0, v[0:1], off
	s_waitcnt vmcnt(0)
	v_subrev_u32_e32 v0, s36, v0
	v_ashrrev_i32_e32 v1, 31, v0
	v_lshlrev_b64 v[0:1], 3, v[0:1]
	v_add_co_u32_e32 v0, vcc, s30, v0
	v_addc_co_u32_e32 v1, vcc, v25, v1, vcc
	global_load_dwordx4 v[0:3], v[0:1], off
	s_waitcnt vmcnt(0)
	v_cmp_lt_i64_e32 vcc, v[0:1], v[2:3]
	s_and_saveexec_b64 s[20:21], vcc
	s_cbranch_execz .LBB207_24
; %bb.26:                               ;   in Loop: Header=BB207_25 Depth=1
	v_lshlrev_b64 v[12:13], 5, v[8:9]
	v_mov_b32_e32 v26, s29
	v_add_co_u32_e32 v12, vcc, s28, v12
	v_or_b32_e32 v17, 0, v11
	v_or_b32_e32 v16, s59, v10
	v_addc_co_u32_e32 v13, vcc, v26, v13, vcc
	v_lshlrev_b64 v[16:17], 3, v[16:17]
	v_add_co_u32_e32 v16, vcc, s28, v16
	v_or_b32_e32 v11, 0, v11
	v_or_b32_e32 v10, s60, v10
	v_addc_co_u32_e32 v17, vcc, v26, v17, vcc
	v_lshlrev_b64 v[10:11], 3, v[10:11]
	v_add_co_u32_e32 v10, vcc, s28, v10
	global_load_dwordx2 v[14:15], v[12:13], off
	v_addc_co_u32_e32 v11, vcc, v26, v11, vcc
	global_load_dwordx2 v[16:17], v[16:17], off
	s_nop 0
	global_load_dwordx2 v[34:35], v[10:11], off
	global_load_dwordx2 v[36:37], v[12:13], off offset:24
	v_mov_b32_e32 v10, s41
	v_subrev_co_u32_e32 v2, vcc, s43, v2
	v_subb_co_u32_e32 v3, vcc, v3, v10, vcc
	v_subrev_co_u32_e32 v0, vcc, s43, v0
	v_subb_co_u32_e32 v1, vcc, v1, v10, vcc
	s_mov_b64 s[24:25], 0
	s_waitcnt vmcnt(3)
	v_mul_f32_e64 v26, v15, -s35
	v_mul_f32_e32 v27, s58, v15
	s_waitcnt vmcnt(2)
	v_mul_f32_e64 v28, v17, -s35
	v_mul_f32_e32 v29, s58, v17
	s_waitcnt vmcnt(0)
	v_mul_f32_e32 v30, s58, v37
	v_mul_f32_e64 v31, v37, -s35
	v_mul_f32_e32 v32, s58, v35
	v_mul_f32_e64 v33, v35, -s35
	v_fmac_f32_e32 v26, s58, v14
	v_fmac_f32_e32 v27, s35, v14
	;; [unrolled: 1-line block ×8, first 2 shown]
	s_branch .LBB207_28
.LBB207_27:                             ;   in Loop: Header=BB207_28 Depth=2
	s_or_b64 exec, exec, s[44:45]
	v_add_co_u32_e32 v0, vcc, 1, v0
	v_addc_co_u32_e32 v1, vcc, 0, v1, vcc
	v_cmp_ge_i64_e32 vcc, v[0:1], v[2:3]
	s_or_b64 s[24:25], vcc, s[24:25]
	s_andn2_b64 exec, exec, s[24:25]
	s_cbranch_execz .LBB207_24
.LBB207_28:                             ;   Parent Loop BB207_25 Depth=1
                                        ; =>  This Loop Header: Depth=2
                                        ;       Child Loop BB207_30 Depth 3
                                        ;       Child Loop BB207_42 Depth 3
	;; [unrolled: 1-line block ×4, first 2 shown]
	v_lshlrev_b64 v[10:11], 2, v[0:1]
	v_mov_b32_e32 v13, s17
	v_add_co_u32_e32 v12, vcc, s16, v10
	v_addc_co_u32_e32 v13, vcc, v13, v11, vcc
	global_load_dword v36, v[12:13], off
	v_or_b32_e32 v13, 0, v11
	v_or_b32_e32 v12, s60, v10
	;; [unrolled: 1-line block ×4, first 2 shown]
	v_lshlrev_b64 v[10:11], 3, v[10:11]
	v_mov_b32_e32 v37, s19
	v_add_co_u32_e32 v10, vcc, s18, v10
	v_lshlrev_b64 v[14:15], 5, v[0:1]
	v_addc_co_u32_e32 v11, vcc, v37, v11, vcc
	v_add_co_u32_e32 v34, vcc, s18, v14
	global_load_dwordx2 v[16:17], v[10:11], off
	v_addc_co_u32_e32 v35, vcc, v37, v15, vcc
	global_load_dwordx2 v[14:15], v[34:35], off
	v_lshlrev_b64 v[10:11], 3, v[12:13]
	v_add_co_u32_e32 v10, vcc, s18, v10
	v_addc_co_u32_e32 v11, vcc, v37, v11, vcc
	global_load_dwordx2 v[10:11], v[10:11], off
	s_nop 0
	global_load_dwordx2 v[12:13], v[34:35], off offset:24
	s_mov_b64 s[44:45], 0
	s_waitcnt vmcnt(4)
	v_subrev_u32_e32 v34, s37, v36
	v_and_b32_e32 v35, 7, v34
	v_mov_b32_e32 v38, v35
	s_waitcnt vmcnt(3)
	v_mul_f32_e64 v37, v17, -v32
	v_mul_f32_e32 v36, v33, v17
	v_fmac_f32_e32 v37, v33, v16
	v_fmac_f32_e32 v36, v32, v16
	s_waitcnt vmcnt(2)
	v_fmac_f32_e32 v37, v26, v14
	v_fmac_f32_e32 v36, v27, v14
	v_fma_f32 v37, -v27, v15, v37
	v_fmac_f32_e32 v36, v26, v15
	s_branch .LBB207_30
.LBB207_29:                             ;   in Loop: Header=BB207_30 Depth=3
	s_or_b64 exec, exec, s[46:47]
	s_xor_b64 s[46:47], s[50:51], -1
	s_and_b64 s[46:47], exec, s[46:47]
	s_or_b64 s[44:45], s[46:47], s[44:45]
	s_andn2_b64 exec, exec, s[44:45]
	s_cbranch_execz .LBB207_40
.LBB207_30:                             ;   Parent Loop BB207_25 Depth=1
                                        ;     Parent Loop BB207_28 Depth=2
                                        ; =>    This Inner Loop Header: Depth=3
	v_lshl_add_u32 v39, v38, 2, v19
	ds_read_b32 v40, v39
                                        ; implicit-def: $sgpr50_sgpr51
	s_waitcnt lgkmcnt(0)
	v_cmp_ne_u32_e32 vcc, v40, v34
	s_and_saveexec_b64 s[46:47], vcc
	s_xor_b64 s[46:47], exec, s[46:47]
	s_cbranch_execz .LBB207_38
; %bb.31:                               ;   in Loop: Header=BB207_30 Depth=3
	v_cmp_ne_u32_e32 vcc, s42, v40
                                        ; implicit-def: $sgpr50_sgpr51
	s_and_saveexec_b64 s[52:53], vcc
	s_xor_b64 s[52:53], exec, s[52:53]
; %bb.32:                               ;   in Loop: Header=BB207_30 Depth=3
	v_add_u32_e32 v38, 1, v38
	v_and_b32_e32 v38, 7, v38
	s_mov_b64 s[50:51], -1
                                        ; implicit-def: $vgpr39
; %bb.33:                               ;   in Loop: Header=BB207_30 Depth=3
	s_andn2_saveexec_b64 s[52:53], s[52:53]
	s_cbranch_execz .LBB207_37
; %bb.34:                               ;   in Loop: Header=BB207_30 Depth=3
	v_mov_b32_e32 v40, s42
	ds_cmpst_rtn_b32 v39, v39, v40, v34
	s_mov_b64 s[54:55], -1
	s_waitcnt lgkmcnt(0)
	v_cmp_eq_u32_e32 vcc, s42, v39
	s_and_saveexec_b64 s[56:57], vcc
	s_cbranch_execz .LBB207_36
; %bb.35:                               ;   in Loop: Header=BB207_30 Depth=3
	v_lshl_add_u32 v39, v38, 5, v20
	ds_add_f32 v39, v37
	ds_add_f32 v39, v36 offset:4
	s_xor_b64 s[54:55], exec, -1
.LBB207_36:                             ;   in Loop: Header=BB207_30 Depth=3
	s_or_b64 exec, exec, s[56:57]
	s_andn2_b64 s[50:51], s[50:51], exec
	s_and_b64 s[54:55], s[54:55], exec
	s_or_b64 s[50:51], s[50:51], s[54:55]
.LBB207_37:                             ;   in Loop: Header=BB207_30 Depth=3
	s_or_b64 exec, exec, s[52:53]
	s_and_b64 s[50:51], s[50:51], exec
.LBB207_38:                             ;   in Loop: Header=BB207_30 Depth=3
	s_andn2_saveexec_b64 s[46:47], s[46:47]
	s_cbranch_execz .LBB207_29
; %bb.39:                               ;   in Loop: Header=BB207_30 Depth=3
	v_lshl_add_u32 v39, v38, 5, v20
	ds_add_f32 v39, v37
	ds_add_f32 v39, v36 offset:4
	s_andn2_b64 s[50:51], s[50:51], exec
	s_branch .LBB207_29
.LBB207_40:                             ;   in Loop: Header=BB207_28 Depth=2
	s_or_b64 exec, exec, s[44:45]
	s_waitcnt vmcnt(0)
	v_mul_f32_e64 v37, v13, -v32
	v_mul_f32_e32 v36, v33, v13
	v_fmac_f32_e32 v37, v33, v12
	v_fmac_f32_e32 v36, v32, v12
	;; [unrolled: 1-line block ×4, first 2 shown]
	v_fma_f32 v37, -v27, v11, v37
	v_fmac_f32_e32 v36, v26, v11
	s_mov_b64 s[44:45], 0
	v_mov_b32_e32 v38, v35
	s_branch .LBB207_42
.LBB207_41:                             ;   in Loop: Header=BB207_42 Depth=3
	s_or_b64 exec, exec, s[46:47]
	s_xor_b64 s[46:47], s[50:51], -1
	s_and_b64 s[46:47], exec, s[46:47]
	s_or_b64 s[44:45], s[46:47], s[44:45]
	s_andn2_b64 exec, exec, s[44:45]
	s_cbranch_execz .LBB207_52
.LBB207_42:                             ;   Parent Loop BB207_25 Depth=1
                                        ;     Parent Loop BB207_28 Depth=2
                                        ; =>    This Inner Loop Header: Depth=3
	v_lshl_add_u32 v39, v38, 2, v19
	ds_read_b32 v40, v39
                                        ; implicit-def: $sgpr50_sgpr51
	s_waitcnt lgkmcnt(0)
	v_cmp_ne_u32_e32 vcc, v40, v34
	s_and_saveexec_b64 s[46:47], vcc
	s_xor_b64 s[46:47], exec, s[46:47]
	s_cbranch_execz .LBB207_50
; %bb.43:                               ;   in Loop: Header=BB207_42 Depth=3
	v_cmp_ne_u32_e32 vcc, s42, v40
                                        ; implicit-def: $sgpr50_sgpr51
	s_and_saveexec_b64 s[52:53], vcc
	s_xor_b64 s[52:53], exec, s[52:53]
; %bb.44:                               ;   in Loop: Header=BB207_42 Depth=3
	v_add_u32_e32 v38, 1, v38
	v_and_b32_e32 v38, 7, v38
	s_mov_b64 s[50:51], -1
                                        ; implicit-def: $vgpr39
; %bb.45:                               ;   in Loop: Header=BB207_42 Depth=3
	s_andn2_saveexec_b64 s[52:53], s[52:53]
	s_cbranch_execz .LBB207_49
; %bb.46:                               ;   in Loop: Header=BB207_42 Depth=3
	v_mov_b32_e32 v40, s42
	ds_cmpst_rtn_b32 v39, v39, v40, v34
	s_mov_b64 s[54:55], -1
	s_waitcnt lgkmcnt(0)
	v_cmp_eq_u32_e32 vcc, s42, v39
	s_and_saveexec_b64 s[56:57], vcc
	s_cbranch_execz .LBB207_48
; %bb.47:                               ;   in Loop: Header=BB207_42 Depth=3
	v_lshl_add_u32 v39, v38, 5, v21
	ds_add_f32 v39, v37
	ds_add_f32 v39, v36 offset:4
	s_xor_b64 s[54:55], exec, -1
.LBB207_48:                             ;   in Loop: Header=BB207_42 Depth=3
	s_or_b64 exec, exec, s[56:57]
	s_andn2_b64 s[50:51], s[50:51], exec
	s_and_b64 s[54:55], s[54:55], exec
	s_or_b64 s[50:51], s[50:51], s[54:55]
.LBB207_49:                             ;   in Loop: Header=BB207_42 Depth=3
	s_or_b64 exec, exec, s[52:53]
	s_and_b64 s[50:51], s[50:51], exec
.LBB207_50:                             ;   in Loop: Header=BB207_42 Depth=3
	s_andn2_saveexec_b64 s[46:47], s[46:47]
	s_cbranch_execz .LBB207_41
; %bb.51:                               ;   in Loop: Header=BB207_42 Depth=3
	v_lshl_add_u32 v39, v38, 5, v21
	ds_add_f32 v39, v37
	ds_add_f32 v39, v36 offset:4
	s_andn2_b64 s[50:51], s[50:51], exec
	s_branch .LBB207_41
.LBB207_52:                             ;   in Loop: Header=BB207_28 Depth=2
	s_or_b64 exec, exec, s[44:45]
	v_mul_f32_e64 v36, v17, -v30
	v_mul_f32_e32 v17, v31, v17
	v_fmac_f32_e32 v36, v31, v16
	v_fmac_f32_e32 v17, v30, v16
	;; [unrolled: 1-line block ×4, first 2 shown]
	v_fma_f32 v16, -v29, v15, v36
	v_fmac_f32_e32 v17, v28, v15
	s_mov_b64 s[44:45], 0
	v_mov_b32_e32 v14, v35
	s_branch .LBB207_54
.LBB207_53:                             ;   in Loop: Header=BB207_54 Depth=3
	s_or_b64 exec, exec, s[46:47]
	s_xor_b64 s[46:47], s[50:51], -1
	s_and_b64 s[46:47], exec, s[46:47]
	s_or_b64 s[44:45], s[46:47], s[44:45]
	s_andn2_b64 exec, exec, s[44:45]
	s_cbranch_execz .LBB207_64
.LBB207_54:                             ;   Parent Loop BB207_25 Depth=1
                                        ;     Parent Loop BB207_28 Depth=2
                                        ; =>    This Inner Loop Header: Depth=3
	v_lshl_add_u32 v15, v14, 2, v19
	ds_read_b32 v36, v15
                                        ; implicit-def: $sgpr50_sgpr51
	s_waitcnt lgkmcnt(0)
	v_cmp_ne_u32_e32 vcc, v36, v34
	s_and_saveexec_b64 s[46:47], vcc
	s_xor_b64 s[46:47], exec, s[46:47]
	s_cbranch_execz .LBB207_62
; %bb.55:                               ;   in Loop: Header=BB207_54 Depth=3
	v_cmp_ne_u32_e32 vcc, s42, v36
                                        ; implicit-def: $sgpr50_sgpr51
	s_and_saveexec_b64 s[52:53], vcc
	s_xor_b64 s[52:53], exec, s[52:53]
; %bb.56:                               ;   in Loop: Header=BB207_54 Depth=3
	v_add_u32_e32 v14, 1, v14
	v_and_b32_e32 v14, 7, v14
	s_mov_b64 s[50:51], -1
                                        ; implicit-def: $vgpr15
; %bb.57:                               ;   in Loop: Header=BB207_54 Depth=3
	s_andn2_saveexec_b64 s[52:53], s[52:53]
	s_cbranch_execz .LBB207_61
; %bb.58:                               ;   in Loop: Header=BB207_54 Depth=3
	v_mov_b32_e32 v36, s42
	ds_cmpst_rtn_b32 v15, v15, v36, v34
	s_mov_b64 s[54:55], -1
	s_waitcnt lgkmcnt(0)
	v_cmp_eq_u32_e32 vcc, s42, v15
	s_and_saveexec_b64 s[56:57], vcc
	s_cbranch_execz .LBB207_60
; %bb.59:                               ;   in Loop: Header=BB207_54 Depth=3
	v_lshl_add_u32 v15, v14, 5, v22
	ds_add_f32 v15, v16
	ds_add_f32 v15, v17 offset:4
	s_xor_b64 s[54:55], exec, -1
.LBB207_60:                             ;   in Loop: Header=BB207_54 Depth=3
	s_or_b64 exec, exec, s[56:57]
	s_andn2_b64 s[50:51], s[50:51], exec
	s_and_b64 s[54:55], s[54:55], exec
	s_or_b64 s[50:51], s[50:51], s[54:55]
.LBB207_61:                             ;   in Loop: Header=BB207_54 Depth=3
	s_or_b64 exec, exec, s[52:53]
	s_and_b64 s[50:51], s[50:51], exec
.LBB207_62:                             ;   in Loop: Header=BB207_54 Depth=3
	s_andn2_saveexec_b64 s[46:47], s[46:47]
	s_cbranch_execz .LBB207_53
; %bb.63:                               ;   in Loop: Header=BB207_54 Depth=3
	v_lshl_add_u32 v15, v14, 5, v22
	ds_add_f32 v15, v16
	ds_add_f32 v15, v17 offset:4
	s_andn2_b64 s[50:51], s[50:51], exec
	s_branch .LBB207_53
.LBB207_64:                             ;   in Loop: Header=BB207_28 Depth=2
	s_or_b64 exec, exec, s[44:45]
	v_mul_f32_e64 v14, v13, -v30
	v_mul_f32_e32 v13, v31, v13
	v_fmac_f32_e32 v14, v31, v12
	v_fmac_f32_e32 v13, v30, v12
	;; [unrolled: 1-line block ×4, first 2 shown]
	v_fma_f32 v12, -v29, v11, v14
	v_fmac_f32_e32 v13, v28, v11
	s_mov_b64 s[44:45], 0
	s_branch .LBB207_66
.LBB207_65:                             ;   in Loop: Header=BB207_66 Depth=3
	s_or_b64 exec, exec, s[46:47]
	s_xor_b64 s[46:47], s[50:51], -1
	s_and_b64 s[46:47], exec, s[46:47]
	s_or_b64 s[44:45], s[46:47], s[44:45]
	s_andn2_b64 exec, exec, s[44:45]
	s_cbranch_execz .LBB207_27
.LBB207_66:                             ;   Parent Loop BB207_25 Depth=1
                                        ;     Parent Loop BB207_28 Depth=2
                                        ; =>    This Inner Loop Header: Depth=3
	v_lshl_add_u32 v10, v35, 2, v19
	ds_read_b32 v11, v10
                                        ; implicit-def: $sgpr50_sgpr51
	s_waitcnt lgkmcnt(0)
	v_cmp_ne_u32_e32 vcc, v11, v34
	s_and_saveexec_b64 s[46:47], vcc
	s_xor_b64 s[46:47], exec, s[46:47]
	s_cbranch_execz .LBB207_74
; %bb.67:                               ;   in Loop: Header=BB207_66 Depth=3
	v_cmp_ne_u32_e32 vcc, s42, v11
                                        ; implicit-def: $sgpr50_sgpr51
	s_and_saveexec_b64 s[52:53], vcc
	s_xor_b64 s[52:53], exec, s[52:53]
; %bb.68:                               ;   in Loop: Header=BB207_66 Depth=3
	v_add_u32_e32 v10, 1, v35
	v_and_b32_e32 v35, 7, v10
	s_mov_b64 s[50:51], -1
                                        ; implicit-def: $vgpr10
; %bb.69:                               ;   in Loop: Header=BB207_66 Depth=3
	s_andn2_saveexec_b64 s[52:53], s[52:53]
	s_cbranch_execz .LBB207_73
; %bb.70:                               ;   in Loop: Header=BB207_66 Depth=3
	v_mov_b32_e32 v11, s42
	ds_cmpst_rtn_b32 v10, v10, v11, v34
	s_mov_b64 s[54:55], -1
	s_waitcnt lgkmcnt(0)
	v_cmp_eq_u32_e32 vcc, s42, v10
	s_and_saveexec_b64 s[56:57], vcc
	s_cbranch_execz .LBB207_72
; %bb.71:                               ;   in Loop: Header=BB207_66 Depth=3
	v_lshl_add_u32 v10, v35, 5, v23
	ds_add_f32 v10, v12
	ds_add_f32 v10, v13 offset:4
	s_xor_b64 s[54:55], exec, -1
.LBB207_72:                             ;   in Loop: Header=BB207_66 Depth=3
	s_or_b64 exec, exec, s[56:57]
	s_andn2_b64 s[50:51], s[50:51], exec
	s_and_b64 s[54:55], s[54:55], exec
	s_or_b64 s[50:51], s[50:51], s[54:55]
.LBB207_73:                             ;   in Loop: Header=BB207_66 Depth=3
	s_or_b64 exec, exec, s[52:53]
	s_and_b64 s[50:51], s[50:51], exec
.LBB207_74:                             ;   in Loop: Header=BB207_66 Depth=3
	s_andn2_saveexec_b64 s[46:47], s[46:47]
	s_cbranch_execz .LBB207_65
; %bb.75:                               ;   in Loop: Header=BB207_66 Depth=3
	v_lshl_add_u32 v10, v35, 5, v23
	ds_add_f32 v10, v12
	ds_add_f32 v10, v13 offset:4
	s_andn2_b64 s[50:51], s[50:51], exec
	s_branch .LBB207_65
.LBB207_76:
	s_or_b64 exec, exec, s[4:5]
	s_andn2_b64 vcc, exec, s[48:49]
	s_waitcnt lgkmcnt(0)
	s_cbranch_vccnz .LBB207_20
.LBB207_77:
	v_lshlrev_b64 v[0:1], 3, v[4:5]
	v_mov_b32_e32 v2, s23
	v_add_co_u32_e32 v0, vcc, s22, v0
	v_addc_co_u32_e32 v1, vcc, v2, v1, vcc
	global_load_dwordx4 v[6:9], v[0:1], off
	v_subrev_co_u32_e32 v2, vcc, s39, v18
	v_subb_co_u32_e64 v3, s[4:5], 0, 0, vcc
	s_waitcnt vmcnt(0)
	v_subrev_co_u32_e32 v0, vcc, s39, v8
	v_subbrev_co_u32_e32 v1, vcc, 0, v9, vcc
	v_add_co_u32_e32 v2, vcc, v6, v2
	v_addc_co_u32_e32 v3, vcc, v7, v3, vcc
	v_cmp_lt_i64_e32 vcc, v[2:3], v[0:1]
	s_and_saveexec_b64 s[4:5], vcc
	s_cbranch_execz .LBB207_128
; %bb.78:
	s_cmp_eq_u32 s40, 0
	s_cselect_b32 s28, 1, 2
	s_cselect_b32 s29, 2, 1
	v_add_u32_e32 v12, 8, v20
	v_add_u32_e32 v13, 16, v20
	;; [unrolled: 1-line block ×3, first 2 shown]
	s_mov_b64 s[6:7], 0
	v_mov_b32_e32 v15, s11
	v_mov_b32_e32 v16, s9
	s_branch .LBB207_80
.LBB207_79:                             ;   in Loop: Header=BB207_80 Depth=1
	s_or_b64 exec, exec, s[16:17]
	v_add_co_u32_e32 v2, vcc, 16, v2
	v_addc_co_u32_e32 v3, vcc, 0, v3, vcc
	v_cmp_ge_i64_e32 vcc, v[2:3], v[0:1]
	s_or_b64 s[6:7], vcc, s[6:7]
	s_andn2_b64 exec, exec, s[6:7]
	s_cbranch_execz .LBB207_128
.LBB207_80:                             ; =>This Loop Header: Depth=1
                                        ;     Child Loop BB207_82 Depth 2
                                        ;     Child Loop BB207_94 Depth 2
	;; [unrolled: 1-line block ×4, first 2 shown]
	v_lshlrev_b64 v[8:9], 5, v[2:3]
	v_lshlrev_b64 v[6:7], 2, v[2:3]
	v_add_co_u32_e32 v22, vcc, s10, v8
	v_addc_co_u32_e32 v23, vcc, v15, v9, vcc
	v_or_b32_e32 v9, 0, v7
	v_or_b32_e32 v8, s28, v6
	v_lshlrev_b64 v[8:9], 3, v[8:9]
	v_add_co_u32_e32 v26, vcc, s10, v8
	v_addc_co_u32_e32 v27, vcc, v15, v9, vcc
	v_or_b32_e32 v8, s29, v6
	v_add_co_u32_e32 v6, vcc, s8, v6
	v_or_b32_e32 v9, 0, v7
	v_addc_co_u32_e32 v7, vcc, v16, v7, vcc
	v_lshlrev_b64 v[8:9], 3, v[8:9]
	global_load_dword v17, v[6:7], off
	global_load_dwordx2 v[24:25], v[22:23], off
	v_add_co_u32_e32 v28, vcc, s10, v8
	v_addc_co_u32_e32 v29, vcc, v15, v9, vcc
	global_load_dwordx2 v[6:7], v[22:23], off offset:24
	global_load_dwordx2 v[10:11], v[26:27], off
	global_load_dwordx2 v[8:9], v[28:29], off
	s_mov_b64 s[16:17], 0
	s_waitcnt vmcnt(4)
	v_subrev_u32_e32 v17, s39, v17
	s_waitcnt vmcnt(3)
	v_mul_f32_e64 v22, v25, -s34
	v_mul_f32_e32 v23, s33, v25
	v_and_b32_e32 v21, 7, v17
	v_fmac_f32_e32 v22, s33, v24
	v_fmac_f32_e32 v23, s34, v24
	v_mov_b32_e32 v24, v21
	s_branch .LBB207_82
.LBB207_81:                             ;   in Loop: Header=BB207_82 Depth=2
	s_or_b64 exec, exec, s[18:19]
	s_xor_b64 s[18:19], s[20:21], -1
	s_and_b64 s[18:19], exec, s[18:19]
	s_or_b64 s[16:17], s[18:19], s[16:17]
	s_andn2_b64 exec, exec, s[16:17]
	s_cbranch_execz .LBB207_92
.LBB207_82:                             ;   Parent Loop BB207_80 Depth=1
                                        ; =>  This Inner Loop Header: Depth=2
	v_lshl_add_u32 v25, v24, 2, v19
	ds_read_b32 v26, v25
                                        ; implicit-def: $sgpr20_sgpr21
	s_waitcnt lgkmcnt(0)
	v_cmp_ne_u32_e32 vcc, v26, v17
	s_and_saveexec_b64 s[18:19], vcc
	s_xor_b64 s[18:19], exec, s[18:19]
	s_cbranch_execz .LBB207_90
; %bb.83:                               ;   in Loop: Header=BB207_82 Depth=2
	v_cmp_ne_u32_e32 vcc, s42, v26
                                        ; implicit-def: $sgpr20_sgpr21
	s_and_saveexec_b64 s[22:23], vcc
	s_xor_b64 s[22:23], exec, s[22:23]
; %bb.84:                               ;   in Loop: Header=BB207_82 Depth=2
	v_add_u32_e32 v24, 1, v24
	v_and_b32_e32 v24, 7, v24
	s_mov_b64 s[20:21], -1
                                        ; implicit-def: $vgpr25
; %bb.85:                               ;   in Loop: Header=BB207_82 Depth=2
	s_andn2_saveexec_b64 s[22:23], s[22:23]
	s_cbranch_execz .LBB207_89
; %bb.86:                               ;   in Loop: Header=BB207_82 Depth=2
	v_mov_b32_e32 v26, s42
	ds_cmpst_rtn_b32 v25, v25, v26, v17
	s_mov_b64 s[24:25], -1
	s_waitcnt lgkmcnt(0)
	v_cmp_eq_u32_e32 vcc, s42, v25
	s_and_saveexec_b64 s[26:27], vcc
	s_cbranch_execz .LBB207_88
; %bb.87:                               ;   in Loop: Header=BB207_82 Depth=2
	v_lshl_add_u32 v25, v24, 5, v20
	ds_add_f32 v25, v22
	ds_add_f32 v25, v23 offset:4
	s_xor_b64 s[24:25], exec, -1
.LBB207_88:                             ;   in Loop: Header=BB207_82 Depth=2
	s_or_b64 exec, exec, s[26:27]
	s_andn2_b64 s[20:21], s[20:21], exec
	s_and_b64 s[24:25], s[24:25], exec
	s_or_b64 s[20:21], s[20:21], s[24:25]
.LBB207_89:                             ;   in Loop: Header=BB207_82 Depth=2
	s_or_b64 exec, exec, s[22:23]
	s_and_b64 s[20:21], s[20:21], exec
.LBB207_90:                             ;   in Loop: Header=BB207_82 Depth=2
	s_andn2_saveexec_b64 s[18:19], s[18:19]
	s_cbranch_execz .LBB207_81
; %bb.91:                               ;   in Loop: Header=BB207_82 Depth=2
	v_lshl_add_u32 v25, v24, 5, v20
	ds_add_f32 v25, v22
	ds_add_f32 v25, v23 offset:4
	s_andn2_b64 s[20:21], s[20:21], exec
	s_branch .LBB207_81
.LBB207_92:                             ;   in Loop: Header=BB207_80 Depth=1
	s_or_b64 exec, exec, s[16:17]
	s_waitcnt vmcnt(1)
	v_mul_f32_e64 v22, v11, -s34
	v_mul_f32_e32 v11, s33, v11
	v_fmac_f32_e32 v22, s33, v10
	v_fmac_f32_e32 v11, s34, v10
	s_mov_b64 s[16:17], 0
	v_mov_b32_e32 v10, v21
	s_branch .LBB207_94
.LBB207_93:                             ;   in Loop: Header=BB207_94 Depth=2
	s_or_b64 exec, exec, s[18:19]
	s_xor_b64 s[18:19], s[20:21], -1
	s_and_b64 s[18:19], exec, s[18:19]
	s_or_b64 s[16:17], s[18:19], s[16:17]
	s_andn2_b64 exec, exec, s[16:17]
	s_cbranch_execz .LBB207_104
.LBB207_94:                             ;   Parent Loop BB207_80 Depth=1
                                        ; =>  This Inner Loop Header: Depth=2
	v_lshl_add_u32 v23, v10, 2, v19
	ds_read_b32 v24, v23
                                        ; implicit-def: $sgpr20_sgpr21
	s_waitcnt lgkmcnt(0)
	v_cmp_ne_u32_e32 vcc, v24, v17
	s_and_saveexec_b64 s[18:19], vcc
	s_xor_b64 s[18:19], exec, s[18:19]
	s_cbranch_execz .LBB207_102
; %bb.95:                               ;   in Loop: Header=BB207_94 Depth=2
	v_cmp_ne_u32_e32 vcc, s42, v24
                                        ; implicit-def: $sgpr20_sgpr21
	s_and_saveexec_b64 s[22:23], vcc
	s_xor_b64 s[22:23], exec, s[22:23]
; %bb.96:                               ;   in Loop: Header=BB207_94 Depth=2
	v_add_u32_e32 v10, 1, v10
	v_and_b32_e32 v10, 7, v10
	s_mov_b64 s[20:21], -1
                                        ; implicit-def: $vgpr23
; %bb.97:                               ;   in Loop: Header=BB207_94 Depth=2
	s_andn2_saveexec_b64 s[22:23], s[22:23]
	s_cbranch_execz .LBB207_101
; %bb.98:                               ;   in Loop: Header=BB207_94 Depth=2
	v_mov_b32_e32 v24, s42
	ds_cmpst_rtn_b32 v23, v23, v24, v17
	s_mov_b64 s[24:25], -1
	s_waitcnt lgkmcnt(0)
	v_cmp_eq_u32_e32 vcc, s42, v23
	s_and_saveexec_b64 s[26:27], vcc
	s_cbranch_execz .LBB207_100
; %bb.99:                               ;   in Loop: Header=BB207_94 Depth=2
	v_lshl_add_u32 v23, v10, 5, v12
	ds_add_f32 v23, v22
	ds_add_f32 v23, v11 offset:4
	s_xor_b64 s[24:25], exec, -1
.LBB207_100:                            ;   in Loop: Header=BB207_94 Depth=2
	s_or_b64 exec, exec, s[26:27]
	s_andn2_b64 s[20:21], s[20:21], exec
	s_and_b64 s[24:25], s[24:25], exec
	s_or_b64 s[20:21], s[20:21], s[24:25]
.LBB207_101:                            ;   in Loop: Header=BB207_94 Depth=2
	s_or_b64 exec, exec, s[22:23]
	s_and_b64 s[20:21], s[20:21], exec
.LBB207_102:                            ;   in Loop: Header=BB207_94 Depth=2
	s_andn2_saveexec_b64 s[18:19], s[18:19]
	s_cbranch_execz .LBB207_93
; %bb.103:                              ;   in Loop: Header=BB207_94 Depth=2
	v_lshl_add_u32 v23, v10, 5, v12
	ds_add_f32 v23, v22
	ds_add_f32 v23, v11 offset:4
	s_andn2_b64 s[20:21], s[20:21], exec
	s_branch .LBB207_93
.LBB207_104:                            ;   in Loop: Header=BB207_80 Depth=1
	s_or_b64 exec, exec, s[16:17]
	s_waitcnt vmcnt(0)
	v_mul_f32_e64 v10, v9, -s34
	v_mul_f32_e32 v9, s33, v9
	v_fmac_f32_e32 v10, s33, v8
	v_fmac_f32_e32 v9, s34, v8
	s_mov_b64 s[16:17], 0
	v_mov_b32_e32 v8, v21
	s_branch .LBB207_106
.LBB207_105:                            ;   in Loop: Header=BB207_106 Depth=2
	s_or_b64 exec, exec, s[18:19]
	s_xor_b64 s[18:19], s[20:21], -1
	s_and_b64 s[18:19], exec, s[18:19]
	s_or_b64 s[16:17], s[18:19], s[16:17]
	s_andn2_b64 exec, exec, s[16:17]
	s_cbranch_execz .LBB207_116
.LBB207_106:                            ;   Parent Loop BB207_80 Depth=1
                                        ; =>  This Inner Loop Header: Depth=2
	v_lshl_add_u32 v11, v8, 2, v19
	ds_read_b32 v22, v11
                                        ; implicit-def: $sgpr20_sgpr21
	s_waitcnt lgkmcnt(0)
	v_cmp_ne_u32_e32 vcc, v22, v17
	s_and_saveexec_b64 s[18:19], vcc
	s_xor_b64 s[18:19], exec, s[18:19]
	s_cbranch_execz .LBB207_114
; %bb.107:                              ;   in Loop: Header=BB207_106 Depth=2
	v_cmp_ne_u32_e32 vcc, s42, v22
                                        ; implicit-def: $sgpr20_sgpr21
	s_and_saveexec_b64 s[22:23], vcc
	s_xor_b64 s[22:23], exec, s[22:23]
; %bb.108:                              ;   in Loop: Header=BB207_106 Depth=2
	v_add_u32_e32 v8, 1, v8
	v_and_b32_e32 v8, 7, v8
	s_mov_b64 s[20:21], -1
                                        ; implicit-def: $vgpr11
; %bb.109:                              ;   in Loop: Header=BB207_106 Depth=2
	s_andn2_saveexec_b64 s[22:23], s[22:23]
	s_cbranch_execz .LBB207_113
; %bb.110:                              ;   in Loop: Header=BB207_106 Depth=2
	v_mov_b32_e32 v22, s42
	ds_cmpst_rtn_b32 v11, v11, v22, v17
	s_mov_b64 s[24:25], -1
	s_waitcnt lgkmcnt(0)
	v_cmp_eq_u32_e32 vcc, s42, v11
	s_and_saveexec_b64 s[26:27], vcc
	s_cbranch_execz .LBB207_112
; %bb.111:                              ;   in Loop: Header=BB207_106 Depth=2
	v_lshl_add_u32 v11, v8, 5, v13
	ds_add_f32 v11, v10
	ds_add_f32 v11, v9 offset:4
	s_xor_b64 s[24:25], exec, -1
.LBB207_112:                            ;   in Loop: Header=BB207_106 Depth=2
	s_or_b64 exec, exec, s[26:27]
	s_andn2_b64 s[20:21], s[20:21], exec
	s_and_b64 s[24:25], s[24:25], exec
	s_or_b64 s[20:21], s[20:21], s[24:25]
.LBB207_113:                            ;   in Loop: Header=BB207_106 Depth=2
	s_or_b64 exec, exec, s[22:23]
	s_and_b64 s[20:21], s[20:21], exec
.LBB207_114:                            ;   in Loop: Header=BB207_106 Depth=2
	s_andn2_saveexec_b64 s[18:19], s[18:19]
	s_cbranch_execz .LBB207_105
; %bb.115:                              ;   in Loop: Header=BB207_106 Depth=2
	v_lshl_add_u32 v11, v8, 5, v13
	ds_add_f32 v11, v10
	ds_add_f32 v11, v9 offset:4
	s_andn2_b64 s[20:21], s[20:21], exec
	s_branch .LBB207_105
.LBB207_116:                            ;   in Loop: Header=BB207_80 Depth=1
	s_or_b64 exec, exec, s[16:17]
	v_mul_f32_e64 v8, v7, -s34
	v_mul_f32_e32 v7, s33, v7
	v_fmac_f32_e32 v8, s33, v6
	v_fmac_f32_e32 v7, s34, v6
	s_mov_b64 s[16:17], 0
	s_branch .LBB207_118
.LBB207_117:                            ;   in Loop: Header=BB207_118 Depth=2
	s_or_b64 exec, exec, s[18:19]
	s_xor_b64 s[18:19], s[20:21], -1
	s_and_b64 s[18:19], exec, s[18:19]
	s_or_b64 s[16:17], s[18:19], s[16:17]
	s_andn2_b64 exec, exec, s[16:17]
	s_cbranch_execz .LBB207_79
.LBB207_118:                            ;   Parent Loop BB207_80 Depth=1
                                        ; =>  This Inner Loop Header: Depth=2
	v_lshl_add_u32 v6, v21, 2, v19
	ds_read_b32 v9, v6
                                        ; implicit-def: $sgpr20_sgpr21
	s_waitcnt lgkmcnt(0)
	v_cmp_ne_u32_e32 vcc, v9, v17
	s_and_saveexec_b64 s[18:19], vcc
	s_xor_b64 s[18:19], exec, s[18:19]
	s_cbranch_execz .LBB207_126
; %bb.119:                              ;   in Loop: Header=BB207_118 Depth=2
	v_cmp_ne_u32_e32 vcc, s42, v9
                                        ; implicit-def: $sgpr20_sgpr21
	s_and_saveexec_b64 s[22:23], vcc
	s_xor_b64 s[22:23], exec, s[22:23]
; %bb.120:                              ;   in Loop: Header=BB207_118 Depth=2
	v_add_u32_e32 v6, 1, v21
	v_and_b32_e32 v21, 7, v6
	s_mov_b64 s[20:21], -1
                                        ; implicit-def: $vgpr6
; %bb.121:                              ;   in Loop: Header=BB207_118 Depth=2
	s_andn2_saveexec_b64 s[22:23], s[22:23]
	s_cbranch_execz .LBB207_125
; %bb.122:                              ;   in Loop: Header=BB207_118 Depth=2
	v_mov_b32_e32 v9, s42
	ds_cmpst_rtn_b32 v6, v6, v9, v17
	s_mov_b64 s[24:25], -1
	s_waitcnt lgkmcnt(0)
	v_cmp_eq_u32_e32 vcc, s42, v6
	s_and_saveexec_b64 s[26:27], vcc
	s_cbranch_execz .LBB207_124
; %bb.123:                              ;   in Loop: Header=BB207_118 Depth=2
	v_lshl_add_u32 v6, v21, 5, v14
	ds_add_f32 v6, v8
	ds_add_f32 v6, v7 offset:4
	s_xor_b64 s[24:25], exec, -1
.LBB207_124:                            ;   in Loop: Header=BB207_118 Depth=2
	s_or_b64 exec, exec, s[26:27]
	s_andn2_b64 s[20:21], s[20:21], exec
	s_and_b64 s[24:25], s[24:25], exec
	s_or_b64 s[20:21], s[20:21], s[24:25]
.LBB207_125:                            ;   in Loop: Header=BB207_118 Depth=2
	s_or_b64 exec, exec, s[22:23]
	s_and_b64 s[20:21], s[20:21], exec
.LBB207_126:                            ;   in Loop: Header=BB207_118 Depth=2
	s_andn2_saveexec_b64 s[18:19], s[18:19]
	s_cbranch_execz .LBB207_117
; %bb.127:                              ;   in Loop: Header=BB207_118 Depth=2
	v_lshl_add_u32 v6, v21, 5, v14
	ds_add_f32 v6, v8
	ds_add_f32 v6, v7 offset:4
	s_andn2_b64 s[20:21], s[20:21], exec
	s_branch .LBB207_117
.LBB207_128:
	s_or_b64 exec, exec, s[4:5]
	s_waitcnt lgkmcnt(0)
	s_and_b64 exec, exec, s[0:1]
	s_cbranch_execz .LBB207_21
.LBB207_129:
	v_lshl_add_u32 v0, v18, 2, v19
	ds_read_b32 v0, v0
	s_waitcnt lgkmcnt(0)
	v_cmp_gt_i32_e32 vcc, s42, v0
	s_and_b64 exec, exec, vcc
	s_cbranch_execz .LBB207_21
; %bb.130:
	v_lshlrev_b64 v[2:3], 3, v[4:5]
	v_mov_b32_e32 v1, s13
	v_add_co_u32_e32 v2, vcc, s12, v2
	v_addc_co_u32_e32 v3, vcc, v1, v3, vcc
	global_load_dwordx2 v[14:15], v[2:3], off
	ds_read_b128 v[2:5], v19
	ds_read_b128 v[6:9], v19 offset:16
	v_lshl_add_u32 v10, v18, 5, v20
	ds_read2_b64 v[10:13], v10 offset1:3
	s_cmp_eq_u32 s40, 0
	s_waitcnt lgkmcnt(2)
	v_cmp_gt_i32_e32 vcc, v0, v2
	v_cndmask_b32_e64 v21, 0, 1, vcc
	v_cmp_gt_i32_e32 vcc, v0, v3
	v_cndmask_b32_e64 v22, 0, 1, vcc
	v_cmp_gt_i32_e32 vcc, v0, v4
	v_cndmask_b32_e64 v4, 0, 1, vcc
	v_cmp_gt_i32_e32 vcc, v0, v5
	v_cndmask_b32_e64 v5, 0, 1, vcc
	s_waitcnt lgkmcnt(1)
	v_cmp_gt_i32_e32 vcc, v0, v6
	v_cndmask_b32_e64 v6, 0, 1, vcc
	v_cmp_gt_i32_e32 vcc, v0, v7
	v_cndmask_b32_e64 v7, 0, 1, vcc
	;; [unrolled: 2-line block ×4, first 2 shown]
	v_lshlrev_b32_e32 v1, 2, v18
	s_cselect_b32 s0, 1, 2
	s_cselect_b32 s1, 2, 1
	v_or_b32_e32 v19, s0, v1
	v_or_b32_e32 v1, s1, v1
	v_lshl_add_u32 v19, v19, 3, v20
	v_add_u32_e32 v16, s38, v0
	v_lshl_add_u32 v20, v1, 3, v20
	s_waitcnt lgkmcnt(0)
	v_mov_b32_e32 v0, v10
	v_mov_b32_e32 v1, v11
	ds_read_b64 v[2:3], v19
	ds_read_b64 v[10:11], v20
	v_mov_b32_e32 v17, s15
	v_mov_b32_e32 v18, s3
	s_waitcnt vmcnt(0)
	v_subrev_co_u32_e32 v14, vcc, s38, v14
	v_subbrev_co_u32_e32 v15, vcc, 0, v15, vcc
	v_add_co_u32_e32 v14, vcc, v14, v21
	v_addc_co_u32_e32 v15, vcc, 0, v15, vcc
	v_add_co_u32_e32 v14, vcc, v14, v22
	v_addc_co_u32_e32 v15, vcc, 0, v15, vcc
	;; [unrolled: 2-line block ×8, first 2 shown]
	v_lshlrev_b64 v[6:7], 2, v[4:5]
	v_add_co_u32_e32 v6, vcc, s14, v6
	v_lshlrev_b64 v[4:5], 5, v[4:5]
	v_addc_co_u32_e32 v7, vcc, v17, v7, vcc
	v_add_co_u32_e32 v4, vcc, s2, v4
	v_addc_co_u32_e32 v5, vcc, v18, v5, vcc
	global_store_dword v[6:7], v16, off
	s_waitcnt lgkmcnt(1)
	global_store_dwordx4 v[4:5], v[0:3], off
	s_waitcnt lgkmcnt(0)
	global_store_dwordx4 v[4:5], v[10:13], off offset:16
	s_endpgm
	.section	.rodata,"a",@progbits
	.p2align	6, 0x0
	.amdhsa_kernel _ZN9rocsparseL27bsrgemm_fill_wf_per_row_2x2ILj256ELj16ELj8ELj137Eli21rocsparse_complex_numIfEEEv20rocsparse_direction_T4_S4_PKS4_S6_NS_24const_host_device_scalarIT5_EEPKT3_S6_PKS8_SC_S6_SE_S9_SC_S6_SE_SC_PS4_PS8_21rocsparse_index_base_SH_SH_SH_bbb
		.amdhsa_group_segment_fixed_size 4608
		.amdhsa_private_segment_fixed_size 0
		.amdhsa_kernarg_size 164
		.amdhsa_user_sgpr_count 6
		.amdhsa_user_sgpr_private_segment_buffer 1
		.amdhsa_user_sgpr_dispatch_ptr 0
		.amdhsa_user_sgpr_queue_ptr 0
		.amdhsa_user_sgpr_kernarg_segment_ptr 1
		.amdhsa_user_sgpr_dispatch_id 0
		.amdhsa_user_sgpr_flat_scratch_init 0
		.amdhsa_user_sgpr_kernarg_preload_length 0
		.amdhsa_user_sgpr_kernarg_preload_offset 0
		.amdhsa_user_sgpr_private_segment_size 0
		.amdhsa_uses_dynamic_stack 0
		.amdhsa_system_sgpr_private_segment_wavefront_offset 0
		.amdhsa_system_sgpr_workgroup_id_x 1
		.amdhsa_system_sgpr_workgroup_id_y 0
		.amdhsa_system_sgpr_workgroup_id_z 0
		.amdhsa_system_sgpr_workgroup_info 0
		.amdhsa_system_vgpr_workitem_id 0
		.amdhsa_next_free_vgpr 41
		.amdhsa_next_free_sgpr 61
		.amdhsa_accum_offset 44
		.amdhsa_reserve_vcc 1
		.amdhsa_reserve_flat_scratch 0
		.amdhsa_float_round_mode_32 0
		.amdhsa_float_round_mode_16_64 0
		.amdhsa_float_denorm_mode_32 3
		.amdhsa_float_denorm_mode_16_64 3
		.amdhsa_dx10_clamp 1
		.amdhsa_ieee_mode 1
		.amdhsa_fp16_overflow 0
		.amdhsa_tg_split 0
		.amdhsa_exception_fp_ieee_invalid_op 0
		.amdhsa_exception_fp_denorm_src 0
		.amdhsa_exception_fp_ieee_div_zero 0
		.amdhsa_exception_fp_ieee_overflow 0
		.amdhsa_exception_fp_ieee_underflow 0
		.amdhsa_exception_fp_ieee_inexact 0
		.amdhsa_exception_int_div_zero 0
	.end_amdhsa_kernel
	.section	.text._ZN9rocsparseL27bsrgemm_fill_wf_per_row_2x2ILj256ELj16ELj8ELj137Eli21rocsparse_complex_numIfEEEv20rocsparse_direction_T4_S4_PKS4_S6_NS_24const_host_device_scalarIT5_EEPKT3_S6_PKS8_SC_S6_SE_S9_SC_S6_SE_SC_PS4_PS8_21rocsparse_index_base_SH_SH_SH_bbb,"axG",@progbits,_ZN9rocsparseL27bsrgemm_fill_wf_per_row_2x2ILj256ELj16ELj8ELj137Eli21rocsparse_complex_numIfEEEv20rocsparse_direction_T4_S4_PKS4_S6_NS_24const_host_device_scalarIT5_EEPKT3_S6_PKS8_SC_S6_SE_S9_SC_S6_SE_SC_PS4_PS8_21rocsparse_index_base_SH_SH_SH_bbb,comdat
.Lfunc_end207:
	.size	_ZN9rocsparseL27bsrgemm_fill_wf_per_row_2x2ILj256ELj16ELj8ELj137Eli21rocsparse_complex_numIfEEEv20rocsparse_direction_T4_S4_PKS4_S6_NS_24const_host_device_scalarIT5_EEPKT3_S6_PKS8_SC_S6_SE_S9_SC_S6_SE_SC_PS4_PS8_21rocsparse_index_base_SH_SH_SH_bbb, .Lfunc_end207-_ZN9rocsparseL27bsrgemm_fill_wf_per_row_2x2ILj256ELj16ELj8ELj137Eli21rocsparse_complex_numIfEEEv20rocsparse_direction_T4_S4_PKS4_S6_NS_24const_host_device_scalarIT5_EEPKT3_S6_PKS8_SC_S6_SE_S9_SC_S6_SE_SC_PS4_PS8_21rocsparse_index_base_SH_SH_SH_bbb
                                        ; -- End function
	.section	.AMDGPU.csdata,"",@progbits
; Kernel info:
; codeLenInByte = 3956
; NumSgprs: 65
; NumVgprs: 41
; NumAgprs: 0
; TotalNumVgprs: 41
; ScratchSize: 0
; MemoryBound: 0
; FloatMode: 240
; IeeeMode: 1
; LDSByteSize: 4608 bytes/workgroup (compile time only)
; SGPRBlocks: 8
; VGPRBlocks: 5
; NumSGPRsForWavesPerEU: 65
; NumVGPRsForWavesPerEU: 41
; AccumOffset: 44
; Occupancy: 8
; WaveLimiterHint : 1
; COMPUTE_PGM_RSRC2:SCRATCH_EN: 0
; COMPUTE_PGM_RSRC2:USER_SGPR: 6
; COMPUTE_PGM_RSRC2:TRAP_HANDLER: 0
; COMPUTE_PGM_RSRC2:TGID_X_EN: 1
; COMPUTE_PGM_RSRC2:TGID_Y_EN: 0
; COMPUTE_PGM_RSRC2:TGID_Z_EN: 0
; COMPUTE_PGM_RSRC2:TIDIG_COMP_CNT: 0
; COMPUTE_PGM_RSRC3_GFX90A:ACCUM_OFFSET: 10
; COMPUTE_PGM_RSRC3_GFX90A:TG_SPLIT: 0
	.section	.text._ZN9rocsparseL27bsrgemm_fill_wf_per_row_2x2ILj256ELj16ELj16ELj137Eli21rocsparse_complex_numIfEEEv20rocsparse_direction_T4_S4_PKS4_S6_NS_24const_host_device_scalarIT5_EEPKT3_S6_PKS8_SC_S6_SE_S9_SC_S6_SE_SC_PS4_PS8_21rocsparse_index_base_SH_SH_SH_bbb,"axG",@progbits,_ZN9rocsparseL27bsrgemm_fill_wf_per_row_2x2ILj256ELj16ELj16ELj137Eli21rocsparse_complex_numIfEEEv20rocsparse_direction_T4_S4_PKS4_S6_NS_24const_host_device_scalarIT5_EEPKT3_S6_PKS8_SC_S6_SE_S9_SC_S6_SE_SC_PS4_PS8_21rocsparse_index_base_SH_SH_SH_bbb,comdat
	.globl	_ZN9rocsparseL27bsrgemm_fill_wf_per_row_2x2ILj256ELj16ELj16ELj137Eli21rocsparse_complex_numIfEEEv20rocsparse_direction_T4_S4_PKS4_S6_NS_24const_host_device_scalarIT5_EEPKT3_S6_PKS8_SC_S6_SE_S9_SC_S6_SE_SC_PS4_PS8_21rocsparse_index_base_SH_SH_SH_bbb ; -- Begin function _ZN9rocsparseL27bsrgemm_fill_wf_per_row_2x2ILj256ELj16ELj16ELj137Eli21rocsparse_complex_numIfEEEv20rocsparse_direction_T4_S4_PKS4_S6_NS_24const_host_device_scalarIT5_EEPKT3_S6_PKS8_SC_S6_SE_S9_SC_S6_SE_SC_PS4_PS8_21rocsparse_index_base_SH_SH_SH_bbb
	.p2align	8
	.type	_ZN9rocsparseL27bsrgemm_fill_wf_per_row_2x2ILj256ELj16ELj16ELj137Eli21rocsparse_complex_numIfEEEv20rocsparse_direction_T4_S4_PKS4_S6_NS_24const_host_device_scalarIT5_EEPKT3_S6_PKS8_SC_S6_SE_S9_SC_S6_SE_SC_PS4_PS8_21rocsparse_index_base_SH_SH_SH_bbb,@function
_ZN9rocsparseL27bsrgemm_fill_wf_per_row_2x2ILj256ELj16ELj16ELj137Eli21rocsparse_complex_numIfEEEv20rocsparse_direction_T4_S4_PKS4_S6_NS_24const_host_device_scalarIT5_EEPKT3_S6_PKS8_SC_S6_SE_S9_SC_S6_SE_SC_PS4_PS8_21rocsparse_index_base_SH_SH_SH_bbb: ; @_ZN9rocsparseL27bsrgemm_fill_wf_per_row_2x2ILj256ELj16ELj16ELj137Eli21rocsparse_complex_numIfEEEv20rocsparse_direction_T4_S4_PKS4_S6_NS_24const_host_device_scalarIT5_EEPKT3_S6_PKS8_SC_S6_SE_S9_SC_S6_SE_SC_PS4_PS8_21rocsparse_index_base_SH_SH_SH_bbb
; %bb.0:
	s_load_dwordx8 s[8:15], s[4:5], 0x68
	s_load_dwordx8 s[16:23], s[4:5], 0x48
	s_load_dword s2, s[4:5], 0xa0
	s_load_dwordx4 s[40:43], s[4:5], 0x10
	s_load_dwordx8 s[24:31], s[4:5], 0x28
	s_load_dwordx2 s[34:35], s[4:5], 0x88
	s_load_dwordx4 s[36:39], s[4:5], 0x90
	s_waitcnt lgkmcnt(0)
	s_bitcmp1_b32 s2, 0
	s_cselect_b64 s[48:49], -1, 0
	s_bitcmp1_b32 s2, 16
	s_cselect_b64 s[0:1], -1, 0
	s_xor_b64 s[0:1], s[0:1], -1
	v_cndmask_b32_e64 v1, 0, 1, s[0:1]
	s_mov_b32 s45, 0
	s_bitcmp0_b32 s2, 0
	v_cmp_ne_u32_e64 s[0:1], 1, v1
	s_mov_b32 s56, 0
	s_cbranch_scc1 .LBB208_5
; %bb.1:
	s_load_dwordx2 s[44:45], s[4:5], 0x20
	s_and_b64 vcc, exec, s[0:1]
	s_waitcnt lgkmcnt(0)
	s_mov_b32 s56, s44
	s_cbranch_vccnz .LBB208_3
; %bb.2:
	s_load_dword s56, s[44:45], 0x0
.LBB208_3:
	s_and_b64 vcc, exec, s[0:1]
	s_cbranch_vccnz .LBB208_5
; %bb.4:
	s_load_dword s45, s[44:45], 0x4
.LBB208_5:
	s_bitcmp1_b32 s2, 8
	s_cselect_b64 s[46:47], -1, 0
	s_bfe_u32 s2, s2, 0x10008
	s_mov_b32 s44, 0
	s_cmp_eq_u32 s2, 0
	s_mov_b32 s33, 0
	s_cbranch_scc1 .LBB208_11
; %bb.6:
	s_and_b64 vcc, exec, s[0:1]
	s_mov_b32 s33, s20
	s_cbranch_vccnz .LBB208_8
; %bb.7:
	s_load_dword s33, s[20:21], 0x0
.LBB208_8:
	s_and_b64 vcc, exec, s[0:1]
	s_cbranch_vccnz .LBB208_10
; %bb.9:
	s_load_dword s21, s[20:21], 0x4
.LBB208_10:
	s_waitcnt lgkmcnt(0)
	s_mov_b32 s44, s21
.LBB208_11:
	s_load_dwordx4 s[0:3], s[4:5], 0x0
	v_and_b32_e32 v18, 15, v0
	v_lshrrev_b32_e32 v2, 4, v0
	v_and_b32_e32 v0, 0xf0, v0
	v_mov_b32_e32 v1, 0x2000
	v_lshl_or_b32 v20, v0, 2, v1
	v_lshl_or_b32 v21, v18, 2, v20
	s_waitcnt lgkmcnt(0)
	v_mov_b32_e32 v0, s2
	ds_write_b32 v21, v0
	v_lshlrev_b32_e32 v0, 3, v18
	v_lshl_or_b32 v4, v2, 9, v0
	v_mov_b32_e32 v0, 0
	v_or_b32_e32 v3, -16, v18
	s_mov_b64 s[4:5], 0
	v_mov_b32_e32 v1, v0
.LBB208_12:                             ; =>This Inner Loop Header: Depth=1
	v_add_u32_e32 v3, 16, v3
	v_cmp_lt_u32_e32 vcc, 47, v3
	ds_write_b64 v4, v[0:1]
	s_or_b64 s[4:5], vcc, s[4:5]
	v_add_u32_e32 v4, 0x80, v4
	s_andn2_b64 exec, exec, s[4:5]
	s_cbranch_execnz .LBB208_12
; %bb.13:
	s_or_b64 exec, exec, s[4:5]
	v_lshl_or_b32 v0, s6, 4, v2
	v_cmp_gt_i32_e32 vcc, s1, v0
	s_waitcnt lgkmcnt(0)
	s_barrier
	s_and_saveexec_b64 s[4:5], vcc
	s_cbranch_execz .LBB208_127
; %bb.14:
	s_cmp_eq_u64 s[42:43], 0
	s_cbranch_scc1 .LBB208_16
; %bb.15:
	s_load_dword s1, s[40:41], 0x0
	v_mov_b32_e32 v3, s43
	s_waitcnt lgkmcnt(0)
	v_add_u32_e32 v0, s1, v0
	v_ashrrev_i32_e32 v1, 31, v0
	v_lshlrev_b64 v[0:1], 2, v[0:1]
	v_add_co_u32_e32 v0, vcc, s42, v0
	v_addc_co_u32_e32 v1, vcc, v3, v1, vcc
	global_load_dword v0, v[0:1], off
.LBB208_16:
	s_waitcnt vmcnt(0)
	v_ashrrev_i32_e32 v1, 31, v0
	v_lshlrev_b32_e32 v19, 9, v2
	s_andn2_b64 vcc, exec, s[48:49]
	v_lshlrev_b64 v[4:5], 3, v[0:1]
	s_cbranch_vccnz .LBB208_72
; %bb.17:
	v_mov_b32_e32 v1, s25
	v_add_co_u32_e32 v0, vcc, s24, v4
	v_addc_co_u32_e32 v1, vcc, v1, v5, vcc
	global_load_dwordx4 v[0:3], v[0:1], off
	v_subrev_co_u32_e32 v8, vcc, s36, v18
	v_subb_co_u32_e64 v9, s[4:5], 0, 0, vcc
	s_mov_b32 s1, 0
	s_waitcnt vmcnt(0)
	v_subrev_co_u32_e32 v6, vcc, s36, v2
	v_subbrev_co_u32_e32 v7, vcc, 0, v3, vcc
	v_add_co_u32_e32 v8, vcc, v0, v8
	v_addc_co_u32_e32 v9, vcc, v1, v9, vcc
	v_cmp_lt_i64_e32 vcc, v[8:9], v[6:7]
	s_and_saveexec_b64 s[4:5], vcc
	s_cbranch_execz .LBB208_71
; %bb.18:
	s_cmp_eq_u32 s0, 0
	s_mov_b32 s3, s37
	s_cselect_b32 s57, 2, 1
	s_cselect_b32 s58, 1, 2
	v_add_u32_e32 v22, 8, v19
	v_add_u32_e32 v23, 16, v19
	v_add_u32_e32 v24, 24, v19
	s_mov_b64 s[6:7], 0
	v_mov_b32_e32 v25, s27
	v_mov_b32_e32 v26, s31
	s_branch .LBB208_20
.LBB208_19:                             ;   in Loop: Header=BB208_20 Depth=1
	s_or_b64 exec, exec, s[20:21]
	v_add_co_u32_e32 v8, vcc, 16, v8
	v_addc_co_u32_e32 v9, vcc, 0, v9, vcc
	v_cmp_ge_i64_e32 vcc, v[8:9], v[6:7]
	s_or_b64 s[6:7], vcc, s[6:7]
	s_andn2_b64 exec, exec, s[6:7]
	s_cbranch_execz .LBB208_71
.LBB208_20:                             ; =>This Loop Header: Depth=1
                                        ;     Child Loop BB208_23 Depth 2
                                        ;       Child Loop BB208_25 Depth 3
                                        ;       Child Loop BB208_37 Depth 3
	;; [unrolled: 1-line block ×4, first 2 shown]
	v_lshlrev_b64 v[10:11], 2, v[8:9]
	v_add_co_u32_e32 v0, vcc, s26, v10
	v_addc_co_u32_e32 v1, vcc, v25, v11, vcc
	global_load_dword v0, v[0:1], off
	s_waitcnt vmcnt(0)
	v_subrev_u32_e32 v0, s36, v0
	v_ashrrev_i32_e32 v1, 31, v0
	v_lshlrev_b64 v[0:1], 3, v[0:1]
	v_add_co_u32_e32 v0, vcc, s30, v0
	v_addc_co_u32_e32 v1, vcc, v26, v1, vcc
	global_load_dwordx4 v[0:3], v[0:1], off
	s_waitcnt vmcnt(0)
	v_cmp_lt_i64_e32 vcc, v[0:1], v[2:3]
	s_and_saveexec_b64 s[20:21], vcc
	s_cbranch_execz .LBB208_19
; %bb.21:                               ;   in Loop: Header=BB208_20 Depth=1
	v_lshlrev_b64 v[12:13], 5, v[8:9]
	v_mov_b32_e32 v27, s29
	v_add_co_u32_e32 v12, vcc, s28, v12
	v_or_b32_e32 v17, 0, v11
	v_or_b32_e32 v16, s57, v10
	v_addc_co_u32_e32 v13, vcc, v27, v13, vcc
	v_lshlrev_b64 v[16:17], 3, v[16:17]
	v_add_co_u32_e32 v16, vcc, s28, v16
	v_or_b32_e32 v11, 0, v11
	v_or_b32_e32 v10, s58, v10
	v_addc_co_u32_e32 v17, vcc, v27, v17, vcc
	v_lshlrev_b64 v[10:11], 3, v[10:11]
	v_add_co_u32_e32 v10, vcc, s28, v10
	global_load_dwordx2 v[14:15], v[12:13], off
	v_addc_co_u32_e32 v11, vcc, v27, v11, vcc
	global_load_dwordx2 v[36:37], v[16:17], off
	global_load_dwordx2 v[38:39], v[10:11], off
	global_load_dwordx2 v[40:41], v[12:13], off offset:24
	v_mov_b32_e32 v10, s1
	v_subrev_co_u32_e32 v2, vcc, s3, v2
	v_subb_co_u32_e32 v3, vcc, v3, v10, vcc
	v_subrev_co_u32_e32 v0, vcc, s3, v0
	v_subb_co_u32_e32 v1, vcc, v1, v10, vcc
	s_mov_b64 s[24:25], 0
	s_waitcnt vmcnt(3)
	v_mul_f32_e64 v27, v15, -s45
	v_mul_f32_e32 v28, s56, v15
	s_waitcnt vmcnt(2)
	v_mul_f32_e64 v29, v37, -s45
	v_mul_f32_e32 v30, s56, v37
	s_waitcnt vmcnt(0)
	v_mul_f32_e32 v31, s56, v41
	v_mul_f32_e64 v32, v41, -s45
	v_mul_f32_e32 v33, s56, v39
	v_mul_f32_e64 v34, v39, -s45
	v_fmac_f32_e32 v27, s56, v14
	v_fmac_f32_e32 v28, s45, v14
	;; [unrolled: 1-line block ×8, first 2 shown]
	s_branch .LBB208_23
.LBB208_22:                             ;   in Loop: Header=BB208_23 Depth=2
	s_or_b64 exec, exec, s[40:41]
	v_add_co_u32_e32 v0, vcc, 1, v0
	v_addc_co_u32_e32 v1, vcc, 0, v1, vcc
	v_cmp_ge_i64_e32 vcc, v[0:1], v[2:3]
	s_or_b64 s[24:25], vcc, s[24:25]
	s_andn2_b64 exec, exec, s[24:25]
	s_cbranch_execz .LBB208_19
.LBB208_23:                             ;   Parent Loop BB208_20 Depth=1
                                        ; =>  This Loop Header: Depth=2
                                        ;       Child Loop BB208_25 Depth 3
                                        ;       Child Loop BB208_37 Depth 3
	;; [unrolled: 1-line block ×4, first 2 shown]
	v_lshlrev_b64 v[10:11], 2, v[0:1]
	v_mov_b32_e32 v13, s17
	v_add_co_u32_e32 v12, vcc, s16, v10
	v_addc_co_u32_e32 v13, vcc, v13, v11, vcc
	global_load_dword v35, v[12:13], off
	v_or_b32_e32 v13, 0, v11
	v_or_b32_e32 v12, s58, v10
	;; [unrolled: 1-line block ×4, first 2 shown]
	v_lshlrev_b64 v[10:11], 3, v[10:11]
	v_mov_b32_e32 v38, s19
	v_add_co_u32_e32 v10, vcc, s18, v10
	v_lshlrev_b64 v[14:15], 5, v[0:1]
	v_addc_co_u32_e32 v11, vcc, v38, v11, vcc
	v_add_co_u32_e32 v36, vcc, s18, v14
	global_load_dwordx2 v[16:17], v[10:11], off
	v_addc_co_u32_e32 v37, vcc, v38, v15, vcc
	global_load_dwordx2 v[14:15], v[36:37], off
	v_lshlrev_b64 v[10:11], 3, v[12:13]
	v_add_co_u32_e32 v10, vcc, s18, v10
	v_addc_co_u32_e32 v11, vcc, v38, v11, vcc
	global_load_dwordx2 v[10:11], v[10:11], off
	s_nop 0
	global_load_dwordx2 v[12:13], v[36:37], off offset:24
	s_mov_b64 s[40:41], 0
	s_waitcnt vmcnt(4)
	v_subrev_u32_e32 v35, s37, v35
	v_lshl_add_u32 v36, v35, 3, v35
	v_and_b32_e32 v36, 15, v36
	v_mov_b32_e32 v39, v36
	s_waitcnt vmcnt(3)
	v_mul_f32_e64 v38, v17, -v33
	v_mul_f32_e32 v37, v34, v17
	v_fmac_f32_e32 v38, v34, v16
	v_fmac_f32_e32 v37, v33, v16
	s_waitcnt vmcnt(2)
	v_fmac_f32_e32 v38, v27, v14
	v_fmac_f32_e32 v37, v28, v14
	v_fma_f32 v38, -v28, v15, v38
	v_fmac_f32_e32 v37, v27, v15
	s_branch .LBB208_25
.LBB208_24:                             ;   in Loop: Header=BB208_25 Depth=3
	s_or_b64 exec, exec, s[42:43]
	s_xor_b64 s[42:43], s[48:49], -1
	s_and_b64 s[42:43], exec, s[42:43]
	s_or_b64 s[40:41], s[42:43], s[40:41]
	s_andn2_b64 exec, exec, s[40:41]
	s_cbranch_execz .LBB208_35
.LBB208_25:                             ;   Parent Loop BB208_20 Depth=1
                                        ;     Parent Loop BB208_23 Depth=2
                                        ; =>    This Inner Loop Header: Depth=3
	v_lshl_add_u32 v40, v39, 2, v20
	ds_read_b32 v41, v40
                                        ; implicit-def: $sgpr48_sgpr49
	s_waitcnt lgkmcnt(0)
	v_cmp_ne_u32_e32 vcc, v41, v35
	s_and_saveexec_b64 s[42:43], vcc
	s_xor_b64 s[42:43], exec, s[42:43]
	s_cbranch_execz .LBB208_33
; %bb.26:                               ;   in Loop: Header=BB208_25 Depth=3
	v_cmp_ne_u32_e32 vcc, s2, v41
                                        ; implicit-def: $sgpr48_sgpr49
	s_and_saveexec_b64 s[50:51], vcc
	s_xor_b64 s[50:51], exec, s[50:51]
; %bb.27:                               ;   in Loop: Header=BB208_25 Depth=3
	v_add_u32_e32 v39, 1, v39
	v_and_b32_e32 v39, 15, v39
	s_mov_b64 s[48:49], -1
                                        ; implicit-def: $vgpr40
; %bb.28:                               ;   in Loop: Header=BB208_25 Depth=3
	s_andn2_saveexec_b64 s[50:51], s[50:51]
	s_cbranch_execz .LBB208_32
; %bb.29:                               ;   in Loop: Header=BB208_25 Depth=3
	v_mov_b32_e32 v41, s2
	ds_cmpst_rtn_b32 v40, v40, v41, v35
	s_mov_b64 s[52:53], -1
	s_waitcnt lgkmcnt(0)
	v_cmp_eq_u32_e32 vcc, s2, v40
	s_and_saveexec_b64 s[54:55], vcc
	s_cbranch_execz .LBB208_31
; %bb.30:                               ;   in Loop: Header=BB208_25 Depth=3
	v_lshl_add_u32 v40, v39, 5, v19
	ds_add_f32 v40, v38
	ds_add_f32 v40, v37 offset:4
	s_xor_b64 s[52:53], exec, -1
.LBB208_31:                             ;   in Loop: Header=BB208_25 Depth=3
	s_or_b64 exec, exec, s[54:55]
	s_andn2_b64 s[48:49], s[48:49], exec
	s_and_b64 s[52:53], s[52:53], exec
	s_or_b64 s[48:49], s[48:49], s[52:53]
.LBB208_32:                             ;   in Loop: Header=BB208_25 Depth=3
	s_or_b64 exec, exec, s[50:51]
	s_and_b64 s[48:49], s[48:49], exec
.LBB208_33:                             ;   in Loop: Header=BB208_25 Depth=3
	s_andn2_saveexec_b64 s[42:43], s[42:43]
	s_cbranch_execz .LBB208_24
; %bb.34:                               ;   in Loop: Header=BB208_25 Depth=3
	v_lshl_add_u32 v40, v39, 5, v19
	ds_add_f32 v40, v38
	ds_add_f32 v40, v37 offset:4
	s_andn2_b64 s[48:49], s[48:49], exec
	s_branch .LBB208_24
.LBB208_35:                             ;   in Loop: Header=BB208_23 Depth=2
	s_or_b64 exec, exec, s[40:41]
	s_waitcnt vmcnt(0)
	v_mul_f32_e64 v38, v13, -v33
	v_mul_f32_e32 v37, v34, v13
	v_fmac_f32_e32 v38, v34, v12
	v_fmac_f32_e32 v37, v33, v12
	;; [unrolled: 1-line block ×4, first 2 shown]
	v_fma_f32 v38, -v28, v11, v38
	v_fmac_f32_e32 v37, v27, v11
	s_mov_b64 s[40:41], 0
	v_mov_b32_e32 v39, v36
	s_branch .LBB208_37
.LBB208_36:                             ;   in Loop: Header=BB208_37 Depth=3
	s_or_b64 exec, exec, s[42:43]
	s_xor_b64 s[42:43], s[48:49], -1
	s_and_b64 s[42:43], exec, s[42:43]
	s_or_b64 s[40:41], s[42:43], s[40:41]
	s_andn2_b64 exec, exec, s[40:41]
	s_cbranch_execz .LBB208_47
.LBB208_37:                             ;   Parent Loop BB208_20 Depth=1
                                        ;     Parent Loop BB208_23 Depth=2
                                        ; =>    This Inner Loop Header: Depth=3
	v_lshl_add_u32 v40, v39, 2, v20
	ds_read_b32 v41, v40
                                        ; implicit-def: $sgpr48_sgpr49
	s_waitcnt lgkmcnt(0)
	v_cmp_ne_u32_e32 vcc, v41, v35
	s_and_saveexec_b64 s[42:43], vcc
	s_xor_b64 s[42:43], exec, s[42:43]
	s_cbranch_execz .LBB208_45
; %bb.38:                               ;   in Loop: Header=BB208_37 Depth=3
	v_cmp_ne_u32_e32 vcc, s2, v41
                                        ; implicit-def: $sgpr48_sgpr49
	s_and_saveexec_b64 s[50:51], vcc
	s_xor_b64 s[50:51], exec, s[50:51]
; %bb.39:                               ;   in Loop: Header=BB208_37 Depth=3
	v_add_u32_e32 v39, 1, v39
	v_and_b32_e32 v39, 15, v39
	s_mov_b64 s[48:49], -1
                                        ; implicit-def: $vgpr40
; %bb.40:                               ;   in Loop: Header=BB208_37 Depth=3
	s_andn2_saveexec_b64 s[50:51], s[50:51]
	s_cbranch_execz .LBB208_44
; %bb.41:                               ;   in Loop: Header=BB208_37 Depth=3
	v_mov_b32_e32 v41, s2
	ds_cmpst_rtn_b32 v40, v40, v41, v35
	s_mov_b64 s[52:53], -1
	s_waitcnt lgkmcnt(0)
	v_cmp_eq_u32_e32 vcc, s2, v40
	s_and_saveexec_b64 s[54:55], vcc
	s_cbranch_execz .LBB208_43
; %bb.42:                               ;   in Loop: Header=BB208_37 Depth=3
	v_lshl_add_u32 v40, v39, 5, v22
	ds_add_f32 v40, v38
	ds_add_f32 v40, v37 offset:4
	s_xor_b64 s[52:53], exec, -1
.LBB208_43:                             ;   in Loop: Header=BB208_37 Depth=3
	s_or_b64 exec, exec, s[54:55]
	s_andn2_b64 s[48:49], s[48:49], exec
	s_and_b64 s[52:53], s[52:53], exec
	s_or_b64 s[48:49], s[48:49], s[52:53]
.LBB208_44:                             ;   in Loop: Header=BB208_37 Depth=3
	s_or_b64 exec, exec, s[50:51]
	s_and_b64 s[48:49], s[48:49], exec
.LBB208_45:                             ;   in Loop: Header=BB208_37 Depth=3
	s_andn2_saveexec_b64 s[42:43], s[42:43]
	s_cbranch_execz .LBB208_36
; %bb.46:                               ;   in Loop: Header=BB208_37 Depth=3
	v_lshl_add_u32 v40, v39, 5, v22
	ds_add_f32 v40, v38
	ds_add_f32 v40, v37 offset:4
	s_andn2_b64 s[48:49], s[48:49], exec
	s_branch .LBB208_36
.LBB208_47:                             ;   in Loop: Header=BB208_23 Depth=2
	s_or_b64 exec, exec, s[40:41]
	v_mul_f32_e64 v37, v17, -v31
	v_mul_f32_e32 v17, v32, v17
	v_fmac_f32_e32 v37, v32, v16
	v_fmac_f32_e32 v17, v31, v16
	;; [unrolled: 1-line block ×4, first 2 shown]
	v_fma_f32 v16, -v30, v15, v37
	v_fmac_f32_e32 v17, v29, v15
	s_mov_b64 s[40:41], 0
	v_mov_b32_e32 v14, v36
	s_branch .LBB208_49
.LBB208_48:                             ;   in Loop: Header=BB208_49 Depth=3
	s_or_b64 exec, exec, s[42:43]
	s_xor_b64 s[42:43], s[48:49], -1
	s_and_b64 s[42:43], exec, s[42:43]
	s_or_b64 s[40:41], s[42:43], s[40:41]
	s_andn2_b64 exec, exec, s[40:41]
	s_cbranch_execz .LBB208_59
.LBB208_49:                             ;   Parent Loop BB208_20 Depth=1
                                        ;     Parent Loop BB208_23 Depth=2
                                        ; =>    This Inner Loop Header: Depth=3
	v_lshl_add_u32 v15, v14, 2, v20
	ds_read_b32 v37, v15
                                        ; implicit-def: $sgpr48_sgpr49
	s_waitcnt lgkmcnt(0)
	v_cmp_ne_u32_e32 vcc, v37, v35
	s_and_saveexec_b64 s[42:43], vcc
	s_xor_b64 s[42:43], exec, s[42:43]
	s_cbranch_execz .LBB208_57
; %bb.50:                               ;   in Loop: Header=BB208_49 Depth=3
	v_cmp_ne_u32_e32 vcc, s2, v37
                                        ; implicit-def: $sgpr48_sgpr49
	s_and_saveexec_b64 s[50:51], vcc
	s_xor_b64 s[50:51], exec, s[50:51]
; %bb.51:                               ;   in Loop: Header=BB208_49 Depth=3
	v_add_u32_e32 v14, 1, v14
	v_and_b32_e32 v14, 15, v14
	s_mov_b64 s[48:49], -1
                                        ; implicit-def: $vgpr15
; %bb.52:                               ;   in Loop: Header=BB208_49 Depth=3
	s_andn2_saveexec_b64 s[50:51], s[50:51]
	s_cbranch_execz .LBB208_56
; %bb.53:                               ;   in Loop: Header=BB208_49 Depth=3
	v_mov_b32_e32 v37, s2
	ds_cmpst_rtn_b32 v15, v15, v37, v35
	s_mov_b64 s[52:53], -1
	s_waitcnt lgkmcnt(0)
	v_cmp_eq_u32_e32 vcc, s2, v15
	s_and_saveexec_b64 s[54:55], vcc
	s_cbranch_execz .LBB208_55
; %bb.54:                               ;   in Loop: Header=BB208_49 Depth=3
	v_lshl_add_u32 v15, v14, 5, v23
	ds_add_f32 v15, v16
	ds_add_f32 v15, v17 offset:4
	s_xor_b64 s[52:53], exec, -1
.LBB208_55:                             ;   in Loop: Header=BB208_49 Depth=3
	s_or_b64 exec, exec, s[54:55]
	s_andn2_b64 s[48:49], s[48:49], exec
	s_and_b64 s[52:53], s[52:53], exec
	s_or_b64 s[48:49], s[48:49], s[52:53]
.LBB208_56:                             ;   in Loop: Header=BB208_49 Depth=3
	s_or_b64 exec, exec, s[50:51]
	s_and_b64 s[48:49], s[48:49], exec
.LBB208_57:                             ;   in Loop: Header=BB208_49 Depth=3
	s_andn2_saveexec_b64 s[42:43], s[42:43]
	s_cbranch_execz .LBB208_48
; %bb.58:                               ;   in Loop: Header=BB208_49 Depth=3
	v_lshl_add_u32 v15, v14, 5, v23
	ds_add_f32 v15, v16
	ds_add_f32 v15, v17 offset:4
	s_andn2_b64 s[48:49], s[48:49], exec
	s_branch .LBB208_48
.LBB208_59:                             ;   in Loop: Header=BB208_23 Depth=2
	s_or_b64 exec, exec, s[40:41]
	v_mul_f32_e64 v14, v13, -v31
	v_mul_f32_e32 v13, v32, v13
	v_fmac_f32_e32 v14, v32, v12
	v_fmac_f32_e32 v13, v31, v12
	;; [unrolled: 1-line block ×4, first 2 shown]
	v_fma_f32 v12, -v30, v11, v14
	v_fmac_f32_e32 v13, v29, v11
	s_mov_b64 s[40:41], 0
	s_branch .LBB208_61
.LBB208_60:                             ;   in Loop: Header=BB208_61 Depth=3
	s_or_b64 exec, exec, s[42:43]
	s_xor_b64 s[42:43], s[48:49], -1
	s_and_b64 s[42:43], exec, s[42:43]
	s_or_b64 s[40:41], s[42:43], s[40:41]
	s_andn2_b64 exec, exec, s[40:41]
	s_cbranch_execz .LBB208_22
.LBB208_61:                             ;   Parent Loop BB208_20 Depth=1
                                        ;     Parent Loop BB208_23 Depth=2
                                        ; =>    This Inner Loop Header: Depth=3
	v_lshl_add_u32 v10, v36, 2, v20
	ds_read_b32 v11, v10
                                        ; implicit-def: $sgpr48_sgpr49
	s_waitcnt lgkmcnt(0)
	v_cmp_ne_u32_e32 vcc, v11, v35
	s_and_saveexec_b64 s[42:43], vcc
	s_xor_b64 s[42:43], exec, s[42:43]
	s_cbranch_execz .LBB208_69
; %bb.62:                               ;   in Loop: Header=BB208_61 Depth=3
	v_cmp_ne_u32_e32 vcc, s2, v11
                                        ; implicit-def: $sgpr48_sgpr49
	s_and_saveexec_b64 s[50:51], vcc
	s_xor_b64 s[50:51], exec, s[50:51]
; %bb.63:                               ;   in Loop: Header=BB208_61 Depth=3
	v_add_u32_e32 v10, 1, v36
	v_and_b32_e32 v36, 15, v10
	s_mov_b64 s[48:49], -1
                                        ; implicit-def: $vgpr10
; %bb.64:                               ;   in Loop: Header=BB208_61 Depth=3
	s_andn2_saveexec_b64 s[50:51], s[50:51]
	s_cbranch_execz .LBB208_68
; %bb.65:                               ;   in Loop: Header=BB208_61 Depth=3
	v_mov_b32_e32 v11, s2
	ds_cmpst_rtn_b32 v10, v10, v11, v35
	s_mov_b64 s[52:53], -1
	s_waitcnt lgkmcnt(0)
	v_cmp_eq_u32_e32 vcc, s2, v10
	s_and_saveexec_b64 s[54:55], vcc
	s_cbranch_execz .LBB208_67
; %bb.66:                               ;   in Loop: Header=BB208_61 Depth=3
	v_lshl_add_u32 v10, v36, 5, v24
	ds_add_f32 v10, v12
	ds_add_f32 v10, v13 offset:4
	s_xor_b64 s[52:53], exec, -1
.LBB208_67:                             ;   in Loop: Header=BB208_61 Depth=3
	s_or_b64 exec, exec, s[54:55]
	s_andn2_b64 s[48:49], s[48:49], exec
	s_and_b64 s[52:53], s[52:53], exec
	s_or_b64 s[48:49], s[48:49], s[52:53]
.LBB208_68:                             ;   in Loop: Header=BB208_61 Depth=3
	s_or_b64 exec, exec, s[50:51]
	s_and_b64 s[48:49], s[48:49], exec
.LBB208_69:                             ;   in Loop: Header=BB208_61 Depth=3
	s_andn2_saveexec_b64 s[42:43], s[42:43]
	s_cbranch_execz .LBB208_60
; %bb.70:                               ;   in Loop: Header=BB208_61 Depth=3
	v_lshl_add_u32 v10, v36, 5, v24
	ds_add_f32 v10, v12
	ds_add_f32 v10, v13 offset:4
	s_andn2_b64 s[48:49], s[48:49], exec
	s_branch .LBB208_60
.LBB208_71:
	s_or_b64 exec, exec, s[4:5]
.LBB208_72:
	s_andn2_b64 vcc, exec, s[46:47]
	s_waitcnt lgkmcnt(0)
	s_cbranch_vccnz .LBB208_125
; %bb.73:
	v_mov_b32_e32 v1, s23
	v_add_co_u32_e32 v0, vcc, s22, v4
	v_addc_co_u32_e32 v1, vcc, v1, v5, vcc
	global_load_dwordx4 v[6:9], v[0:1], off
	v_subrev_co_u32_e32 v2, vcc, s39, v18
	v_subb_co_u32_e64 v3, s[4:5], 0, 0, vcc
	s_waitcnt vmcnt(0)
	v_subrev_co_u32_e32 v0, vcc, s39, v8
	v_subbrev_co_u32_e32 v1, vcc, 0, v9, vcc
	v_add_co_u32_e32 v2, vcc, v6, v2
	v_addc_co_u32_e32 v3, vcc, v7, v3, vcc
	v_cmp_lt_i64_e32 vcc, v[2:3], v[0:1]
	s_and_saveexec_b64 s[4:5], vcc
	s_cbranch_execz .LBB208_124
; %bb.74:
	s_cmp_eq_u32 s0, 0
	s_cselect_b32 s1, 1, 2
	s_cselect_b32 s3, 2, 1
	v_add_u32_e32 v12, 8, v19
	v_add_u32_e32 v13, 16, v19
	;; [unrolled: 1-line block ×3, first 2 shown]
	s_mov_b64 s[6:7], 0
	v_mov_b32_e32 v15, s11
	v_mov_b32_e32 v16, s9
	s_branch .LBB208_76
.LBB208_75:                             ;   in Loop: Header=BB208_76 Depth=1
	s_or_b64 exec, exec, s[16:17]
	v_add_co_u32_e32 v2, vcc, 16, v2
	v_addc_co_u32_e32 v3, vcc, 0, v3, vcc
	v_cmp_ge_i64_e32 vcc, v[2:3], v[0:1]
	s_or_b64 s[6:7], vcc, s[6:7]
	s_andn2_b64 exec, exec, s[6:7]
	s_cbranch_execz .LBB208_124
.LBB208_76:                             ; =>This Loop Header: Depth=1
                                        ;     Child Loop BB208_78 Depth 2
                                        ;     Child Loop BB208_90 Depth 2
	;; [unrolled: 1-line block ×4, first 2 shown]
	v_lshlrev_b64 v[8:9], 5, v[2:3]
	v_lshlrev_b64 v[6:7], 2, v[2:3]
	v_add_co_u32_e32 v22, vcc, s10, v8
	v_addc_co_u32_e32 v23, vcc, v15, v9, vcc
	v_or_b32_e32 v9, 0, v7
	v_or_b32_e32 v8, s1, v6
	v_lshlrev_b64 v[8:9], 3, v[8:9]
	v_add_co_u32_e32 v24, vcc, s10, v8
	v_addc_co_u32_e32 v25, vcc, v15, v9, vcc
	v_or_b32_e32 v8, s3, v6
	v_add_co_u32_e32 v6, vcc, s8, v6
	v_or_b32_e32 v9, 0, v7
	v_addc_co_u32_e32 v7, vcc, v16, v7, vcc
	global_load_dword v17, v[6:7], off
	v_lshlrev_b64 v[8:9], 3, v[8:9]
	global_load_dwordx2 v[26:27], v[22:23], off
	v_add_co_u32_e32 v28, vcc, s10, v8
	v_addc_co_u32_e32 v29, vcc, v15, v9, vcc
	global_load_dwordx2 v[6:7], v[22:23], off offset:24
	global_load_dwordx2 v[10:11], v[24:25], off
	global_load_dwordx2 v[8:9], v[28:29], off
	s_mov_b64 s[16:17], 0
	s_waitcnt vmcnt(4)
	v_subrev_u32_e32 v17, s39, v17
	v_lshl_add_u32 v22, v17, 3, v17
	s_waitcnt vmcnt(3)
	v_mul_f32_e64 v23, v27, -s44
	v_mul_f32_e32 v24, s33, v27
	v_and_b32_e32 v22, 15, v22
	v_fmac_f32_e32 v23, s33, v26
	v_fmac_f32_e32 v24, s44, v26
	v_mov_b32_e32 v25, v22
	s_branch .LBB208_78
.LBB208_77:                             ;   in Loop: Header=BB208_78 Depth=2
	s_or_b64 exec, exec, s[18:19]
	s_xor_b64 s[18:19], s[20:21], -1
	s_and_b64 s[18:19], exec, s[18:19]
	s_or_b64 s[16:17], s[18:19], s[16:17]
	s_andn2_b64 exec, exec, s[16:17]
	s_cbranch_execz .LBB208_88
.LBB208_78:                             ;   Parent Loop BB208_76 Depth=1
                                        ; =>  This Inner Loop Header: Depth=2
	v_lshl_add_u32 v26, v25, 2, v20
	ds_read_b32 v27, v26
                                        ; implicit-def: $sgpr20_sgpr21
	s_waitcnt lgkmcnt(0)
	v_cmp_ne_u32_e32 vcc, v27, v17
	s_and_saveexec_b64 s[18:19], vcc
	s_xor_b64 s[18:19], exec, s[18:19]
	s_cbranch_execz .LBB208_86
; %bb.79:                               ;   in Loop: Header=BB208_78 Depth=2
	v_cmp_ne_u32_e32 vcc, s2, v27
                                        ; implicit-def: $sgpr20_sgpr21
	s_and_saveexec_b64 s[22:23], vcc
	s_xor_b64 s[22:23], exec, s[22:23]
; %bb.80:                               ;   in Loop: Header=BB208_78 Depth=2
	v_add_u32_e32 v25, 1, v25
	v_and_b32_e32 v25, 15, v25
	s_mov_b64 s[20:21], -1
                                        ; implicit-def: $vgpr26
; %bb.81:                               ;   in Loop: Header=BB208_78 Depth=2
	s_andn2_saveexec_b64 s[22:23], s[22:23]
	s_cbranch_execz .LBB208_85
; %bb.82:                               ;   in Loop: Header=BB208_78 Depth=2
	v_mov_b32_e32 v27, s2
	ds_cmpst_rtn_b32 v26, v26, v27, v17
	s_mov_b64 s[24:25], -1
	s_waitcnt lgkmcnt(0)
	v_cmp_eq_u32_e32 vcc, s2, v26
	s_and_saveexec_b64 s[26:27], vcc
	s_cbranch_execz .LBB208_84
; %bb.83:                               ;   in Loop: Header=BB208_78 Depth=2
	v_lshl_add_u32 v26, v25, 5, v19
	ds_add_f32 v26, v23
	ds_add_f32 v26, v24 offset:4
	s_xor_b64 s[24:25], exec, -1
.LBB208_84:                             ;   in Loop: Header=BB208_78 Depth=2
	s_or_b64 exec, exec, s[26:27]
	s_andn2_b64 s[20:21], s[20:21], exec
	s_and_b64 s[24:25], s[24:25], exec
	s_or_b64 s[20:21], s[20:21], s[24:25]
.LBB208_85:                             ;   in Loop: Header=BB208_78 Depth=2
	s_or_b64 exec, exec, s[22:23]
	s_and_b64 s[20:21], s[20:21], exec
.LBB208_86:                             ;   in Loop: Header=BB208_78 Depth=2
	s_andn2_saveexec_b64 s[18:19], s[18:19]
	s_cbranch_execz .LBB208_77
; %bb.87:                               ;   in Loop: Header=BB208_78 Depth=2
	v_lshl_add_u32 v26, v25, 5, v19
	ds_add_f32 v26, v23
	ds_add_f32 v26, v24 offset:4
	s_andn2_b64 s[20:21], s[20:21], exec
	s_branch .LBB208_77
.LBB208_88:                             ;   in Loop: Header=BB208_76 Depth=1
	s_or_b64 exec, exec, s[16:17]
	s_waitcnt vmcnt(1)
	v_mul_f32_e64 v23, v11, -s44
	v_mul_f32_e32 v11, s33, v11
	v_fmac_f32_e32 v23, s33, v10
	v_fmac_f32_e32 v11, s44, v10
	s_mov_b64 s[16:17], 0
	v_mov_b32_e32 v10, v22
	s_branch .LBB208_90
.LBB208_89:                             ;   in Loop: Header=BB208_90 Depth=2
	s_or_b64 exec, exec, s[18:19]
	s_xor_b64 s[18:19], s[20:21], -1
	s_and_b64 s[18:19], exec, s[18:19]
	s_or_b64 s[16:17], s[18:19], s[16:17]
	s_andn2_b64 exec, exec, s[16:17]
	s_cbranch_execz .LBB208_100
.LBB208_90:                             ;   Parent Loop BB208_76 Depth=1
                                        ; =>  This Inner Loop Header: Depth=2
	v_lshl_add_u32 v24, v10, 2, v20
	ds_read_b32 v25, v24
                                        ; implicit-def: $sgpr20_sgpr21
	s_waitcnt lgkmcnt(0)
	v_cmp_ne_u32_e32 vcc, v25, v17
	s_and_saveexec_b64 s[18:19], vcc
	s_xor_b64 s[18:19], exec, s[18:19]
	s_cbranch_execz .LBB208_98
; %bb.91:                               ;   in Loop: Header=BB208_90 Depth=2
	v_cmp_ne_u32_e32 vcc, s2, v25
                                        ; implicit-def: $sgpr20_sgpr21
	s_and_saveexec_b64 s[22:23], vcc
	s_xor_b64 s[22:23], exec, s[22:23]
; %bb.92:                               ;   in Loop: Header=BB208_90 Depth=2
	v_add_u32_e32 v10, 1, v10
	v_and_b32_e32 v10, 15, v10
	s_mov_b64 s[20:21], -1
                                        ; implicit-def: $vgpr24
; %bb.93:                               ;   in Loop: Header=BB208_90 Depth=2
	s_andn2_saveexec_b64 s[22:23], s[22:23]
	s_cbranch_execz .LBB208_97
; %bb.94:                               ;   in Loop: Header=BB208_90 Depth=2
	v_mov_b32_e32 v25, s2
	ds_cmpst_rtn_b32 v24, v24, v25, v17
	s_mov_b64 s[24:25], -1
	s_waitcnt lgkmcnt(0)
	v_cmp_eq_u32_e32 vcc, s2, v24
	s_and_saveexec_b64 s[26:27], vcc
	s_cbranch_execz .LBB208_96
; %bb.95:                               ;   in Loop: Header=BB208_90 Depth=2
	v_lshl_add_u32 v24, v10, 5, v12
	ds_add_f32 v24, v23
	ds_add_f32 v24, v11 offset:4
	s_xor_b64 s[24:25], exec, -1
.LBB208_96:                             ;   in Loop: Header=BB208_90 Depth=2
	s_or_b64 exec, exec, s[26:27]
	s_andn2_b64 s[20:21], s[20:21], exec
	s_and_b64 s[24:25], s[24:25], exec
	s_or_b64 s[20:21], s[20:21], s[24:25]
.LBB208_97:                             ;   in Loop: Header=BB208_90 Depth=2
	s_or_b64 exec, exec, s[22:23]
	s_and_b64 s[20:21], s[20:21], exec
.LBB208_98:                             ;   in Loop: Header=BB208_90 Depth=2
	s_andn2_saveexec_b64 s[18:19], s[18:19]
	s_cbranch_execz .LBB208_89
; %bb.99:                               ;   in Loop: Header=BB208_90 Depth=2
	v_lshl_add_u32 v24, v10, 5, v12
	ds_add_f32 v24, v23
	ds_add_f32 v24, v11 offset:4
	s_andn2_b64 s[20:21], s[20:21], exec
	s_branch .LBB208_89
.LBB208_100:                            ;   in Loop: Header=BB208_76 Depth=1
	s_or_b64 exec, exec, s[16:17]
	s_waitcnt vmcnt(0)
	v_mul_f32_e64 v10, v9, -s44
	v_mul_f32_e32 v9, s33, v9
	v_fmac_f32_e32 v10, s33, v8
	v_fmac_f32_e32 v9, s44, v8
	s_mov_b64 s[16:17], 0
	v_mov_b32_e32 v8, v22
	s_branch .LBB208_102
.LBB208_101:                            ;   in Loop: Header=BB208_102 Depth=2
	s_or_b64 exec, exec, s[18:19]
	s_xor_b64 s[18:19], s[20:21], -1
	s_and_b64 s[18:19], exec, s[18:19]
	s_or_b64 s[16:17], s[18:19], s[16:17]
	s_andn2_b64 exec, exec, s[16:17]
	s_cbranch_execz .LBB208_112
.LBB208_102:                            ;   Parent Loop BB208_76 Depth=1
                                        ; =>  This Inner Loop Header: Depth=2
	v_lshl_add_u32 v11, v8, 2, v20
	ds_read_b32 v23, v11
                                        ; implicit-def: $sgpr20_sgpr21
	s_waitcnt lgkmcnt(0)
	v_cmp_ne_u32_e32 vcc, v23, v17
	s_and_saveexec_b64 s[18:19], vcc
	s_xor_b64 s[18:19], exec, s[18:19]
	s_cbranch_execz .LBB208_110
; %bb.103:                              ;   in Loop: Header=BB208_102 Depth=2
	v_cmp_ne_u32_e32 vcc, s2, v23
                                        ; implicit-def: $sgpr20_sgpr21
	s_and_saveexec_b64 s[22:23], vcc
	s_xor_b64 s[22:23], exec, s[22:23]
; %bb.104:                              ;   in Loop: Header=BB208_102 Depth=2
	v_add_u32_e32 v8, 1, v8
	v_and_b32_e32 v8, 15, v8
	s_mov_b64 s[20:21], -1
                                        ; implicit-def: $vgpr11
; %bb.105:                              ;   in Loop: Header=BB208_102 Depth=2
	s_andn2_saveexec_b64 s[22:23], s[22:23]
	s_cbranch_execz .LBB208_109
; %bb.106:                              ;   in Loop: Header=BB208_102 Depth=2
	v_mov_b32_e32 v23, s2
	ds_cmpst_rtn_b32 v11, v11, v23, v17
	s_mov_b64 s[24:25], -1
	s_waitcnt lgkmcnt(0)
	v_cmp_eq_u32_e32 vcc, s2, v11
	s_and_saveexec_b64 s[26:27], vcc
	s_cbranch_execz .LBB208_108
; %bb.107:                              ;   in Loop: Header=BB208_102 Depth=2
	v_lshl_add_u32 v11, v8, 5, v13
	ds_add_f32 v11, v10
	ds_add_f32 v11, v9 offset:4
	s_xor_b64 s[24:25], exec, -1
.LBB208_108:                            ;   in Loop: Header=BB208_102 Depth=2
	s_or_b64 exec, exec, s[26:27]
	s_andn2_b64 s[20:21], s[20:21], exec
	s_and_b64 s[24:25], s[24:25], exec
	s_or_b64 s[20:21], s[20:21], s[24:25]
.LBB208_109:                            ;   in Loop: Header=BB208_102 Depth=2
	s_or_b64 exec, exec, s[22:23]
	s_and_b64 s[20:21], s[20:21], exec
.LBB208_110:                            ;   in Loop: Header=BB208_102 Depth=2
	s_andn2_saveexec_b64 s[18:19], s[18:19]
	s_cbranch_execz .LBB208_101
; %bb.111:                              ;   in Loop: Header=BB208_102 Depth=2
	v_lshl_add_u32 v11, v8, 5, v13
	ds_add_f32 v11, v10
	ds_add_f32 v11, v9 offset:4
	s_andn2_b64 s[20:21], s[20:21], exec
	s_branch .LBB208_101
.LBB208_112:                            ;   in Loop: Header=BB208_76 Depth=1
	s_or_b64 exec, exec, s[16:17]
	v_mul_f32_e64 v8, v7, -s44
	v_mul_f32_e32 v7, s33, v7
	v_fmac_f32_e32 v8, s33, v6
	v_fmac_f32_e32 v7, s44, v6
	s_mov_b64 s[16:17], 0
	s_branch .LBB208_114
.LBB208_113:                            ;   in Loop: Header=BB208_114 Depth=2
	s_or_b64 exec, exec, s[18:19]
	s_xor_b64 s[18:19], s[20:21], -1
	s_and_b64 s[18:19], exec, s[18:19]
	s_or_b64 s[16:17], s[18:19], s[16:17]
	s_andn2_b64 exec, exec, s[16:17]
	s_cbranch_execz .LBB208_75
.LBB208_114:                            ;   Parent Loop BB208_76 Depth=1
                                        ; =>  This Inner Loop Header: Depth=2
	v_lshl_add_u32 v6, v22, 2, v20
	ds_read_b32 v9, v6
                                        ; implicit-def: $sgpr20_sgpr21
	s_waitcnt lgkmcnt(0)
	v_cmp_ne_u32_e32 vcc, v9, v17
	s_and_saveexec_b64 s[18:19], vcc
	s_xor_b64 s[18:19], exec, s[18:19]
	s_cbranch_execz .LBB208_122
; %bb.115:                              ;   in Loop: Header=BB208_114 Depth=2
	v_cmp_ne_u32_e32 vcc, s2, v9
                                        ; implicit-def: $sgpr20_sgpr21
	s_and_saveexec_b64 s[22:23], vcc
	s_xor_b64 s[22:23], exec, s[22:23]
; %bb.116:                              ;   in Loop: Header=BB208_114 Depth=2
	v_add_u32_e32 v6, 1, v22
	v_and_b32_e32 v22, 15, v6
	s_mov_b64 s[20:21], -1
                                        ; implicit-def: $vgpr6
; %bb.117:                              ;   in Loop: Header=BB208_114 Depth=2
	s_andn2_saveexec_b64 s[22:23], s[22:23]
	s_cbranch_execz .LBB208_121
; %bb.118:                              ;   in Loop: Header=BB208_114 Depth=2
	v_mov_b32_e32 v9, s2
	ds_cmpst_rtn_b32 v6, v6, v9, v17
	s_mov_b64 s[24:25], -1
	s_waitcnt lgkmcnt(0)
	v_cmp_eq_u32_e32 vcc, s2, v6
	s_and_saveexec_b64 s[26:27], vcc
	s_cbranch_execz .LBB208_120
; %bb.119:                              ;   in Loop: Header=BB208_114 Depth=2
	v_lshl_add_u32 v6, v22, 5, v14
	ds_add_f32 v6, v8
	ds_add_f32 v6, v7 offset:4
	s_xor_b64 s[24:25], exec, -1
.LBB208_120:                            ;   in Loop: Header=BB208_114 Depth=2
	s_or_b64 exec, exec, s[26:27]
	s_andn2_b64 s[20:21], s[20:21], exec
	s_and_b64 s[24:25], s[24:25], exec
	s_or_b64 s[20:21], s[20:21], s[24:25]
.LBB208_121:                            ;   in Loop: Header=BB208_114 Depth=2
	s_or_b64 exec, exec, s[22:23]
	s_and_b64 s[20:21], s[20:21], exec
.LBB208_122:                            ;   in Loop: Header=BB208_114 Depth=2
	s_andn2_saveexec_b64 s[18:19], s[18:19]
	s_cbranch_execz .LBB208_113
; %bb.123:                              ;   in Loop: Header=BB208_114 Depth=2
	v_lshl_add_u32 v6, v22, 5, v14
	ds_add_f32 v6, v8
	ds_add_f32 v6, v7 offset:4
	s_andn2_b64 s[20:21], s[20:21], exec
	s_branch .LBB208_113
.LBB208_124:
	s_or_b64 exec, exec, s[4:5]
.LBB208_125:
	s_waitcnt lgkmcnt(0)
	ds_read_b32 v0, v21
	s_waitcnt lgkmcnt(0)
	v_cmp_gt_i32_e32 vcc, s2, v0
	s_and_b64 exec, exec, vcc
	s_cbranch_execz .LBB208_127
; %bb.126:
	v_mov_b32_e32 v1, s13
	v_add_co_u32_e32 v2, vcc, s12, v4
	v_addc_co_u32_e32 v3, vcc, v1, v5, vcc
	global_load_dwordx2 v[22:23], v[2:3], off
	ds_read_b128 v[2:5], v20
	ds_read_b128 v[6:9], v20 offset:16
	ds_read_b128 v[10:13], v20 offset:32
	;; [unrolled: 1-line block ×3, first 2 shown]
	s_cmp_eq_u32 s0, 0
	s_cselect_b32 s0, 1, 2
	s_cselect_b32 s1, 2, 1
	s_waitcnt lgkmcnt(3)
	v_cmp_gt_i32_e32 vcc, v0, v2
	v_cndmask_b32_e64 v1, 0, 1, vcc
	v_cmp_gt_i32_e32 vcc, v0, v3
	v_cndmask_b32_e64 v2, 0, 1, vcc
	v_cmp_gt_i32_e32 vcc, v0, v4
	v_cndmask_b32_e64 v3, 0, 1, vcc
	v_cmp_gt_i32_e32 vcc, v0, v5
	v_cndmask_b32_e64 v4, 0, 1, vcc
	s_waitcnt lgkmcnt(2)
	v_cmp_gt_i32_e32 vcc, v0, v6
	v_cndmask_b32_e64 v5, 0, 1, vcc
	v_cmp_gt_i32_e32 vcc, v0, v7
	v_cndmask_b32_e64 v6, 0, 1, vcc
	v_cmp_gt_i32_e32 vcc, v0, v8
	v_cndmask_b32_e64 v7, 0, 1, vcc
	v_cmp_gt_i32_e32 vcc, v0, v9
	v_cndmask_b32_e64 v8, 0, 1, vcc
	;; [unrolled: 9-line block ×3, first 2 shown]
	s_waitcnt lgkmcnt(0)
	v_cmp_gt_i32_e32 vcc, v0, v14
	v_cndmask_b32_e64 v13, 0, 1, vcc
	v_cmp_gt_i32_e32 vcc, v0, v15
	v_cndmask_b32_e64 v14, 0, 1, vcc
	s_waitcnt vmcnt(0)
	v_subrev_co_u32_e32 v15, vcc, s38, v22
	v_subbrev_co_u32_e32 v20, vcc, 0, v23, vcc
	v_add_co_u32_e32 v1, vcc, v15, v1
	v_addc_co_u32_e32 v15, vcc, 0, v20, vcc
	v_add_co_u32_e32 v1, vcc, v1, v2
	v_addc_co_u32_e32 v2, vcc, 0, v15, vcc
	;; [unrolled: 2-line block ×14, first 2 shown]
	v_cmp_gt_i32_e32 vcc, v0, v16
	v_cndmask_b32_e64 v3, 0, 1, vcc
	v_add_co_u32_e32 v1, vcc, v1, v3
	v_addc_co_u32_e32 v3, vcc, 0, v2, vcc
	v_cmp_gt_i32_e32 vcc, v0, v17
	v_cndmask_b32_e64 v2, 0, 1, vcc
	v_add_co_u32_e32 v2, vcc, v1, v2
	v_addc_co_u32_e32 v3, vcc, 0, v3, vcc
	v_add_u32_e32 v4, s38, v0
	v_lshlrev_b64 v[0:1], 2, v[2:3]
	v_mov_b32_e32 v5, s15
	v_add_co_u32_e32 v0, vcc, s14, v0
	v_addc_co_u32_e32 v1, vcc, v5, v1, vcc
	global_store_dword v[0:1], v4, off
	v_lshl_add_u32 v0, v18, 5, v19
	v_lshlrev_b64 v[8:9], 5, v[2:3]
	ds_read2_b64 v[0:3], v0 offset1:3
	v_lshlrev_b32_e32 v6, 2, v18
	v_or_b32_e32 v4, s0, v6
	v_lshl_add_u32 v7, v4, 3, v19
	v_mov_b32_e32 v10, s35
	s_waitcnt lgkmcnt(0)
	v_mov_b32_e32 v4, v0
	v_or_b32_e32 v0, s1, v6
	v_lshl_add_u32 v0, v0, 3, v19
	v_mov_b32_e32 v5, v1
	ds_read_b64 v[6:7], v7
	ds_read_b64 v[0:1], v0
	v_add_co_u32_e32 v8, vcc, s34, v8
	v_addc_co_u32_e32 v9, vcc, v10, v9, vcc
	s_waitcnt lgkmcnt(1)
	global_store_dwordx4 v[8:9], v[4:7], off
	s_waitcnt lgkmcnt(0)
	global_store_dwordx4 v[8:9], v[0:3], off offset:16
.LBB208_127:
	s_endpgm
	.section	.rodata,"a",@progbits
	.p2align	6, 0x0
	.amdhsa_kernel _ZN9rocsparseL27bsrgemm_fill_wf_per_row_2x2ILj256ELj16ELj16ELj137Eli21rocsparse_complex_numIfEEEv20rocsparse_direction_T4_S4_PKS4_S6_NS_24const_host_device_scalarIT5_EEPKT3_S6_PKS8_SC_S6_SE_S9_SC_S6_SE_SC_PS4_PS8_21rocsparse_index_base_SH_SH_SH_bbb
		.amdhsa_group_segment_fixed_size 9216
		.amdhsa_private_segment_fixed_size 0
		.amdhsa_kernarg_size 164
		.amdhsa_user_sgpr_count 6
		.amdhsa_user_sgpr_private_segment_buffer 1
		.amdhsa_user_sgpr_dispatch_ptr 0
		.amdhsa_user_sgpr_queue_ptr 0
		.amdhsa_user_sgpr_kernarg_segment_ptr 1
		.amdhsa_user_sgpr_dispatch_id 0
		.amdhsa_user_sgpr_flat_scratch_init 0
		.amdhsa_user_sgpr_kernarg_preload_length 0
		.amdhsa_user_sgpr_kernarg_preload_offset 0
		.amdhsa_user_sgpr_private_segment_size 0
		.amdhsa_uses_dynamic_stack 0
		.amdhsa_system_sgpr_private_segment_wavefront_offset 0
		.amdhsa_system_sgpr_workgroup_id_x 1
		.amdhsa_system_sgpr_workgroup_id_y 0
		.amdhsa_system_sgpr_workgroup_id_z 0
		.amdhsa_system_sgpr_workgroup_info 0
		.amdhsa_system_vgpr_workitem_id 0
		.amdhsa_next_free_vgpr 42
		.amdhsa_next_free_sgpr 59
		.amdhsa_accum_offset 44
		.amdhsa_reserve_vcc 1
		.amdhsa_reserve_flat_scratch 0
		.amdhsa_float_round_mode_32 0
		.amdhsa_float_round_mode_16_64 0
		.amdhsa_float_denorm_mode_32 3
		.amdhsa_float_denorm_mode_16_64 3
		.amdhsa_dx10_clamp 1
		.amdhsa_ieee_mode 1
		.amdhsa_fp16_overflow 0
		.amdhsa_tg_split 0
		.amdhsa_exception_fp_ieee_invalid_op 0
		.amdhsa_exception_fp_denorm_src 0
		.amdhsa_exception_fp_ieee_div_zero 0
		.amdhsa_exception_fp_ieee_overflow 0
		.amdhsa_exception_fp_ieee_underflow 0
		.amdhsa_exception_fp_ieee_inexact 0
		.amdhsa_exception_int_div_zero 0
	.end_amdhsa_kernel
	.section	.text._ZN9rocsparseL27bsrgemm_fill_wf_per_row_2x2ILj256ELj16ELj16ELj137Eli21rocsparse_complex_numIfEEEv20rocsparse_direction_T4_S4_PKS4_S6_NS_24const_host_device_scalarIT5_EEPKT3_S6_PKS8_SC_S6_SE_S9_SC_S6_SE_SC_PS4_PS8_21rocsparse_index_base_SH_SH_SH_bbb,"axG",@progbits,_ZN9rocsparseL27bsrgemm_fill_wf_per_row_2x2ILj256ELj16ELj16ELj137Eli21rocsparse_complex_numIfEEEv20rocsparse_direction_T4_S4_PKS4_S6_NS_24const_host_device_scalarIT5_EEPKT3_S6_PKS8_SC_S6_SE_S9_SC_S6_SE_SC_PS4_PS8_21rocsparse_index_base_SH_SH_SH_bbb,comdat
.Lfunc_end208:
	.size	_ZN9rocsparseL27bsrgemm_fill_wf_per_row_2x2ILj256ELj16ELj16ELj137Eli21rocsparse_complex_numIfEEEv20rocsparse_direction_T4_S4_PKS4_S6_NS_24const_host_device_scalarIT5_EEPKT3_S6_PKS8_SC_S6_SE_S9_SC_S6_SE_SC_PS4_PS8_21rocsparse_index_base_SH_SH_SH_bbb, .Lfunc_end208-_ZN9rocsparseL27bsrgemm_fill_wf_per_row_2x2ILj256ELj16ELj16ELj137Eli21rocsparse_complex_numIfEEEv20rocsparse_direction_T4_S4_PKS4_S6_NS_24const_host_device_scalarIT5_EEPKT3_S6_PKS8_SC_S6_SE_S9_SC_S6_SE_SC_PS4_PS8_21rocsparse_index_base_SH_SH_SH_bbb
                                        ; -- End function
	.section	.AMDGPU.csdata,"",@progbits
; Kernel info:
; codeLenInByte = 4084
; NumSgprs: 63
; NumVgprs: 42
; NumAgprs: 0
; TotalNumVgprs: 42
; ScratchSize: 0
; MemoryBound: 0
; FloatMode: 240
; IeeeMode: 1
; LDSByteSize: 9216 bytes/workgroup (compile time only)
; SGPRBlocks: 7
; VGPRBlocks: 5
; NumSGPRsForWavesPerEU: 63
; NumVGPRsForWavesPerEU: 42
; AccumOffset: 44
; Occupancy: 7
; WaveLimiterHint : 1
; COMPUTE_PGM_RSRC2:SCRATCH_EN: 0
; COMPUTE_PGM_RSRC2:USER_SGPR: 6
; COMPUTE_PGM_RSRC2:TRAP_HANDLER: 0
; COMPUTE_PGM_RSRC2:TGID_X_EN: 1
; COMPUTE_PGM_RSRC2:TGID_Y_EN: 0
; COMPUTE_PGM_RSRC2:TGID_Z_EN: 0
; COMPUTE_PGM_RSRC2:TIDIG_COMP_CNT: 0
; COMPUTE_PGM_RSRC3_GFX90A:ACCUM_OFFSET: 10
; COMPUTE_PGM_RSRC3_GFX90A:TG_SPLIT: 0
	.section	.text._ZN9rocsparseL27bsrgemm_fill_wf_per_row_2x2ILj256ELj16ELj32ELj137Eli21rocsparse_complex_numIfEEEv20rocsparse_direction_T4_S4_PKS4_S6_NS_24const_host_device_scalarIT5_EEPKT3_S6_PKS8_SC_S6_SE_S9_SC_S6_SE_SC_PS4_PS8_21rocsparse_index_base_SH_SH_SH_bbb,"axG",@progbits,_ZN9rocsparseL27bsrgemm_fill_wf_per_row_2x2ILj256ELj16ELj32ELj137Eli21rocsparse_complex_numIfEEEv20rocsparse_direction_T4_S4_PKS4_S6_NS_24const_host_device_scalarIT5_EEPKT3_S6_PKS8_SC_S6_SE_S9_SC_S6_SE_SC_PS4_PS8_21rocsparse_index_base_SH_SH_SH_bbb,comdat
	.globl	_ZN9rocsparseL27bsrgemm_fill_wf_per_row_2x2ILj256ELj16ELj32ELj137Eli21rocsparse_complex_numIfEEEv20rocsparse_direction_T4_S4_PKS4_S6_NS_24const_host_device_scalarIT5_EEPKT3_S6_PKS8_SC_S6_SE_S9_SC_S6_SE_SC_PS4_PS8_21rocsparse_index_base_SH_SH_SH_bbb ; -- Begin function _ZN9rocsparseL27bsrgemm_fill_wf_per_row_2x2ILj256ELj16ELj32ELj137Eli21rocsparse_complex_numIfEEEv20rocsparse_direction_T4_S4_PKS4_S6_NS_24const_host_device_scalarIT5_EEPKT3_S6_PKS8_SC_S6_SE_S9_SC_S6_SE_SC_PS4_PS8_21rocsparse_index_base_SH_SH_SH_bbb
	.p2align	8
	.type	_ZN9rocsparseL27bsrgemm_fill_wf_per_row_2x2ILj256ELj16ELj32ELj137Eli21rocsparse_complex_numIfEEEv20rocsparse_direction_T4_S4_PKS4_S6_NS_24const_host_device_scalarIT5_EEPKT3_S6_PKS8_SC_S6_SE_S9_SC_S6_SE_SC_PS4_PS8_21rocsparse_index_base_SH_SH_SH_bbb,@function
_ZN9rocsparseL27bsrgemm_fill_wf_per_row_2x2ILj256ELj16ELj32ELj137Eli21rocsparse_complex_numIfEEEv20rocsparse_direction_T4_S4_PKS4_S6_NS_24const_host_device_scalarIT5_EEPKT3_S6_PKS8_SC_S6_SE_S9_SC_S6_SE_SC_PS4_PS8_21rocsparse_index_base_SH_SH_SH_bbb: ; @_ZN9rocsparseL27bsrgemm_fill_wf_per_row_2x2ILj256ELj16ELj32ELj137Eli21rocsparse_complex_numIfEEEv20rocsparse_direction_T4_S4_PKS4_S6_NS_24const_host_device_scalarIT5_EEPKT3_S6_PKS8_SC_S6_SE_S9_SC_S6_SE_SC_PS4_PS8_21rocsparse_index_base_SH_SH_SH_bbb
; %bb.0:
	s_load_dwordx8 s[8:15], s[4:5], 0x68
	s_load_dwordx8 s[16:23], s[4:5], 0x48
	s_load_dword s2, s[4:5], 0xa0
	s_load_dwordx4 s[40:43], s[4:5], 0x10
	s_load_dwordx8 s[24:31], s[4:5], 0x28
	s_load_dwordx2 s[34:35], s[4:5], 0x88
	s_load_dwordx4 s[36:39], s[4:5], 0x90
	s_waitcnt lgkmcnt(0)
	s_bitcmp1_b32 s2, 0
	s_cselect_b64 s[48:49], -1, 0
	s_bitcmp1_b32 s2, 16
	s_cselect_b64 s[0:1], -1, 0
	s_xor_b64 s[0:1], s[0:1], -1
	v_cndmask_b32_e64 v1, 0, 1, s[0:1]
	s_mov_b32 s45, 0
	s_bitcmp0_b32 s2, 0
	v_cmp_ne_u32_e64 s[0:1], 1, v1
	s_mov_b32 s56, 0
	s_cbranch_scc1 .LBB209_5
; %bb.1:
	s_load_dwordx2 s[44:45], s[4:5], 0x20
	s_and_b64 vcc, exec, s[0:1]
	s_waitcnt lgkmcnt(0)
	s_mov_b32 s56, s44
	s_cbranch_vccnz .LBB209_3
; %bb.2:
	s_load_dword s56, s[44:45], 0x0
.LBB209_3:
	s_and_b64 vcc, exec, s[0:1]
	s_cbranch_vccnz .LBB209_5
; %bb.4:
	s_load_dword s45, s[44:45], 0x4
.LBB209_5:
	s_bitcmp1_b32 s2, 8
	s_cselect_b64 s[46:47], -1, 0
	s_bfe_u32 s2, s2, 0x10008
	s_mov_b32 s44, 0
	s_cmp_eq_u32 s2, 0
	s_mov_b32 s33, 0
	s_cbranch_scc1 .LBB209_11
; %bb.6:
	s_and_b64 vcc, exec, s[0:1]
	s_mov_b32 s33, s20
	s_cbranch_vccnz .LBB209_8
; %bb.7:
	s_load_dword s33, s[20:21], 0x0
.LBB209_8:
	s_and_b64 vcc, exec, s[0:1]
	s_cbranch_vccnz .LBB209_10
; %bb.9:
	s_load_dword s21, s[20:21], 0x4
.LBB209_10:
	s_waitcnt lgkmcnt(0)
	s_mov_b32 s44, s21
.LBB209_11:
	s_load_dwordx4 s[0:3], s[4:5], 0x0
	v_and_b32_e32 v20, 15, v0
	v_lshrrev_b32_e32 v22, 4, v0
	v_mov_b32_e32 v0, 0x4000
	v_lshl_or_b32 v18, v22, 7, v0
	v_lshl_or_b32 v0, v20, 2, v18
	s_waitcnt lgkmcnt(0)
	v_mov_b32_e32 v1, s2
	ds_write2_b32 v0, v1, v1 offset1:16
	v_or_b32_e32 v19, -16, v20
	v_lshlrev_b32_e32 v21, 10, v22
	v_mov_b32_e32 v0, 0
	v_lshl_or_b32 v2, v20, 3, v21
	s_mov_b64 s[4:5], 0
	v_mov_b32_e32 v1, v0
	s_movk_i32 s3, 0x6f
	v_mov_b32_e32 v3, v19
.LBB209_12:                             ; =>This Inner Loop Header: Depth=1
	v_add_u32_e32 v3, 16, v3
	v_cmp_lt_u32_e32 vcc, s3, v3
	ds_write_b64 v2, v[0:1]
	s_or_b64 s[4:5], vcc, s[4:5]
	v_add_u32_e32 v2, 0x80, v2
	s_andn2_b64 exec, exec, s[4:5]
	s_cbranch_execnz .LBB209_12
; %bb.13:
	s_or_b64 exec, exec, s[4:5]
	v_lshl_or_b32 v0, s6, 4, v22
	v_cmp_gt_i32_e32 vcc, s1, v0
	s_waitcnt lgkmcnt(0)
	s_barrier
	s_and_saveexec_b64 s[4:5], vcc
	s_cbranch_execz .LBB209_129
; %bb.14:
	s_cmp_eq_u64 s[42:43], 0
	s_cbranch_scc1 .LBB209_16
; %bb.15:
	s_load_dword s1, s[40:41], 0x0
	v_mov_b32_e32 v2, s43
	s_waitcnt lgkmcnt(0)
	v_add_u32_e32 v0, s1, v0
	v_ashrrev_i32_e32 v1, 31, v0
	v_lshlrev_b64 v[0:1], 2, v[0:1]
	v_add_co_u32_e32 v0, vcc, s42, v0
	v_addc_co_u32_e32 v1, vcc, v2, v1, vcc
	global_load_dword v0, v[0:1], off
.LBB209_16:
	s_waitcnt vmcnt(0)
	v_ashrrev_i32_e32 v1, 31, v0
	s_andn2_b64 vcc, exec, s[48:49]
	v_lshlrev_b64 v[4:5], 3, v[0:1]
	s_cbranch_vccnz .LBB209_72
; %bb.17:
	v_mov_b32_e32 v1, s25
	v_add_co_u32_e32 v0, vcc, s24, v4
	v_addc_co_u32_e32 v1, vcc, v1, v5, vcc
	global_load_dwordx4 v[0:3], v[0:1], off
	v_subrev_co_u32_e32 v8, vcc, s36, v20
	v_subb_co_u32_e64 v9, s[4:5], 0, 0, vcc
	s_mov_b32 s1, 0
	s_waitcnt vmcnt(0)
	v_subrev_co_u32_e32 v6, vcc, s36, v2
	v_subbrev_co_u32_e32 v7, vcc, 0, v3, vcc
	v_add_co_u32_e32 v8, vcc, v0, v8
	v_addc_co_u32_e32 v9, vcc, v1, v9, vcc
	v_cmp_lt_i64_e32 vcc, v[8:9], v[6:7]
	s_and_saveexec_b64 s[4:5], vcc
	s_cbranch_execz .LBB209_71
; %bb.18:
	s_cmp_eq_u32 s0, 0
	s_mov_b32 s3, s37
	s_cselect_b32 s57, 2, 1
	s_cselect_b32 s58, 1, 2
	v_add_u32_e32 v23, 8, v21
	v_add_u32_e32 v24, 16, v21
	v_add_u32_e32 v25, 24, v21
	s_mov_b64 s[6:7], 0
	v_mov_b32_e32 v26, s27
	v_mov_b32_e32 v27, s31
	s_branch .LBB209_20
.LBB209_19:                             ;   in Loop: Header=BB209_20 Depth=1
	s_or_b64 exec, exec, s[20:21]
	v_add_co_u32_e32 v8, vcc, 16, v8
	v_addc_co_u32_e32 v9, vcc, 0, v9, vcc
	v_cmp_ge_i64_e32 vcc, v[8:9], v[6:7]
	s_or_b64 s[6:7], vcc, s[6:7]
	s_andn2_b64 exec, exec, s[6:7]
	s_cbranch_execz .LBB209_71
.LBB209_20:                             ; =>This Loop Header: Depth=1
                                        ;     Child Loop BB209_23 Depth 2
                                        ;       Child Loop BB209_25 Depth 3
                                        ;       Child Loop BB209_37 Depth 3
	;; [unrolled: 1-line block ×4, first 2 shown]
	v_lshlrev_b64 v[10:11], 2, v[8:9]
	v_add_co_u32_e32 v0, vcc, s26, v10
	v_addc_co_u32_e32 v1, vcc, v26, v11, vcc
	global_load_dword v0, v[0:1], off
	s_waitcnt vmcnt(0)
	v_subrev_u32_e32 v0, s36, v0
	v_ashrrev_i32_e32 v1, 31, v0
	v_lshlrev_b64 v[0:1], 3, v[0:1]
	v_add_co_u32_e32 v0, vcc, s30, v0
	v_addc_co_u32_e32 v1, vcc, v27, v1, vcc
	global_load_dwordx4 v[0:3], v[0:1], off
	s_waitcnt vmcnt(0)
	v_cmp_lt_i64_e32 vcc, v[0:1], v[2:3]
	s_and_saveexec_b64 s[20:21], vcc
	s_cbranch_execz .LBB209_19
; %bb.21:                               ;   in Loop: Header=BB209_20 Depth=1
	v_lshlrev_b64 v[12:13], 5, v[8:9]
	v_mov_b32_e32 v28, s29
	v_add_co_u32_e32 v12, vcc, s28, v12
	v_or_b32_e32 v17, 0, v11
	v_or_b32_e32 v16, s57, v10
	v_addc_co_u32_e32 v13, vcc, v28, v13, vcc
	v_lshlrev_b64 v[16:17], 3, v[16:17]
	v_add_co_u32_e32 v16, vcc, s28, v16
	v_or_b32_e32 v11, 0, v11
	v_or_b32_e32 v10, s58, v10
	v_addc_co_u32_e32 v17, vcc, v28, v17, vcc
	v_lshlrev_b64 v[10:11], 3, v[10:11]
	v_add_co_u32_e32 v10, vcc, s28, v10
	global_load_dwordx2 v[14:15], v[12:13], off
	v_addc_co_u32_e32 v11, vcc, v28, v11, vcc
	global_load_dwordx2 v[36:37], v[16:17], off
	global_load_dwordx2 v[38:39], v[10:11], off
	global_load_dwordx2 v[40:41], v[12:13], off offset:24
	v_mov_b32_e32 v10, s1
	v_subrev_co_u32_e32 v2, vcc, s3, v2
	v_subb_co_u32_e32 v3, vcc, v3, v10, vcc
	v_subrev_co_u32_e32 v0, vcc, s3, v0
	v_subb_co_u32_e32 v1, vcc, v1, v10, vcc
	s_mov_b64 s[24:25], 0
	s_waitcnt vmcnt(3)
	v_mul_f32_e64 v28, v15, -s45
	v_mul_f32_e32 v29, s56, v15
	s_waitcnt vmcnt(2)
	v_mul_f32_e64 v30, v37, -s45
	v_mul_f32_e32 v31, s56, v37
	s_waitcnt vmcnt(0)
	v_mul_f32_e32 v32, s56, v41
	v_mul_f32_e64 v33, v41, -s45
	v_mul_f32_e32 v34, s56, v39
	v_mul_f32_e64 v35, v39, -s45
	v_fmac_f32_e32 v28, s56, v14
	v_fmac_f32_e32 v29, s45, v14
	;; [unrolled: 1-line block ×8, first 2 shown]
	s_branch .LBB209_23
.LBB209_22:                             ;   in Loop: Header=BB209_23 Depth=2
	s_or_b64 exec, exec, s[40:41]
	v_add_co_u32_e32 v0, vcc, 1, v0
	v_addc_co_u32_e32 v1, vcc, 0, v1, vcc
	v_cmp_ge_i64_e32 vcc, v[0:1], v[2:3]
	s_or_b64 s[24:25], vcc, s[24:25]
	s_andn2_b64 exec, exec, s[24:25]
	s_cbranch_execz .LBB209_19
.LBB209_23:                             ;   Parent Loop BB209_20 Depth=1
                                        ; =>  This Loop Header: Depth=2
                                        ;       Child Loop BB209_25 Depth 3
                                        ;       Child Loop BB209_37 Depth 3
	;; [unrolled: 1-line block ×4, first 2 shown]
	v_lshlrev_b64 v[10:11], 2, v[0:1]
	v_mov_b32_e32 v13, s17
	v_add_co_u32_e32 v12, vcc, s16, v10
	v_addc_co_u32_e32 v13, vcc, v13, v11, vcc
	global_load_dword v38, v[12:13], off
	v_or_b32_e32 v13, 0, v11
	v_or_b32_e32 v12, s58, v10
	;; [unrolled: 1-line block ×4, first 2 shown]
	v_lshlrev_b64 v[10:11], 3, v[10:11]
	v_mov_b32_e32 v39, s19
	v_add_co_u32_e32 v10, vcc, s18, v10
	v_lshlrev_b64 v[14:15], 5, v[0:1]
	v_addc_co_u32_e32 v11, vcc, v39, v11, vcc
	v_add_co_u32_e32 v36, vcc, s18, v14
	global_load_dwordx2 v[16:17], v[10:11], off
	v_addc_co_u32_e32 v37, vcc, v39, v15, vcc
	global_load_dwordx2 v[14:15], v[36:37], off
	v_lshlrev_b64 v[10:11], 3, v[12:13]
	v_add_co_u32_e32 v10, vcc, s18, v10
	v_addc_co_u32_e32 v11, vcc, v39, v11, vcc
	global_load_dwordx2 v[10:11], v[10:11], off
	s_nop 0
	global_load_dwordx2 v[12:13], v[36:37], off offset:24
	s_mov_b64 s[40:41], 0
	s_waitcnt vmcnt(4)
	v_subrev_u32_e32 v36, s37, v38
	v_lshl_add_u32 v37, v36, 3, v36
	v_and_b32_e32 v37, 31, v37
	v_mov_b32_e32 v40, v37
	s_waitcnt vmcnt(3)
	v_mul_f32_e64 v39, v17, -v34
	v_mul_f32_e32 v38, v35, v17
	v_fmac_f32_e32 v39, v35, v16
	v_fmac_f32_e32 v38, v34, v16
	s_waitcnt vmcnt(2)
	v_fmac_f32_e32 v39, v28, v14
	v_fmac_f32_e32 v38, v29, v14
	v_fma_f32 v39, -v29, v15, v39
	v_fmac_f32_e32 v38, v28, v15
	s_branch .LBB209_25
.LBB209_24:                             ;   in Loop: Header=BB209_25 Depth=3
	s_or_b64 exec, exec, s[42:43]
	s_xor_b64 s[42:43], s[48:49], -1
	s_and_b64 s[42:43], exec, s[42:43]
	s_or_b64 s[40:41], s[42:43], s[40:41]
	s_andn2_b64 exec, exec, s[40:41]
	s_cbranch_execz .LBB209_35
.LBB209_25:                             ;   Parent Loop BB209_20 Depth=1
                                        ;     Parent Loop BB209_23 Depth=2
                                        ; =>    This Inner Loop Header: Depth=3
	v_lshl_add_u32 v41, v40, 2, v18
	ds_read_b32 v42, v41
                                        ; implicit-def: $sgpr48_sgpr49
	s_waitcnt lgkmcnt(0)
	v_cmp_ne_u32_e32 vcc, v42, v36
	s_and_saveexec_b64 s[42:43], vcc
	s_xor_b64 s[42:43], exec, s[42:43]
	s_cbranch_execz .LBB209_33
; %bb.26:                               ;   in Loop: Header=BB209_25 Depth=3
	v_cmp_ne_u32_e32 vcc, s2, v42
                                        ; implicit-def: $sgpr48_sgpr49
	s_and_saveexec_b64 s[50:51], vcc
	s_xor_b64 s[50:51], exec, s[50:51]
; %bb.27:                               ;   in Loop: Header=BB209_25 Depth=3
	v_add_u32_e32 v40, 1, v40
	v_and_b32_e32 v40, 31, v40
	s_mov_b64 s[48:49], -1
                                        ; implicit-def: $vgpr41
; %bb.28:                               ;   in Loop: Header=BB209_25 Depth=3
	s_andn2_saveexec_b64 s[50:51], s[50:51]
	s_cbranch_execz .LBB209_32
; %bb.29:                               ;   in Loop: Header=BB209_25 Depth=3
	v_mov_b32_e32 v42, s2
	ds_cmpst_rtn_b32 v41, v41, v42, v36
	s_mov_b64 s[52:53], -1
	s_waitcnt lgkmcnt(0)
	v_cmp_eq_u32_e32 vcc, s2, v41
	s_and_saveexec_b64 s[54:55], vcc
	s_cbranch_execz .LBB209_31
; %bb.30:                               ;   in Loop: Header=BB209_25 Depth=3
	v_lshl_add_u32 v41, v40, 5, v21
	ds_add_f32 v41, v39
	ds_add_f32 v41, v38 offset:4
	s_xor_b64 s[52:53], exec, -1
.LBB209_31:                             ;   in Loop: Header=BB209_25 Depth=3
	s_or_b64 exec, exec, s[54:55]
	s_andn2_b64 s[48:49], s[48:49], exec
	s_and_b64 s[52:53], s[52:53], exec
	s_or_b64 s[48:49], s[48:49], s[52:53]
.LBB209_32:                             ;   in Loop: Header=BB209_25 Depth=3
	s_or_b64 exec, exec, s[50:51]
	s_and_b64 s[48:49], s[48:49], exec
.LBB209_33:                             ;   in Loop: Header=BB209_25 Depth=3
	s_andn2_saveexec_b64 s[42:43], s[42:43]
	s_cbranch_execz .LBB209_24
; %bb.34:                               ;   in Loop: Header=BB209_25 Depth=3
	v_lshl_add_u32 v41, v40, 5, v21
	ds_add_f32 v41, v39
	ds_add_f32 v41, v38 offset:4
	s_andn2_b64 s[48:49], s[48:49], exec
	s_branch .LBB209_24
.LBB209_35:                             ;   in Loop: Header=BB209_23 Depth=2
	s_or_b64 exec, exec, s[40:41]
	s_waitcnt vmcnt(0)
	v_mul_f32_e64 v39, v13, -v34
	v_mul_f32_e32 v38, v35, v13
	v_fmac_f32_e32 v39, v35, v12
	v_fmac_f32_e32 v38, v34, v12
	;; [unrolled: 1-line block ×4, first 2 shown]
	v_fma_f32 v39, -v29, v11, v39
	v_fmac_f32_e32 v38, v28, v11
	s_mov_b64 s[40:41], 0
	v_mov_b32_e32 v40, v37
	s_branch .LBB209_37
.LBB209_36:                             ;   in Loop: Header=BB209_37 Depth=3
	s_or_b64 exec, exec, s[42:43]
	s_xor_b64 s[42:43], s[48:49], -1
	s_and_b64 s[42:43], exec, s[42:43]
	s_or_b64 s[40:41], s[42:43], s[40:41]
	s_andn2_b64 exec, exec, s[40:41]
	s_cbranch_execz .LBB209_47
.LBB209_37:                             ;   Parent Loop BB209_20 Depth=1
                                        ;     Parent Loop BB209_23 Depth=2
                                        ; =>    This Inner Loop Header: Depth=3
	v_lshl_add_u32 v41, v40, 2, v18
	ds_read_b32 v42, v41
                                        ; implicit-def: $sgpr48_sgpr49
	s_waitcnt lgkmcnt(0)
	v_cmp_ne_u32_e32 vcc, v42, v36
	s_and_saveexec_b64 s[42:43], vcc
	s_xor_b64 s[42:43], exec, s[42:43]
	s_cbranch_execz .LBB209_45
; %bb.38:                               ;   in Loop: Header=BB209_37 Depth=3
	v_cmp_ne_u32_e32 vcc, s2, v42
                                        ; implicit-def: $sgpr48_sgpr49
	s_and_saveexec_b64 s[50:51], vcc
	s_xor_b64 s[50:51], exec, s[50:51]
; %bb.39:                               ;   in Loop: Header=BB209_37 Depth=3
	v_add_u32_e32 v40, 1, v40
	v_and_b32_e32 v40, 31, v40
	s_mov_b64 s[48:49], -1
                                        ; implicit-def: $vgpr41
; %bb.40:                               ;   in Loop: Header=BB209_37 Depth=3
	s_andn2_saveexec_b64 s[50:51], s[50:51]
	s_cbranch_execz .LBB209_44
; %bb.41:                               ;   in Loop: Header=BB209_37 Depth=3
	v_mov_b32_e32 v42, s2
	ds_cmpst_rtn_b32 v41, v41, v42, v36
	s_mov_b64 s[52:53], -1
	s_waitcnt lgkmcnt(0)
	v_cmp_eq_u32_e32 vcc, s2, v41
	s_and_saveexec_b64 s[54:55], vcc
	s_cbranch_execz .LBB209_43
; %bb.42:                               ;   in Loop: Header=BB209_37 Depth=3
	v_lshl_add_u32 v41, v40, 5, v23
	ds_add_f32 v41, v39
	ds_add_f32 v41, v38 offset:4
	s_xor_b64 s[52:53], exec, -1
.LBB209_43:                             ;   in Loop: Header=BB209_37 Depth=3
	s_or_b64 exec, exec, s[54:55]
	s_andn2_b64 s[48:49], s[48:49], exec
	s_and_b64 s[52:53], s[52:53], exec
	s_or_b64 s[48:49], s[48:49], s[52:53]
.LBB209_44:                             ;   in Loop: Header=BB209_37 Depth=3
	s_or_b64 exec, exec, s[50:51]
	s_and_b64 s[48:49], s[48:49], exec
.LBB209_45:                             ;   in Loop: Header=BB209_37 Depth=3
	s_andn2_saveexec_b64 s[42:43], s[42:43]
	s_cbranch_execz .LBB209_36
; %bb.46:                               ;   in Loop: Header=BB209_37 Depth=3
	v_lshl_add_u32 v41, v40, 5, v23
	ds_add_f32 v41, v39
	ds_add_f32 v41, v38 offset:4
	s_andn2_b64 s[48:49], s[48:49], exec
	s_branch .LBB209_36
.LBB209_47:                             ;   in Loop: Header=BB209_23 Depth=2
	s_or_b64 exec, exec, s[40:41]
	v_mul_f32_e64 v38, v17, -v32
	v_mul_f32_e32 v17, v33, v17
	v_fmac_f32_e32 v38, v33, v16
	v_fmac_f32_e32 v17, v32, v16
	;; [unrolled: 1-line block ×4, first 2 shown]
	v_fma_f32 v16, -v31, v15, v38
	v_fmac_f32_e32 v17, v30, v15
	s_mov_b64 s[40:41], 0
	v_mov_b32_e32 v14, v37
	s_branch .LBB209_49
.LBB209_48:                             ;   in Loop: Header=BB209_49 Depth=3
	s_or_b64 exec, exec, s[42:43]
	s_xor_b64 s[42:43], s[48:49], -1
	s_and_b64 s[42:43], exec, s[42:43]
	s_or_b64 s[40:41], s[42:43], s[40:41]
	s_andn2_b64 exec, exec, s[40:41]
	s_cbranch_execz .LBB209_59
.LBB209_49:                             ;   Parent Loop BB209_20 Depth=1
                                        ;     Parent Loop BB209_23 Depth=2
                                        ; =>    This Inner Loop Header: Depth=3
	v_lshl_add_u32 v15, v14, 2, v18
	ds_read_b32 v38, v15
                                        ; implicit-def: $sgpr48_sgpr49
	s_waitcnt lgkmcnt(0)
	v_cmp_ne_u32_e32 vcc, v38, v36
	s_and_saveexec_b64 s[42:43], vcc
	s_xor_b64 s[42:43], exec, s[42:43]
	s_cbranch_execz .LBB209_57
; %bb.50:                               ;   in Loop: Header=BB209_49 Depth=3
	v_cmp_ne_u32_e32 vcc, s2, v38
                                        ; implicit-def: $sgpr48_sgpr49
	s_and_saveexec_b64 s[50:51], vcc
	s_xor_b64 s[50:51], exec, s[50:51]
; %bb.51:                               ;   in Loop: Header=BB209_49 Depth=3
	v_add_u32_e32 v14, 1, v14
	v_and_b32_e32 v14, 31, v14
	s_mov_b64 s[48:49], -1
                                        ; implicit-def: $vgpr15
; %bb.52:                               ;   in Loop: Header=BB209_49 Depth=3
	s_andn2_saveexec_b64 s[50:51], s[50:51]
	s_cbranch_execz .LBB209_56
; %bb.53:                               ;   in Loop: Header=BB209_49 Depth=3
	v_mov_b32_e32 v38, s2
	ds_cmpst_rtn_b32 v15, v15, v38, v36
	s_mov_b64 s[52:53], -1
	s_waitcnt lgkmcnt(0)
	v_cmp_eq_u32_e32 vcc, s2, v15
	s_and_saveexec_b64 s[54:55], vcc
	s_cbranch_execz .LBB209_55
; %bb.54:                               ;   in Loop: Header=BB209_49 Depth=3
	v_lshl_add_u32 v15, v14, 5, v24
	ds_add_f32 v15, v16
	ds_add_f32 v15, v17 offset:4
	s_xor_b64 s[52:53], exec, -1
.LBB209_55:                             ;   in Loop: Header=BB209_49 Depth=3
	s_or_b64 exec, exec, s[54:55]
	s_andn2_b64 s[48:49], s[48:49], exec
	s_and_b64 s[52:53], s[52:53], exec
	s_or_b64 s[48:49], s[48:49], s[52:53]
.LBB209_56:                             ;   in Loop: Header=BB209_49 Depth=3
	s_or_b64 exec, exec, s[50:51]
	s_and_b64 s[48:49], s[48:49], exec
.LBB209_57:                             ;   in Loop: Header=BB209_49 Depth=3
	s_andn2_saveexec_b64 s[42:43], s[42:43]
	s_cbranch_execz .LBB209_48
; %bb.58:                               ;   in Loop: Header=BB209_49 Depth=3
	v_lshl_add_u32 v15, v14, 5, v24
	ds_add_f32 v15, v16
	ds_add_f32 v15, v17 offset:4
	s_andn2_b64 s[48:49], s[48:49], exec
	s_branch .LBB209_48
.LBB209_59:                             ;   in Loop: Header=BB209_23 Depth=2
	s_or_b64 exec, exec, s[40:41]
	v_mul_f32_e64 v14, v13, -v32
	v_mul_f32_e32 v13, v33, v13
	v_fmac_f32_e32 v14, v33, v12
	v_fmac_f32_e32 v13, v32, v12
	v_fmac_f32_e32 v14, v30, v10
	v_fmac_f32_e32 v13, v31, v10
	v_fma_f32 v12, -v31, v11, v14
	v_fmac_f32_e32 v13, v30, v11
	s_mov_b64 s[40:41], 0
	s_branch .LBB209_61
.LBB209_60:                             ;   in Loop: Header=BB209_61 Depth=3
	s_or_b64 exec, exec, s[42:43]
	s_xor_b64 s[42:43], s[48:49], -1
	s_and_b64 s[42:43], exec, s[42:43]
	s_or_b64 s[40:41], s[42:43], s[40:41]
	s_andn2_b64 exec, exec, s[40:41]
	s_cbranch_execz .LBB209_22
.LBB209_61:                             ;   Parent Loop BB209_20 Depth=1
                                        ;     Parent Loop BB209_23 Depth=2
                                        ; =>    This Inner Loop Header: Depth=3
	v_lshl_add_u32 v10, v37, 2, v18
	ds_read_b32 v11, v10
                                        ; implicit-def: $sgpr48_sgpr49
	s_waitcnt lgkmcnt(0)
	v_cmp_ne_u32_e32 vcc, v11, v36
	s_and_saveexec_b64 s[42:43], vcc
	s_xor_b64 s[42:43], exec, s[42:43]
	s_cbranch_execz .LBB209_69
; %bb.62:                               ;   in Loop: Header=BB209_61 Depth=3
	v_cmp_ne_u32_e32 vcc, s2, v11
                                        ; implicit-def: $sgpr48_sgpr49
	s_and_saveexec_b64 s[50:51], vcc
	s_xor_b64 s[50:51], exec, s[50:51]
; %bb.63:                               ;   in Loop: Header=BB209_61 Depth=3
	v_add_u32_e32 v10, 1, v37
	v_and_b32_e32 v37, 31, v10
	s_mov_b64 s[48:49], -1
                                        ; implicit-def: $vgpr10
; %bb.64:                               ;   in Loop: Header=BB209_61 Depth=3
	s_andn2_saveexec_b64 s[50:51], s[50:51]
	s_cbranch_execz .LBB209_68
; %bb.65:                               ;   in Loop: Header=BB209_61 Depth=3
	v_mov_b32_e32 v11, s2
	ds_cmpst_rtn_b32 v10, v10, v11, v36
	s_mov_b64 s[52:53], -1
	s_waitcnt lgkmcnt(0)
	v_cmp_eq_u32_e32 vcc, s2, v10
	s_and_saveexec_b64 s[54:55], vcc
	s_cbranch_execz .LBB209_67
; %bb.66:                               ;   in Loop: Header=BB209_61 Depth=3
	v_lshl_add_u32 v10, v37, 5, v25
	ds_add_f32 v10, v12
	ds_add_f32 v10, v13 offset:4
	s_xor_b64 s[52:53], exec, -1
.LBB209_67:                             ;   in Loop: Header=BB209_61 Depth=3
	s_or_b64 exec, exec, s[54:55]
	s_andn2_b64 s[48:49], s[48:49], exec
	s_and_b64 s[52:53], s[52:53], exec
	s_or_b64 s[48:49], s[48:49], s[52:53]
.LBB209_68:                             ;   in Loop: Header=BB209_61 Depth=3
	s_or_b64 exec, exec, s[50:51]
	s_and_b64 s[48:49], s[48:49], exec
.LBB209_69:                             ;   in Loop: Header=BB209_61 Depth=3
	s_andn2_saveexec_b64 s[42:43], s[42:43]
	s_cbranch_execz .LBB209_60
; %bb.70:                               ;   in Loop: Header=BB209_61 Depth=3
	v_lshl_add_u32 v10, v37, 5, v25
	ds_add_f32 v10, v12
	ds_add_f32 v10, v13 offset:4
	s_andn2_b64 s[48:49], s[48:49], exec
	s_branch .LBB209_60
.LBB209_71:
	s_or_b64 exec, exec, s[4:5]
.LBB209_72:
	v_lshlrev_b32_e32 v12, 7, v22
	s_andn2_b64 vcc, exec, s[46:47]
	s_waitcnt lgkmcnt(0)
	s_cbranch_vccnz .LBB209_125
; %bb.73:
	v_mov_b32_e32 v1, s23
	v_add_co_u32_e32 v0, vcc, s22, v4
	v_addc_co_u32_e32 v1, vcc, v1, v5, vcc
	global_load_dwordx4 v[6:9], v[0:1], off
	v_subrev_co_u32_e32 v2, vcc, s39, v20
	v_subb_co_u32_e64 v3, s[4:5], 0, 0, vcc
	s_waitcnt vmcnt(0)
	v_subrev_co_u32_e32 v0, vcc, s39, v8
	v_subbrev_co_u32_e32 v1, vcc, 0, v9, vcc
	v_add_co_u32_e32 v2, vcc, v6, v2
	v_addc_co_u32_e32 v3, vcc, v7, v3, vcc
	v_cmp_lt_i64_e32 vcc, v[2:3], v[0:1]
	s_and_saveexec_b64 s[4:5], vcc
	s_cbranch_execz .LBB209_124
; %bb.74:
	s_cmp_eq_u32 s0, 0
	s_cselect_b32 s1, 1, 2
	s_cselect_b32 s3, 2, 1
	v_add_u32_e32 v13, 8, v21
	v_add_u32_e32 v14, 16, v21
	;; [unrolled: 1-line block ×3, first 2 shown]
	s_mov_b64 s[6:7], 0
	v_mov_b32_e32 v16, s11
	v_mov_b32_e32 v17, s9
	s_branch .LBB209_76
.LBB209_75:                             ;   in Loop: Header=BB209_76 Depth=1
	s_or_b64 exec, exec, s[16:17]
	v_add_co_u32_e32 v2, vcc, 16, v2
	v_addc_co_u32_e32 v3, vcc, 0, v3, vcc
	v_cmp_ge_i64_e32 vcc, v[2:3], v[0:1]
	s_or_b64 s[6:7], vcc, s[6:7]
	s_andn2_b64 exec, exec, s[6:7]
	s_cbranch_execz .LBB209_124
.LBB209_76:                             ; =>This Loop Header: Depth=1
                                        ;     Child Loop BB209_78 Depth 2
                                        ;     Child Loop BB209_90 Depth 2
	;; [unrolled: 1-line block ×4, first 2 shown]
	v_lshlrev_b64 v[8:9], 5, v[2:3]
	v_lshlrev_b64 v[6:7], 2, v[2:3]
	v_add_co_u32_e32 v22, vcc, s10, v8
	v_addc_co_u32_e32 v23, vcc, v16, v9, vcc
	v_or_b32_e32 v9, 0, v7
	v_or_b32_e32 v8, s1, v6
	v_lshlrev_b64 v[8:9], 3, v[8:9]
	v_add_co_u32_e32 v24, vcc, s10, v8
	v_addc_co_u32_e32 v25, vcc, v16, v9, vcc
	v_or_b32_e32 v8, s3, v6
	v_add_co_u32_e32 v6, vcc, s8, v6
	v_or_b32_e32 v9, 0, v7
	v_addc_co_u32_e32 v7, vcc, v17, v7, vcc
	global_load_dword v30, v[6:7], off
	v_lshlrev_b64 v[8:9], 3, v[8:9]
	global_load_dwordx2 v[26:27], v[22:23], off
	v_add_co_u32_e32 v28, vcc, s10, v8
	v_addc_co_u32_e32 v29, vcc, v16, v9, vcc
	global_load_dwordx2 v[6:7], v[22:23], off offset:24
	global_load_dwordx2 v[10:11], v[24:25], off
	global_load_dwordx2 v[8:9], v[28:29], off
	s_mov_b64 s[16:17], 0
	s_waitcnt vmcnt(4)
	v_subrev_u32_e32 v22, s39, v30
	v_lshl_add_u32 v23, v22, 3, v22
	s_waitcnt vmcnt(3)
	v_mul_f32_e64 v24, v27, -s44
	v_mul_f32_e32 v25, s33, v27
	v_and_b32_e32 v23, 31, v23
	v_fmac_f32_e32 v24, s33, v26
	v_fmac_f32_e32 v25, s44, v26
	v_mov_b32_e32 v26, v23
	s_branch .LBB209_78
.LBB209_77:                             ;   in Loop: Header=BB209_78 Depth=2
	s_or_b64 exec, exec, s[18:19]
	s_xor_b64 s[18:19], s[20:21], -1
	s_and_b64 s[18:19], exec, s[18:19]
	s_or_b64 s[16:17], s[18:19], s[16:17]
	s_andn2_b64 exec, exec, s[16:17]
	s_cbranch_execz .LBB209_88
.LBB209_78:                             ;   Parent Loop BB209_76 Depth=1
                                        ; =>  This Inner Loop Header: Depth=2
	v_lshl_add_u32 v27, v26, 2, v18
	ds_read_b32 v28, v27
                                        ; implicit-def: $sgpr20_sgpr21
	s_waitcnt lgkmcnt(0)
	v_cmp_ne_u32_e32 vcc, v28, v22
	s_and_saveexec_b64 s[18:19], vcc
	s_xor_b64 s[18:19], exec, s[18:19]
	s_cbranch_execz .LBB209_86
; %bb.79:                               ;   in Loop: Header=BB209_78 Depth=2
	v_cmp_ne_u32_e32 vcc, s2, v28
                                        ; implicit-def: $sgpr20_sgpr21
	s_and_saveexec_b64 s[22:23], vcc
	s_xor_b64 s[22:23], exec, s[22:23]
; %bb.80:                               ;   in Loop: Header=BB209_78 Depth=2
	v_add_u32_e32 v26, 1, v26
	v_and_b32_e32 v26, 31, v26
	s_mov_b64 s[20:21], -1
                                        ; implicit-def: $vgpr27
; %bb.81:                               ;   in Loop: Header=BB209_78 Depth=2
	s_andn2_saveexec_b64 s[22:23], s[22:23]
	s_cbranch_execz .LBB209_85
; %bb.82:                               ;   in Loop: Header=BB209_78 Depth=2
	v_mov_b32_e32 v28, s2
	ds_cmpst_rtn_b32 v27, v27, v28, v22
	s_mov_b64 s[24:25], -1
	s_waitcnt lgkmcnt(0)
	v_cmp_eq_u32_e32 vcc, s2, v27
	s_and_saveexec_b64 s[26:27], vcc
	s_cbranch_execz .LBB209_84
; %bb.83:                               ;   in Loop: Header=BB209_78 Depth=2
	v_lshl_add_u32 v27, v26, 5, v21
	ds_add_f32 v27, v24
	ds_add_f32 v27, v25 offset:4
	s_xor_b64 s[24:25], exec, -1
.LBB209_84:                             ;   in Loop: Header=BB209_78 Depth=2
	s_or_b64 exec, exec, s[26:27]
	s_andn2_b64 s[20:21], s[20:21], exec
	s_and_b64 s[24:25], s[24:25], exec
	s_or_b64 s[20:21], s[20:21], s[24:25]
.LBB209_85:                             ;   in Loop: Header=BB209_78 Depth=2
	s_or_b64 exec, exec, s[22:23]
	s_and_b64 s[20:21], s[20:21], exec
.LBB209_86:                             ;   in Loop: Header=BB209_78 Depth=2
	s_andn2_saveexec_b64 s[18:19], s[18:19]
	s_cbranch_execz .LBB209_77
; %bb.87:                               ;   in Loop: Header=BB209_78 Depth=2
	v_lshl_add_u32 v27, v26, 5, v21
	ds_add_f32 v27, v24
	ds_add_f32 v27, v25 offset:4
	s_andn2_b64 s[20:21], s[20:21], exec
	s_branch .LBB209_77
.LBB209_88:                             ;   in Loop: Header=BB209_76 Depth=1
	s_or_b64 exec, exec, s[16:17]
	s_waitcnt vmcnt(1)
	v_mul_f32_e64 v24, v11, -s44
	v_mul_f32_e32 v11, s33, v11
	v_fmac_f32_e32 v24, s33, v10
	v_fmac_f32_e32 v11, s44, v10
	s_mov_b64 s[16:17], 0
	v_mov_b32_e32 v10, v23
	s_branch .LBB209_90
.LBB209_89:                             ;   in Loop: Header=BB209_90 Depth=2
	s_or_b64 exec, exec, s[18:19]
	s_xor_b64 s[18:19], s[20:21], -1
	s_and_b64 s[18:19], exec, s[18:19]
	s_or_b64 s[16:17], s[18:19], s[16:17]
	s_andn2_b64 exec, exec, s[16:17]
	s_cbranch_execz .LBB209_100
.LBB209_90:                             ;   Parent Loop BB209_76 Depth=1
                                        ; =>  This Inner Loop Header: Depth=2
	v_lshl_add_u32 v25, v10, 2, v18
	ds_read_b32 v26, v25
                                        ; implicit-def: $sgpr20_sgpr21
	s_waitcnt lgkmcnt(0)
	v_cmp_ne_u32_e32 vcc, v26, v22
	s_and_saveexec_b64 s[18:19], vcc
	s_xor_b64 s[18:19], exec, s[18:19]
	s_cbranch_execz .LBB209_98
; %bb.91:                               ;   in Loop: Header=BB209_90 Depth=2
	v_cmp_ne_u32_e32 vcc, s2, v26
                                        ; implicit-def: $sgpr20_sgpr21
	s_and_saveexec_b64 s[22:23], vcc
	s_xor_b64 s[22:23], exec, s[22:23]
; %bb.92:                               ;   in Loop: Header=BB209_90 Depth=2
	v_add_u32_e32 v10, 1, v10
	v_and_b32_e32 v10, 31, v10
	s_mov_b64 s[20:21], -1
                                        ; implicit-def: $vgpr25
; %bb.93:                               ;   in Loop: Header=BB209_90 Depth=2
	s_andn2_saveexec_b64 s[22:23], s[22:23]
	s_cbranch_execz .LBB209_97
; %bb.94:                               ;   in Loop: Header=BB209_90 Depth=2
	v_mov_b32_e32 v26, s2
	ds_cmpst_rtn_b32 v25, v25, v26, v22
	s_mov_b64 s[24:25], -1
	s_waitcnt lgkmcnt(0)
	v_cmp_eq_u32_e32 vcc, s2, v25
	s_and_saveexec_b64 s[26:27], vcc
	s_cbranch_execz .LBB209_96
; %bb.95:                               ;   in Loop: Header=BB209_90 Depth=2
	v_lshl_add_u32 v25, v10, 5, v13
	ds_add_f32 v25, v24
	ds_add_f32 v25, v11 offset:4
	s_xor_b64 s[24:25], exec, -1
.LBB209_96:                             ;   in Loop: Header=BB209_90 Depth=2
	s_or_b64 exec, exec, s[26:27]
	s_andn2_b64 s[20:21], s[20:21], exec
	s_and_b64 s[24:25], s[24:25], exec
	s_or_b64 s[20:21], s[20:21], s[24:25]
.LBB209_97:                             ;   in Loop: Header=BB209_90 Depth=2
	s_or_b64 exec, exec, s[22:23]
	s_and_b64 s[20:21], s[20:21], exec
.LBB209_98:                             ;   in Loop: Header=BB209_90 Depth=2
	s_andn2_saveexec_b64 s[18:19], s[18:19]
	s_cbranch_execz .LBB209_89
; %bb.99:                               ;   in Loop: Header=BB209_90 Depth=2
	v_lshl_add_u32 v25, v10, 5, v13
	ds_add_f32 v25, v24
	ds_add_f32 v25, v11 offset:4
	s_andn2_b64 s[20:21], s[20:21], exec
	s_branch .LBB209_89
.LBB209_100:                            ;   in Loop: Header=BB209_76 Depth=1
	s_or_b64 exec, exec, s[16:17]
	s_waitcnt vmcnt(0)
	v_mul_f32_e64 v10, v9, -s44
	v_mul_f32_e32 v9, s33, v9
	v_fmac_f32_e32 v10, s33, v8
	v_fmac_f32_e32 v9, s44, v8
	s_mov_b64 s[16:17], 0
	v_mov_b32_e32 v8, v23
	s_branch .LBB209_102
.LBB209_101:                            ;   in Loop: Header=BB209_102 Depth=2
	s_or_b64 exec, exec, s[18:19]
	s_xor_b64 s[18:19], s[20:21], -1
	s_and_b64 s[18:19], exec, s[18:19]
	s_or_b64 s[16:17], s[18:19], s[16:17]
	s_andn2_b64 exec, exec, s[16:17]
	s_cbranch_execz .LBB209_112
.LBB209_102:                            ;   Parent Loop BB209_76 Depth=1
                                        ; =>  This Inner Loop Header: Depth=2
	v_lshl_add_u32 v11, v8, 2, v18
	ds_read_b32 v24, v11
                                        ; implicit-def: $sgpr20_sgpr21
	s_waitcnt lgkmcnt(0)
	v_cmp_ne_u32_e32 vcc, v24, v22
	s_and_saveexec_b64 s[18:19], vcc
	s_xor_b64 s[18:19], exec, s[18:19]
	s_cbranch_execz .LBB209_110
; %bb.103:                              ;   in Loop: Header=BB209_102 Depth=2
	v_cmp_ne_u32_e32 vcc, s2, v24
                                        ; implicit-def: $sgpr20_sgpr21
	s_and_saveexec_b64 s[22:23], vcc
	s_xor_b64 s[22:23], exec, s[22:23]
; %bb.104:                              ;   in Loop: Header=BB209_102 Depth=2
	v_add_u32_e32 v8, 1, v8
	v_and_b32_e32 v8, 31, v8
	s_mov_b64 s[20:21], -1
                                        ; implicit-def: $vgpr11
; %bb.105:                              ;   in Loop: Header=BB209_102 Depth=2
	s_andn2_saveexec_b64 s[22:23], s[22:23]
	s_cbranch_execz .LBB209_109
; %bb.106:                              ;   in Loop: Header=BB209_102 Depth=2
	v_mov_b32_e32 v24, s2
	ds_cmpst_rtn_b32 v11, v11, v24, v22
	s_mov_b64 s[24:25], -1
	s_waitcnt lgkmcnt(0)
	v_cmp_eq_u32_e32 vcc, s2, v11
	s_and_saveexec_b64 s[26:27], vcc
	s_cbranch_execz .LBB209_108
; %bb.107:                              ;   in Loop: Header=BB209_102 Depth=2
	v_lshl_add_u32 v11, v8, 5, v14
	ds_add_f32 v11, v10
	ds_add_f32 v11, v9 offset:4
	s_xor_b64 s[24:25], exec, -1
.LBB209_108:                            ;   in Loop: Header=BB209_102 Depth=2
	s_or_b64 exec, exec, s[26:27]
	s_andn2_b64 s[20:21], s[20:21], exec
	s_and_b64 s[24:25], s[24:25], exec
	s_or_b64 s[20:21], s[20:21], s[24:25]
.LBB209_109:                            ;   in Loop: Header=BB209_102 Depth=2
	s_or_b64 exec, exec, s[22:23]
	s_and_b64 s[20:21], s[20:21], exec
.LBB209_110:                            ;   in Loop: Header=BB209_102 Depth=2
	s_andn2_saveexec_b64 s[18:19], s[18:19]
	s_cbranch_execz .LBB209_101
; %bb.111:                              ;   in Loop: Header=BB209_102 Depth=2
	v_lshl_add_u32 v11, v8, 5, v14
	ds_add_f32 v11, v10
	ds_add_f32 v11, v9 offset:4
	s_andn2_b64 s[20:21], s[20:21], exec
	s_branch .LBB209_101
.LBB209_112:                            ;   in Loop: Header=BB209_76 Depth=1
	s_or_b64 exec, exec, s[16:17]
	v_mul_f32_e64 v8, v7, -s44
	v_mul_f32_e32 v7, s33, v7
	v_fmac_f32_e32 v8, s33, v6
	v_fmac_f32_e32 v7, s44, v6
	s_mov_b64 s[16:17], 0
	s_branch .LBB209_114
.LBB209_113:                            ;   in Loop: Header=BB209_114 Depth=2
	s_or_b64 exec, exec, s[18:19]
	s_xor_b64 s[18:19], s[20:21], -1
	s_and_b64 s[18:19], exec, s[18:19]
	s_or_b64 s[16:17], s[18:19], s[16:17]
	s_andn2_b64 exec, exec, s[16:17]
	s_cbranch_execz .LBB209_75
.LBB209_114:                            ;   Parent Loop BB209_76 Depth=1
                                        ; =>  This Inner Loop Header: Depth=2
	v_lshl_add_u32 v6, v23, 2, v18
	ds_read_b32 v9, v6
                                        ; implicit-def: $sgpr20_sgpr21
	s_waitcnt lgkmcnt(0)
	v_cmp_ne_u32_e32 vcc, v9, v22
	s_and_saveexec_b64 s[18:19], vcc
	s_xor_b64 s[18:19], exec, s[18:19]
	s_cbranch_execz .LBB209_122
; %bb.115:                              ;   in Loop: Header=BB209_114 Depth=2
	v_cmp_ne_u32_e32 vcc, s2, v9
                                        ; implicit-def: $sgpr20_sgpr21
	s_and_saveexec_b64 s[22:23], vcc
	s_xor_b64 s[22:23], exec, s[22:23]
; %bb.116:                              ;   in Loop: Header=BB209_114 Depth=2
	v_add_u32_e32 v6, 1, v23
	v_and_b32_e32 v23, 31, v6
	s_mov_b64 s[20:21], -1
                                        ; implicit-def: $vgpr6
; %bb.117:                              ;   in Loop: Header=BB209_114 Depth=2
	s_andn2_saveexec_b64 s[22:23], s[22:23]
	s_cbranch_execz .LBB209_121
; %bb.118:                              ;   in Loop: Header=BB209_114 Depth=2
	v_mov_b32_e32 v9, s2
	ds_cmpst_rtn_b32 v6, v6, v9, v22
	s_mov_b64 s[24:25], -1
	s_waitcnt lgkmcnt(0)
	v_cmp_eq_u32_e32 vcc, s2, v6
	s_and_saveexec_b64 s[26:27], vcc
	s_cbranch_execz .LBB209_120
; %bb.119:                              ;   in Loop: Header=BB209_114 Depth=2
	v_lshl_add_u32 v6, v23, 5, v15
	ds_add_f32 v6, v8
	ds_add_f32 v6, v7 offset:4
	s_xor_b64 s[24:25], exec, -1
.LBB209_120:                            ;   in Loop: Header=BB209_114 Depth=2
	s_or_b64 exec, exec, s[26:27]
	s_andn2_b64 s[20:21], s[20:21], exec
	s_and_b64 s[24:25], s[24:25], exec
	s_or_b64 s[20:21], s[20:21], s[24:25]
.LBB209_121:                            ;   in Loop: Header=BB209_114 Depth=2
	s_or_b64 exec, exec, s[22:23]
	s_and_b64 s[20:21], s[20:21], exec
.LBB209_122:                            ;   in Loop: Header=BB209_114 Depth=2
	s_andn2_saveexec_b64 s[18:19], s[18:19]
	s_cbranch_execz .LBB209_113
; %bb.123:                              ;   in Loop: Header=BB209_114 Depth=2
	v_lshl_add_u32 v6, v23, 5, v15
	ds_add_f32 v6, v8
	ds_add_f32 v6, v7 offset:4
	s_andn2_b64 s[20:21], s[20:21], exec
	s_branch .LBB209_113
.LBB209_124:
	s_or_b64 exec, exec, s[4:5]
.LBB209_125:
	v_mov_b32_e32 v1, s13
	v_add_co_u32_e32 v0, vcc, s12, v4
	v_addc_co_u32_e32 v1, vcc, v1, v5, vcc
	s_waitcnt lgkmcnt(0)
	global_load_dwordx2 v[2:3], v[0:1], off
	s_cmp_eq_u32 s0, 0
	v_lshl_add_u32 v1, v20, 2, v12
	v_lshl_add_u32 v0, v20, 5, v21
	s_cselect_b32 s3, 8, 16
	s_cselect_b32 s6, 16, 8
	v_or_b32_e32 v1, 0x4000, v1
	s_mov_b64 s[0:1], 0
	s_waitcnt vmcnt(0)
	v_subrev_co_u32_e32 v2, vcc, s38, v2
	v_subbrev_co_u32_e32 v3, vcc, 0, v3, vcc
	s_branch .LBB209_127
.LBB209_126:                            ;   in Loop: Header=BB209_127 Depth=1
	s_or_b64 exec, exec, s[4:5]
	v_add_co_u32_e32 v19, vcc, 16, v19
	s_xor_b64 s[4:5], vcc, -1
	s_and_b64 s[4:5], exec, s[4:5]
	v_add_u32_e32 v0, 0x200, v0
	s_or_b64 s[0:1], s[4:5], s[0:1]
	v_add_u32_e32 v1, 64, v1
	s_andn2_b64 exec, exec, s[0:1]
	s_cbranch_execz .LBB209_129
.LBB209_127:                            ; =>This Inner Loop Header: Depth=1
	ds_read_b32 v4, v1
	s_waitcnt lgkmcnt(0)
	v_cmp_gt_i32_e32 vcc, s2, v4
	s_and_saveexec_b64 s[4:5], vcc
	s_cbranch_execz .LBB209_126
; %bb.128:                              ;   in Loop: Header=BB209_127 Depth=1
	ds_read_b128 v[6:9], v18
	ds_read_b128 v[10:13], v18 offset:16
	ds_read_b128 v[14:17], v18 offset:32
	;; [unrolled: 1-line block ×3, first 2 shown]
	s_waitcnt lgkmcnt(3)
	v_cmp_gt_i32_e32 vcc, v4, v6
	v_cndmask_b32_e64 v5, 0, 1, vcc
	v_add_co_u32_e32 v5, vcc, v2, v5
	v_addc_co_u32_e32 v6, vcc, 0, v3, vcc
	v_cmp_gt_i32_e32 vcc, v4, v7
	v_cndmask_b32_e64 v7, 0, 1, vcc
	v_add_co_u32_e32 v5, vcc, v5, v7
	v_addc_co_u32_e32 v6, vcc, 0, v6, vcc
	v_cmp_gt_i32_e32 vcc, v4, v8
	v_cndmask_b32_e64 v7, 0, 1, vcc
	v_add_co_u32_e32 v5, vcc, v5, v7
	v_addc_co_u32_e32 v6, vcc, 0, v6, vcc
	v_cmp_gt_i32_e32 vcc, v4, v9
	v_cndmask_b32_e64 v7, 0, 1, vcc
	v_add_co_u32_e32 v5, vcc, v5, v7
	v_addc_co_u32_e32 v6, vcc, 0, v6, vcc
	s_waitcnt lgkmcnt(2)
	v_cmp_gt_i32_e32 vcc, v4, v10
	v_cndmask_b32_e64 v7, 0, 1, vcc
	v_add_co_u32_e32 v5, vcc, v5, v7
	v_addc_co_u32_e32 v6, vcc, 0, v6, vcc
	v_cmp_gt_i32_e32 vcc, v4, v11
	v_cndmask_b32_e64 v7, 0, 1, vcc
	v_add_co_u32_e32 v5, vcc, v5, v7
	v_addc_co_u32_e32 v6, vcc, 0, v6, vcc
	v_cmp_gt_i32_e32 vcc, v4, v12
	v_cndmask_b32_e64 v7, 0, 1, vcc
	v_add_co_u32_e32 v5, vcc, v5, v7
	v_addc_co_u32_e32 v6, vcc, 0, v6, vcc
	v_cmp_gt_i32_e32 vcc, v4, v13
	v_cndmask_b32_e64 v7, 0, 1, vcc
	v_add_co_u32_e32 v5, vcc, v5, v7
	v_addc_co_u32_e32 v6, vcc, 0, v6, vcc
	;; [unrolled: 17-line block ×3, first 2 shown]
	s_waitcnt lgkmcnt(0)
	v_cmp_gt_i32_e32 vcc, v4, v20
	v_cndmask_b32_e64 v7, 0, 1, vcc
	v_add_co_u32_e32 v5, vcc, v5, v7
	v_addc_co_u32_e32 v6, vcc, 0, v6, vcc
	v_cmp_gt_i32_e32 vcc, v4, v21
	v_cndmask_b32_e64 v7, 0, 1, vcc
	v_add_co_u32_e32 v5, vcc, v5, v7
	v_addc_co_u32_e32 v6, vcc, 0, v6, vcc
	;; [unrolled: 4-line block ×3, first 2 shown]
	ds_read_b128 v[6:9], v18 offset:64
	v_cmp_gt_i32_e32 vcc, v4, v23
	v_cndmask_b32_e64 v11, 0, 1, vcc
	v_add_co_u32_e32 v5, vcc, v5, v11
	v_addc_co_u32_e32 v14, vcc, 0, v10, vcc
	ds_read_b128 v[10:13], v18 offset:80
	s_waitcnt lgkmcnt(1)
	v_cmp_gt_i32_e32 vcc, v4, v6
	v_cndmask_b32_e64 v6, 0, 1, vcc
	v_add_co_u32_e32 v5, vcc, v5, v6
	v_addc_co_u32_e32 v6, vcc, 0, v14, vcc
	v_cmp_gt_i32_e32 vcc, v4, v7
	v_cndmask_b32_e64 v7, 0, 1, vcc
	v_add_co_u32_e32 v5, vcc, v5, v7
	v_addc_co_u32_e32 v6, vcc, 0, v6, vcc
	v_cmp_gt_i32_e32 vcc, v4, v8
	v_cndmask_b32_e64 v7, 0, 1, vcc
	v_add_co_u32_e32 v5, vcc, v5, v7
	v_addc_co_u32_e32 v6, vcc, 0, v6, vcc
	v_cmp_gt_i32_e32 vcc, v4, v9
	v_cndmask_b32_e64 v7, 0, 1, vcc
	v_add_co_u32_e32 v5, vcc, v5, v7
	v_addc_co_u32_e32 v6, vcc, 0, v6, vcc
	s_waitcnt lgkmcnt(0)
	v_cmp_gt_i32_e32 vcc, v4, v10
	v_cndmask_b32_e64 v7, 0, 1, vcc
	v_add_co_u32_e32 v5, vcc, v5, v7
	v_addc_co_u32_e32 v6, vcc, 0, v6, vcc
	v_cmp_gt_i32_e32 vcc, v4, v11
	v_cndmask_b32_e64 v7, 0, 1, vcc
	v_add_co_u32_e32 v5, vcc, v5, v7
	v_addc_co_u32_e32 v6, vcc, 0, v6, vcc
	;; [unrolled: 4-line block ×3, first 2 shown]
	ds_read_b128 v[6:9], v18 offset:96
	v_cmp_gt_i32_e32 vcc, v4, v13
	v_cndmask_b32_e64 v11, 0, 1, vcc
	v_add_co_u32_e32 v5, vcc, v5, v11
	v_addc_co_u32_e32 v14, vcc, 0, v10, vcc
	ds_read_b128 v[10:13], v18 offset:112
	s_waitcnt lgkmcnt(1)
	v_cmp_gt_i32_e32 vcc, v4, v6
	v_cndmask_b32_e64 v6, 0, 1, vcc
	v_add_co_u32_e32 v5, vcc, v5, v6
	v_addc_co_u32_e32 v6, vcc, 0, v14, vcc
	v_cmp_gt_i32_e32 vcc, v4, v7
	v_cndmask_b32_e64 v7, 0, 1, vcc
	v_add_co_u32_e32 v5, vcc, v5, v7
	v_addc_co_u32_e32 v6, vcc, 0, v6, vcc
	;; [unrolled: 4-line block ×4, first 2 shown]
	s_waitcnt lgkmcnt(0)
	v_cmp_gt_i32_e32 vcc, v4, v10
	v_cndmask_b32_e64 v7, 0, 1, vcc
	v_add_co_u32_e32 v5, vcc, v5, v7
	v_addc_co_u32_e32 v6, vcc, 0, v6, vcc
	v_cmp_gt_i32_e32 vcc, v4, v11
	v_cndmask_b32_e64 v7, 0, 1, vcc
	v_add_co_u32_e32 v5, vcc, v5, v7
	v_addc_co_u32_e32 v6, vcc, 0, v6, vcc
	;; [unrolled: 4-line block ×4, first 2 shown]
	v_add_u32_e32 v12, s38, v4
	v_lshlrev_b64 v[4:5], 2, v[8:9]
	v_mov_b32_e32 v6, s15
	v_add_co_u32_e32 v10, vcc, s14, v4
	v_addc_co_u32_e32 v11, vcc, v6, v5, vcc
	ds_read2_b64 v[4:7], v0 offset1:3
	global_store_dword v[10:11], v12, off
	v_lshlrev_b64 v[12:13], 5, v[8:9]
	v_add_u32_e32 v10, s3, v0
	v_mov_b32_e32 v14, s35
	s_waitcnt lgkmcnt(0)
	v_mov_b32_e32 v8, v4
	v_add_u32_e32 v4, s6, v0
	v_mov_b32_e32 v9, v5
	ds_read_b64 v[10:11], v10
	ds_read_b64 v[4:5], v4
	v_add_co_u32_e32 v12, vcc, s34, v12
	v_addc_co_u32_e32 v13, vcc, v14, v13, vcc
	s_waitcnt lgkmcnt(1)
	global_store_dwordx4 v[12:13], v[8:11], off
	s_waitcnt lgkmcnt(0)
	global_store_dwordx4 v[12:13], v[4:7], off offset:16
	s_branch .LBB209_126
.LBB209_129:
	s_endpgm
	.section	.rodata,"a",@progbits
	.p2align	6, 0x0
	.amdhsa_kernel _ZN9rocsparseL27bsrgemm_fill_wf_per_row_2x2ILj256ELj16ELj32ELj137Eli21rocsparse_complex_numIfEEEv20rocsparse_direction_T4_S4_PKS4_S6_NS_24const_host_device_scalarIT5_EEPKT3_S6_PKS8_SC_S6_SE_S9_SC_S6_SE_SC_PS4_PS8_21rocsparse_index_base_SH_SH_SH_bbb
		.amdhsa_group_segment_fixed_size 18432
		.amdhsa_private_segment_fixed_size 0
		.amdhsa_kernarg_size 164
		.amdhsa_user_sgpr_count 6
		.amdhsa_user_sgpr_private_segment_buffer 1
		.amdhsa_user_sgpr_dispatch_ptr 0
		.amdhsa_user_sgpr_queue_ptr 0
		.amdhsa_user_sgpr_kernarg_segment_ptr 1
		.amdhsa_user_sgpr_dispatch_id 0
		.amdhsa_user_sgpr_flat_scratch_init 0
		.amdhsa_user_sgpr_kernarg_preload_length 0
		.amdhsa_user_sgpr_kernarg_preload_offset 0
		.amdhsa_user_sgpr_private_segment_size 0
		.amdhsa_uses_dynamic_stack 0
		.amdhsa_system_sgpr_private_segment_wavefront_offset 0
		.amdhsa_system_sgpr_workgroup_id_x 1
		.amdhsa_system_sgpr_workgroup_id_y 0
		.amdhsa_system_sgpr_workgroup_id_z 0
		.amdhsa_system_sgpr_workgroup_info 0
		.amdhsa_system_vgpr_workitem_id 0
		.amdhsa_next_free_vgpr 43
		.amdhsa_next_free_sgpr 59
		.amdhsa_accum_offset 44
		.amdhsa_reserve_vcc 1
		.amdhsa_reserve_flat_scratch 0
		.amdhsa_float_round_mode_32 0
		.amdhsa_float_round_mode_16_64 0
		.amdhsa_float_denorm_mode_32 3
		.amdhsa_float_denorm_mode_16_64 3
		.amdhsa_dx10_clamp 1
		.amdhsa_ieee_mode 1
		.amdhsa_fp16_overflow 0
		.amdhsa_tg_split 0
		.amdhsa_exception_fp_ieee_invalid_op 0
		.amdhsa_exception_fp_denorm_src 0
		.amdhsa_exception_fp_ieee_div_zero 0
		.amdhsa_exception_fp_ieee_overflow 0
		.amdhsa_exception_fp_ieee_underflow 0
		.amdhsa_exception_fp_ieee_inexact 0
		.amdhsa_exception_int_div_zero 0
	.end_amdhsa_kernel
	.section	.text._ZN9rocsparseL27bsrgemm_fill_wf_per_row_2x2ILj256ELj16ELj32ELj137Eli21rocsparse_complex_numIfEEEv20rocsparse_direction_T4_S4_PKS4_S6_NS_24const_host_device_scalarIT5_EEPKT3_S6_PKS8_SC_S6_SE_S9_SC_S6_SE_SC_PS4_PS8_21rocsparse_index_base_SH_SH_SH_bbb,"axG",@progbits,_ZN9rocsparseL27bsrgemm_fill_wf_per_row_2x2ILj256ELj16ELj32ELj137Eli21rocsparse_complex_numIfEEEv20rocsparse_direction_T4_S4_PKS4_S6_NS_24const_host_device_scalarIT5_EEPKT3_S6_PKS8_SC_S6_SE_S9_SC_S6_SE_SC_PS4_PS8_21rocsparse_index_base_SH_SH_SH_bbb,comdat
.Lfunc_end209:
	.size	_ZN9rocsparseL27bsrgemm_fill_wf_per_row_2x2ILj256ELj16ELj32ELj137Eli21rocsparse_complex_numIfEEEv20rocsparse_direction_T4_S4_PKS4_S6_NS_24const_host_device_scalarIT5_EEPKT3_S6_PKS8_SC_S6_SE_S9_SC_S6_SE_SC_PS4_PS8_21rocsparse_index_base_SH_SH_SH_bbb, .Lfunc_end209-_ZN9rocsparseL27bsrgemm_fill_wf_per_row_2x2ILj256ELj16ELj32ELj137Eli21rocsparse_complex_numIfEEEv20rocsparse_direction_T4_S4_PKS4_S6_NS_24const_host_device_scalarIT5_EEPKT3_S6_PKS8_SC_S6_SE_S9_SC_S6_SE_SC_PS4_PS8_21rocsparse_index_base_SH_SH_SH_bbb
                                        ; -- End function
	.section	.AMDGPU.csdata,"",@progbits
; Kernel info:
; codeLenInByte = 4500
; NumSgprs: 63
; NumVgprs: 43
; NumAgprs: 0
; TotalNumVgprs: 43
; ScratchSize: 0
; MemoryBound: 0
; FloatMode: 240
; IeeeMode: 1
; LDSByteSize: 18432 bytes/workgroup (compile time only)
; SGPRBlocks: 7
; VGPRBlocks: 5
; NumSGPRsForWavesPerEU: 63
; NumVGPRsForWavesPerEU: 43
; AccumOffset: 44
; Occupancy: 3
; WaveLimiterHint : 1
; COMPUTE_PGM_RSRC2:SCRATCH_EN: 0
; COMPUTE_PGM_RSRC2:USER_SGPR: 6
; COMPUTE_PGM_RSRC2:TRAP_HANDLER: 0
; COMPUTE_PGM_RSRC2:TGID_X_EN: 1
; COMPUTE_PGM_RSRC2:TGID_Y_EN: 0
; COMPUTE_PGM_RSRC2:TGID_Z_EN: 0
; COMPUTE_PGM_RSRC2:TIDIG_COMP_CNT: 0
; COMPUTE_PGM_RSRC3_GFX90A:ACCUM_OFFSET: 10
; COMPUTE_PGM_RSRC3_GFX90A:TG_SPLIT: 0
	.section	.text._ZN9rocsparseL30bsrgemm_fill_block_per_row_2x2ILj256ELj16ELj64ELj137Eli21rocsparse_complex_numIfEEEv20rocsparse_direction_T4_S4_PKS4_S6_NS_24const_host_device_scalarIT5_EEPKT3_S6_PKS8_SC_S6_SE_S9_SC_S6_SE_SC_PS4_PS8_21rocsparse_index_base_SH_SH_SH_bbb,"axG",@progbits,_ZN9rocsparseL30bsrgemm_fill_block_per_row_2x2ILj256ELj16ELj64ELj137Eli21rocsparse_complex_numIfEEEv20rocsparse_direction_T4_S4_PKS4_S6_NS_24const_host_device_scalarIT5_EEPKT3_S6_PKS8_SC_S6_SE_S9_SC_S6_SE_SC_PS4_PS8_21rocsparse_index_base_SH_SH_SH_bbb,comdat
	.globl	_ZN9rocsparseL30bsrgemm_fill_block_per_row_2x2ILj256ELj16ELj64ELj137Eli21rocsparse_complex_numIfEEEv20rocsparse_direction_T4_S4_PKS4_S6_NS_24const_host_device_scalarIT5_EEPKT3_S6_PKS8_SC_S6_SE_S9_SC_S6_SE_SC_PS4_PS8_21rocsparse_index_base_SH_SH_SH_bbb ; -- Begin function _ZN9rocsparseL30bsrgemm_fill_block_per_row_2x2ILj256ELj16ELj64ELj137Eli21rocsparse_complex_numIfEEEv20rocsparse_direction_T4_S4_PKS4_S6_NS_24const_host_device_scalarIT5_EEPKT3_S6_PKS8_SC_S6_SE_S9_SC_S6_SE_SC_PS4_PS8_21rocsparse_index_base_SH_SH_SH_bbb
	.p2align	8
	.type	_ZN9rocsparseL30bsrgemm_fill_block_per_row_2x2ILj256ELj16ELj64ELj137Eli21rocsparse_complex_numIfEEEv20rocsparse_direction_T4_S4_PKS4_S6_NS_24const_host_device_scalarIT5_EEPKT3_S6_PKS8_SC_S6_SE_S9_SC_S6_SE_SC_PS4_PS8_21rocsparse_index_base_SH_SH_SH_bbb,@function
_ZN9rocsparseL30bsrgemm_fill_block_per_row_2x2ILj256ELj16ELj64ELj137Eli21rocsparse_complex_numIfEEEv20rocsparse_direction_T4_S4_PKS4_S6_NS_24const_host_device_scalarIT5_EEPKT3_S6_PKS8_SC_S6_SE_S9_SC_S6_SE_SC_PS4_PS8_21rocsparse_index_base_SH_SH_SH_bbb: ; @_ZN9rocsparseL30bsrgemm_fill_block_per_row_2x2ILj256ELj16ELj64ELj137Eli21rocsparse_complex_numIfEEEv20rocsparse_direction_T4_S4_PKS4_S6_NS_24const_host_device_scalarIT5_EEPKT3_S6_PKS8_SC_S6_SE_S9_SC_S6_SE_SC_PS4_PS8_21rocsparse_index_base_SH_SH_SH_bbb
; %bb.0:
	s_load_dwordx8 s[8:15], s[4:5], 0x68
	s_load_dwordx8 s[16:23], s[4:5], 0x48
	s_load_dword s7, s[4:5], 0xa0
	s_load_dwordx4 s[40:43], s[4:5], 0x10
	s_load_dwordx8 s[24:31], s[4:5], 0x28
	s_load_dwordx2 s[2:3], s[4:5], 0x88
	s_load_dwordx4 s[36:39], s[4:5], 0x90
	s_waitcnt lgkmcnt(0)
	s_bitcmp1_b32 s7, 0
	s_cselect_b64 s[46:47], -1, 0
	s_bitcmp1_b32 s7, 16
	s_cselect_b64 s[0:1], -1, 0
	s_xor_b64 s[0:1], s[0:1], -1
	v_cndmask_b32_e64 v1, 0, 1, s[0:1]
	s_mov_b32 s35, 0
	s_bitcmp0_b32 s7, 0
	v_cmp_ne_u32_e64 s[0:1], 1, v1
	s_mov_b32 s60, 0
	s_cbranch_scc1 .LBB210_5
; %bb.1:
	s_load_dwordx2 s[34:35], s[4:5], 0x20
	s_and_b64 vcc, exec, s[0:1]
	s_waitcnt lgkmcnt(0)
	s_mov_b32 s60, s34
	s_cbranch_vccnz .LBB210_3
; %bb.2:
	s_load_dword s60, s[34:35], 0x0
.LBB210_3:
	s_and_b64 vcc, exec, s[0:1]
	s_cbranch_vccnz .LBB210_5
; %bb.4:
	s_load_dword s35, s[34:35], 0x4
.LBB210_5:
	s_bitcmp1_b32 s7, 8
	s_cselect_b64 s[44:45], -1, 0
	s_bfe_u32 s7, s7, 0x10008
	s_mov_b32 s34, 0
	s_cmp_eq_u32 s7, 0
	s_mov_b32 s33, 0
	s_cbranch_scc1 .LBB210_11
; %bb.6:
	s_and_b64 vcc, exec, s[0:1]
	s_mov_b32 s33, s20
	s_cbranch_vccnz .LBB210_8
; %bb.7:
	s_load_dword s33, s[20:21], 0x0
.LBB210_8:
	s_and_b64 vcc, exec, s[0:1]
	s_cbranch_vccnz .LBB210_10
; %bb.9:
	s_load_dword s21, s[20:21], 0x4
.LBB210_10:
	s_waitcnt lgkmcnt(0)
	s_mov_b32 s34, s21
.LBB210_11:
	s_load_dword s58, s[4:5], 0x8
	v_cmp_gt_u32_e64 s[0:1], 64, v0
	v_lshl_add_u32 v1, v0, 2, 0
	s_and_saveexec_b64 s[20:21], s[0:1]
	s_cbranch_execz .LBB210_13
; %bb.12:
	s_waitcnt lgkmcnt(0)
	v_mov_b32_e32 v2, s58
	ds_write_b32 v1, v2
.LBB210_13:
	s_or_b64 exec, exec, s[20:21]
	s_movk_i32 s7, 0x100
	v_cmp_gt_u32_e32 vcc, s7, v0
	s_and_saveexec_b64 s[20:21], vcc
	s_cbranch_execz .LBB210_15
; %bb.14:
	v_lshl_add_u32 v2, v0, 3, 0
	v_mov_b32_e32 v3, 0
	ds_write2_b32 v2, v3, v3 offset0:64 offset1:65
.LBB210_15:
	s_or_b64 exec, exec, s[20:21]
	s_cmp_eq_u64 s[42:43], 0
	s_waitcnt lgkmcnt(0)
	s_barrier
	s_cbranch_scc1 .LBB210_17
; %bb.16:
	s_load_dword s7, s[40:41], 0x0
	s_waitcnt lgkmcnt(0)
	s_add_i32 s6, s7, s6
	s_mov_b32 s7, 0
	s_lshl_b64 s[6:7], s[6:7], 2
	s_add_u32 s6, s42, s6
	s_addc_u32 s7, s43, s7
	s_load_dword s6, s[6:7], 0x0
.LBB210_17:
	s_nop 0
	s_load_dword s59, s[4:5], 0x0
	s_andn2_b64 vcc, exec, s[46:47]
	s_waitcnt lgkmcnt(0)
	s_ashr_i32 s7, s6, 31
	s_cbranch_vccnz .LBB210_73
; %bb.18:
	s_lshl_b64 s[4:5], s[6:7], 3
	s_add_u32 s4, s24, s4
	s_addc_u32 s5, s25, s5
	s_load_dwordx4 s[48:51], s[4:5], 0x0
	v_lshrrev_b32_e32 v2, 4, v0
	v_subrev_co_u32_e32 v2, vcc, s36, v2
	v_subb_co_u32_e64 v3, s[20:21], 0, 0, vcc
	s_waitcnt lgkmcnt(0)
	s_sub_u32 s4, s50, s36
	v_mov_b32_e32 v4, s49
	v_add_co_u32_e32 v2, vcc, s48, v2
	s_subb_u32 s5, s51, 0
	v_addc_co_u32_e32 v3, vcc, v4, v3, vcc
	s_mov_b32 s40, 0
	v_cmp_gt_i64_e32 vcc, s[4:5], v[2:3]
	s_and_saveexec_b64 s[20:21], vcc
	s_cbranch_execz .LBB210_72
; %bb.19:
	v_and_b32_e32 v4, 15, v0
	v_subrev_co_u32_e32 v17, vcc, s37, v4
	s_cmp_eq_u32 s59, 0
	v_subb_co_u32_e64 v18, s[24:25], 0, 0, vcc
	s_mov_b32 s61, s37
	s_cselect_b32 s62, 2, 1
	s_cselect_b32 s63, 1, 2
	s_mov_b64 s[24:25], 0
	v_mov_b32_e32 v19, s27
	v_mov_b32_e32 v20, s31
	;; [unrolled: 1-line block ×3, first 2 shown]
	s_branch .LBB210_21
.LBB210_20:                             ;   in Loop: Header=BB210_21 Depth=1
	s_or_b64 exec, exec, s[40:41]
	v_add_co_u32_e32 v2, vcc, 16, v2
	v_addc_co_u32_e32 v3, vcc, 0, v3, vcc
	v_cmp_le_i64_e32 vcc, s[4:5], v[2:3]
	s_or_b64 s[24:25], vcc, s[24:25]
	s_andn2_b64 exec, exec, s[24:25]
	s_cbranch_execz .LBB210_72
.LBB210_21:                             ; =>This Loop Header: Depth=1
                                        ;     Child Loop BB210_24 Depth 2
                                        ;       Child Loop BB210_26 Depth 3
                                        ;       Child Loop BB210_38 Depth 3
	;; [unrolled: 1-line block ×4, first 2 shown]
	v_lshlrev_b64 v[8:9], 2, v[2:3]
	v_add_co_u32_e32 v4, vcc, s26, v8
	v_addc_co_u32_e32 v5, vcc, v19, v9, vcc
	global_load_dword v4, v[4:5], off
	s_waitcnt vmcnt(0)
	v_subrev_u32_e32 v4, s36, v4
	v_ashrrev_i32_e32 v5, 31, v4
	v_lshlrev_b64 v[4:5], 3, v[4:5]
	v_add_co_u32_e32 v4, vcc, s30, v4
	v_addc_co_u32_e32 v5, vcc, v20, v5, vcc
	global_load_dwordx4 v[10:13], v[4:5], off
	s_waitcnt vmcnt(0)
	v_subrev_co_u32_e32 v4, vcc, s61, v12
	v_subb_co_u32_e32 v5, vcc, v13, v21, vcc
	v_add_co_u32_e32 v6, vcc, v10, v17
	v_addc_co_u32_e32 v7, vcc, v11, v18, vcc
	v_cmp_lt_i64_e32 vcc, v[6:7], v[4:5]
	s_and_saveexec_b64 s[40:41], vcc
	s_cbranch_execz .LBB210_20
; %bb.22:                               ;   in Loop: Header=BB210_21 Depth=1
	v_lshlrev_b64 v[10:11], 5, v[2:3]
	v_mov_b32_e32 v16, s29
	v_add_co_u32_e32 v10, vcc, s28, v10
	v_or_b32_e32 v15, 0, v9
	v_or_b32_e32 v14, s62, v8
	v_addc_co_u32_e32 v11, vcc, v16, v11, vcc
	v_lshlrev_b64 v[14:15], 3, v[14:15]
	v_add_co_u32_e32 v14, vcc, s28, v14
	v_or_b32_e32 v9, 0, v9
	v_or_b32_e32 v8, s63, v8
	v_addc_co_u32_e32 v15, vcc, v16, v15, vcc
	v_lshlrev_b64 v[8:9], 3, v[8:9]
	v_add_co_u32_e32 v8, vcc, s28, v8
	global_load_dwordx2 v[12:13], v[10:11], off
	v_addc_co_u32_e32 v9, vcc, v16, v9, vcc
	global_load_dwordx2 v[14:15], v[14:15], off
	s_nop 0
	global_load_dwordx2 v[30:31], v[8:9], off
	global_load_dwordx2 v[32:33], v[10:11], off offset:24
	s_mov_b64 s[42:43], 0
	s_waitcnt vmcnt(3)
	v_mul_f32_e64 v22, v13, -s35
	v_mul_f32_e32 v23, s60, v13
	s_waitcnt vmcnt(2)
	v_mul_f32_e64 v24, v15, -s35
	v_mul_f32_e32 v25, s60, v15
	s_waitcnt vmcnt(0)
	v_mul_f32_e32 v26, s60, v33
	v_mul_f32_e64 v27, v33, -s35
	v_mul_f32_e32 v28, s60, v31
	v_mul_f32_e64 v29, v31, -s35
	v_fmac_f32_e32 v22, s60, v12
	v_fmac_f32_e32 v23, s35, v12
	;; [unrolled: 1-line block ×8, first 2 shown]
	s_branch .LBB210_24
.LBB210_23:                             ;   in Loop: Header=BB210_24 Depth=2
	s_or_b64 exec, exec, s[46:47]
	v_add_co_u32_e32 v6, vcc, 16, v6
	v_addc_co_u32_e32 v7, vcc, 0, v7, vcc
	v_cmp_ge_i64_e32 vcc, v[6:7], v[4:5]
	s_or_b64 s[42:43], vcc, s[42:43]
	s_andn2_b64 exec, exec, s[42:43]
	s_cbranch_execz .LBB210_20
.LBB210_24:                             ;   Parent Loop BB210_21 Depth=1
                                        ; =>  This Loop Header: Depth=2
                                        ;       Child Loop BB210_26 Depth 3
                                        ;       Child Loop BB210_38 Depth 3
	;; [unrolled: 1-line block ×4, first 2 shown]
	v_lshlrev_b64 v[8:9], 2, v[6:7]
	v_mov_b32_e32 v11, s17
	v_add_co_u32_e32 v10, vcc, s16, v8
	v_addc_co_u32_e32 v11, vcc, v11, v9, vcc
	global_load_dword v16, v[10:11], off
	v_or_b32_e32 v11, 0, v9
	v_or_b32_e32 v10, s63, v8
	;; [unrolled: 1-line block ×4, first 2 shown]
	v_lshlrev_b64 v[8:9], 3, v[8:9]
	v_mov_b32_e32 v32, s19
	v_add_co_u32_e32 v8, vcc, s18, v8
	v_lshlrev_b64 v[12:13], 5, v[6:7]
	v_addc_co_u32_e32 v9, vcc, v32, v9, vcc
	v_add_co_u32_e32 v30, vcc, s18, v12
	global_load_dwordx2 v[14:15], v[8:9], off
	v_addc_co_u32_e32 v31, vcc, v32, v13, vcc
	global_load_dwordx2 v[12:13], v[30:31], off
	v_lshlrev_b64 v[8:9], 3, v[10:11]
	v_add_co_u32_e32 v8, vcc, s18, v8
	v_addc_co_u32_e32 v9, vcc, v32, v9, vcc
	global_load_dwordx2 v[8:9], v[8:9], off
	s_nop 0
	global_load_dwordx2 v[10:11], v[30:31], off offset:24
	s_mov_b64 s[46:47], 0
	s_waitcnt vmcnt(4)
	v_subrev_u32_e32 v30, s37, v16
	v_lshl_add_u32 v16, v30, 3, v30
	v_and_b32_e32 v31, 63, v16
	v_mov_b32_e32 v34, v31
	s_waitcnt vmcnt(3)
	v_mul_f32_e64 v33, v15, -v28
	v_mul_f32_e32 v32, v29, v15
	v_fmac_f32_e32 v33, v29, v14
	v_fmac_f32_e32 v32, v28, v14
	s_waitcnt vmcnt(2)
	v_fmac_f32_e32 v33, v22, v12
	v_fmac_f32_e32 v32, v23, v12
	v_fma_f32 v33, -v23, v13, v33
	v_fmac_f32_e32 v32, v22, v13
	s_branch .LBB210_26
.LBB210_25:                             ;   in Loop: Header=BB210_26 Depth=3
	s_or_b64 exec, exec, s[48:49]
	s_xor_b64 s[48:49], s[50:51], -1
	s_and_b64 s[48:49], exec, s[48:49]
	s_or_b64 s[46:47], s[48:49], s[46:47]
	s_andn2_b64 exec, exec, s[46:47]
	s_cbranch_execz .LBB210_36
.LBB210_26:                             ;   Parent Loop BB210_21 Depth=1
                                        ;     Parent Loop BB210_24 Depth=2
                                        ; =>    This Inner Loop Header: Depth=3
	v_lshl_add_u32 v16, v34, 2, 0
	ds_read_b32 v35, v16
                                        ; implicit-def: $sgpr50_sgpr51
	s_waitcnt lgkmcnt(0)
	v_cmp_ne_u32_e32 vcc, v35, v30
	s_and_saveexec_b64 s[48:49], vcc
	s_xor_b64 s[48:49], exec, s[48:49]
	s_cbranch_execz .LBB210_34
; %bb.27:                               ;   in Loop: Header=BB210_26 Depth=3
	v_cmp_ne_u32_e32 vcc, s58, v35
                                        ; implicit-def: $sgpr50_sgpr51
	s_and_saveexec_b64 s[52:53], vcc
	s_xor_b64 s[52:53], exec, s[52:53]
; %bb.28:                               ;   in Loop: Header=BB210_26 Depth=3
	v_add_u32_e32 v16, 1, v34
	v_and_b32_e32 v34, 63, v16
	s_mov_b64 s[50:51], -1
                                        ; implicit-def: $vgpr16
; %bb.29:                               ;   in Loop: Header=BB210_26 Depth=3
	s_andn2_saveexec_b64 s[52:53], s[52:53]
	s_cbranch_execz .LBB210_33
; %bb.30:                               ;   in Loop: Header=BB210_26 Depth=3
	v_mov_b32_e32 v35, s58
	ds_cmpst_rtn_b32 v35, v16, v35, v30
	s_mov_b64 s[56:57], -1
	s_waitcnt lgkmcnt(0)
	v_cmp_eq_u32_e32 vcc, s58, v35
	s_and_saveexec_b64 s[54:55], vcc
	s_cbranch_execz .LBB210_32
; %bb.31:                               ;   in Loop: Header=BB210_26 Depth=3
	v_mad_u64_u32 v[36:37], s[56:57], v34, 28, v[16:17]
	ds_add_f32 v36, v33 offset:256
	ds_add_f32 v36, v32 offset:260
	s_xor_b64 s[56:57], exec, -1
.LBB210_32:                             ;   in Loop: Header=BB210_26 Depth=3
	s_or_b64 exec, exec, s[54:55]
	s_andn2_b64 s[50:51], s[50:51], exec
	s_and_b64 s[54:55], s[56:57], exec
	s_or_b64 s[50:51], s[50:51], s[54:55]
.LBB210_33:                             ;   in Loop: Header=BB210_26 Depth=3
	s_or_b64 exec, exec, s[52:53]
	s_and_b64 s[50:51], s[50:51], exec
                                        ; implicit-def: $vgpr16
.LBB210_34:                             ;   in Loop: Header=BB210_26 Depth=3
	s_andn2_saveexec_b64 s[48:49], s[48:49]
	s_cbranch_execz .LBB210_25
; %bb.35:                               ;   in Loop: Header=BB210_26 Depth=3
	v_mad_u64_u32 v[36:37], s[52:53], v34, 28, v[16:17]
	ds_add_f32 v36, v33 offset:256
	ds_add_f32 v36, v32 offset:260
	s_andn2_b64 s[50:51], s[50:51], exec
	s_branch .LBB210_25
.LBB210_36:                             ;   in Loop: Header=BB210_24 Depth=2
	s_or_b64 exec, exec, s[46:47]
	s_waitcnt vmcnt(0)
	v_mul_f32_e64 v16, v11, -v28
	v_mul_f32_e32 v32, v29, v11
	v_fmac_f32_e32 v16, v29, v10
	v_fmac_f32_e32 v32, v28, v10
	;; [unrolled: 1-line block ×4, first 2 shown]
	v_fma_f32 v33, -v23, v9, v16
	v_fmac_f32_e32 v32, v22, v9
	s_mov_b64 s[46:47], 0
	v_mov_b32_e32 v34, v31
	s_branch .LBB210_38
.LBB210_37:                             ;   in Loop: Header=BB210_38 Depth=3
	s_or_b64 exec, exec, s[48:49]
	s_xor_b64 s[48:49], s[50:51], -1
	s_and_b64 s[48:49], exec, s[48:49]
	s_or_b64 s[46:47], s[48:49], s[46:47]
	s_andn2_b64 exec, exec, s[46:47]
	s_cbranch_execz .LBB210_48
.LBB210_38:                             ;   Parent Loop BB210_21 Depth=1
                                        ;     Parent Loop BB210_24 Depth=2
                                        ; =>    This Inner Loop Header: Depth=3
	v_lshl_add_u32 v16, v34, 2, 0
	ds_read_b32 v35, v16
                                        ; implicit-def: $sgpr50_sgpr51
	s_waitcnt lgkmcnt(0)
	v_cmp_ne_u32_e32 vcc, v35, v30
	s_and_saveexec_b64 s[48:49], vcc
	s_xor_b64 s[48:49], exec, s[48:49]
	s_cbranch_execz .LBB210_46
; %bb.39:                               ;   in Loop: Header=BB210_38 Depth=3
	v_cmp_ne_u32_e32 vcc, s58, v35
                                        ; implicit-def: $sgpr50_sgpr51
	s_and_saveexec_b64 s[52:53], vcc
	s_xor_b64 s[52:53], exec, s[52:53]
; %bb.40:                               ;   in Loop: Header=BB210_38 Depth=3
	v_add_u32_e32 v16, 1, v34
	v_and_b32_e32 v34, 63, v16
	s_mov_b64 s[50:51], -1
                                        ; implicit-def: $vgpr16
; %bb.41:                               ;   in Loop: Header=BB210_38 Depth=3
	s_andn2_saveexec_b64 s[52:53], s[52:53]
	s_cbranch_execz .LBB210_45
; %bb.42:                               ;   in Loop: Header=BB210_38 Depth=3
	v_mov_b32_e32 v35, s58
	ds_cmpst_rtn_b32 v35, v16, v35, v30
	s_mov_b64 s[56:57], -1
	s_waitcnt lgkmcnt(0)
	v_cmp_eq_u32_e32 vcc, s58, v35
	s_and_saveexec_b64 s[54:55], vcc
	s_cbranch_execz .LBB210_44
; %bb.43:                               ;   in Loop: Header=BB210_38 Depth=3
	v_mad_u64_u32 v[36:37], s[56:57], v34, 28, v[16:17]
	ds_add_f32 v36, v33 offset:264
	ds_add_f32 v36, v32 offset:268
	s_xor_b64 s[56:57], exec, -1
.LBB210_44:                             ;   in Loop: Header=BB210_38 Depth=3
	s_or_b64 exec, exec, s[54:55]
	s_andn2_b64 s[50:51], s[50:51], exec
	s_and_b64 s[54:55], s[56:57], exec
	s_or_b64 s[50:51], s[50:51], s[54:55]
.LBB210_45:                             ;   in Loop: Header=BB210_38 Depth=3
	s_or_b64 exec, exec, s[52:53]
	s_and_b64 s[50:51], s[50:51], exec
                                        ; implicit-def: $vgpr16
.LBB210_46:                             ;   in Loop: Header=BB210_38 Depth=3
	s_andn2_saveexec_b64 s[48:49], s[48:49]
	s_cbranch_execz .LBB210_37
; %bb.47:                               ;   in Loop: Header=BB210_38 Depth=3
	v_mad_u64_u32 v[36:37], s[52:53], v34, 28, v[16:17]
	ds_add_f32 v36, v33 offset:264
	ds_add_f32 v36, v32 offset:268
	s_andn2_b64 s[50:51], s[50:51], exec
	s_branch .LBB210_37
.LBB210_48:                             ;   in Loop: Header=BB210_24 Depth=2
	s_or_b64 exec, exec, s[46:47]
	v_mul_f32_e64 v16, v15, -v26
	v_mul_f32_e32 v15, v27, v15
	v_fmac_f32_e32 v16, v27, v14
	v_fmac_f32_e32 v15, v26, v14
	;; [unrolled: 1-line block ×4, first 2 shown]
	v_fma_f32 v14, -v25, v13, v16
	v_fmac_f32_e32 v15, v24, v13
	s_mov_b64 s[46:47], 0
	v_mov_b32_e32 v13, v31
	s_branch .LBB210_50
.LBB210_49:                             ;   in Loop: Header=BB210_50 Depth=3
	s_or_b64 exec, exec, s[48:49]
	s_xor_b64 s[48:49], s[50:51], -1
	s_and_b64 s[48:49], exec, s[48:49]
	s_or_b64 s[46:47], s[48:49], s[46:47]
	s_andn2_b64 exec, exec, s[46:47]
	s_cbranch_execz .LBB210_60
.LBB210_50:                             ;   Parent Loop BB210_21 Depth=1
                                        ;     Parent Loop BB210_24 Depth=2
                                        ; =>    This Inner Loop Header: Depth=3
	v_lshl_add_u32 v12, v13, 2, 0
	ds_read_b32 v16, v12
                                        ; implicit-def: $sgpr50_sgpr51
	s_waitcnt lgkmcnt(0)
	v_cmp_ne_u32_e32 vcc, v16, v30
	s_and_saveexec_b64 s[48:49], vcc
	s_xor_b64 s[48:49], exec, s[48:49]
	s_cbranch_execz .LBB210_58
; %bb.51:                               ;   in Loop: Header=BB210_50 Depth=3
	v_cmp_ne_u32_e32 vcc, s58, v16
                                        ; implicit-def: $sgpr50_sgpr51
	s_and_saveexec_b64 s[52:53], vcc
	s_xor_b64 s[52:53], exec, s[52:53]
; %bb.52:                               ;   in Loop: Header=BB210_50 Depth=3
	v_add_u32_e32 v12, 1, v13
	v_and_b32_e32 v13, 63, v12
	s_mov_b64 s[50:51], -1
                                        ; implicit-def: $vgpr12
; %bb.53:                               ;   in Loop: Header=BB210_50 Depth=3
	s_andn2_saveexec_b64 s[52:53], s[52:53]
	s_cbranch_execz .LBB210_57
; %bb.54:                               ;   in Loop: Header=BB210_50 Depth=3
	v_mov_b32_e32 v16, s58
	ds_cmpst_rtn_b32 v16, v12, v16, v30
	s_mov_b64 s[56:57], -1
	s_waitcnt lgkmcnt(0)
	v_cmp_eq_u32_e32 vcc, s58, v16
	s_and_saveexec_b64 s[54:55], vcc
	s_cbranch_execz .LBB210_56
; %bb.55:                               ;   in Loop: Header=BB210_50 Depth=3
	v_mad_u64_u32 v[32:33], s[56:57], v13, 28, v[12:13]
	ds_add_f32 v32, v14 offset:272
	ds_add_f32 v32, v15 offset:276
	s_xor_b64 s[56:57], exec, -1
.LBB210_56:                             ;   in Loop: Header=BB210_50 Depth=3
	s_or_b64 exec, exec, s[54:55]
	s_andn2_b64 s[50:51], s[50:51], exec
	s_and_b64 s[54:55], s[56:57], exec
	s_or_b64 s[50:51], s[50:51], s[54:55]
.LBB210_57:                             ;   in Loop: Header=BB210_50 Depth=3
	s_or_b64 exec, exec, s[52:53]
	s_and_b64 s[50:51], s[50:51], exec
                                        ; implicit-def: $vgpr12
.LBB210_58:                             ;   in Loop: Header=BB210_50 Depth=3
	s_andn2_saveexec_b64 s[48:49], s[48:49]
	s_cbranch_execz .LBB210_49
; %bb.59:                               ;   in Loop: Header=BB210_50 Depth=3
	v_mad_u64_u32 v[32:33], s[52:53], v13, 28, v[12:13]
	ds_add_f32 v32, v14 offset:272
	ds_add_f32 v32, v15 offset:276
	s_andn2_b64 s[50:51], s[50:51], exec
	s_branch .LBB210_49
.LBB210_60:                             ;   in Loop: Header=BB210_24 Depth=2
	s_or_b64 exec, exec, s[46:47]
	v_mul_f32_e64 v12, v11, -v26
	v_mul_f32_e32 v11, v27, v11
	v_fmac_f32_e32 v12, v27, v10
	v_fmac_f32_e32 v11, v26, v10
	;; [unrolled: 1-line block ×4, first 2 shown]
	v_fma_f32 v10, -v25, v9, v12
	v_fmac_f32_e32 v11, v24, v9
	s_mov_b64 s[46:47], 0
	s_branch .LBB210_62
.LBB210_61:                             ;   in Loop: Header=BB210_62 Depth=3
	s_or_b64 exec, exec, s[48:49]
	s_xor_b64 s[48:49], s[50:51], -1
	s_and_b64 s[48:49], exec, s[48:49]
	s_or_b64 s[46:47], s[48:49], s[46:47]
	s_andn2_b64 exec, exec, s[46:47]
	s_cbranch_execz .LBB210_23
.LBB210_62:                             ;   Parent Loop BB210_21 Depth=1
                                        ;     Parent Loop BB210_24 Depth=2
                                        ; =>    This Inner Loop Header: Depth=3
	v_lshl_add_u32 v8, v31, 2, 0
	ds_read_b32 v9, v8
                                        ; implicit-def: $sgpr50_sgpr51
	s_waitcnt lgkmcnt(0)
	v_cmp_ne_u32_e32 vcc, v9, v30
	s_and_saveexec_b64 s[48:49], vcc
	s_xor_b64 s[48:49], exec, s[48:49]
	s_cbranch_execz .LBB210_70
; %bb.63:                               ;   in Loop: Header=BB210_62 Depth=3
	v_cmp_ne_u32_e32 vcc, s58, v9
                                        ; implicit-def: $sgpr50_sgpr51
	s_and_saveexec_b64 s[52:53], vcc
	s_xor_b64 s[52:53], exec, s[52:53]
; %bb.64:                               ;   in Loop: Header=BB210_62 Depth=3
	v_add_u32_e32 v8, 1, v31
	v_and_b32_e32 v31, 63, v8
	s_mov_b64 s[50:51], -1
                                        ; implicit-def: $vgpr8
; %bb.65:                               ;   in Loop: Header=BB210_62 Depth=3
	s_andn2_saveexec_b64 s[52:53], s[52:53]
	s_cbranch_execz .LBB210_69
; %bb.66:                               ;   in Loop: Header=BB210_62 Depth=3
	v_mov_b32_e32 v9, s58
	ds_cmpst_rtn_b32 v9, v8, v9, v30
	s_mov_b64 s[56:57], -1
	s_waitcnt lgkmcnt(0)
	v_cmp_eq_u32_e32 vcc, s58, v9
	s_and_saveexec_b64 s[54:55], vcc
	s_cbranch_execz .LBB210_68
; %bb.67:                               ;   in Loop: Header=BB210_62 Depth=3
	v_mad_u64_u32 v[8:9], s[56:57], v31, 28, v[8:9]
	ds_add_f32 v8, v10 offset:280
	ds_add_f32 v8, v11 offset:284
	s_xor_b64 s[56:57], exec, -1
.LBB210_68:                             ;   in Loop: Header=BB210_62 Depth=3
	s_or_b64 exec, exec, s[54:55]
	s_andn2_b64 s[50:51], s[50:51], exec
	s_and_b64 s[54:55], s[56:57], exec
	s_or_b64 s[50:51], s[50:51], s[54:55]
.LBB210_69:                             ;   in Loop: Header=BB210_62 Depth=3
	s_or_b64 exec, exec, s[52:53]
	s_and_b64 s[50:51], s[50:51], exec
                                        ; implicit-def: $vgpr8
.LBB210_70:                             ;   in Loop: Header=BB210_62 Depth=3
	s_andn2_saveexec_b64 s[48:49], s[48:49]
	s_cbranch_execz .LBB210_61
; %bb.71:                               ;   in Loop: Header=BB210_62 Depth=3
	v_mad_u64_u32 v[8:9], s[52:53], v31, 28, v[8:9]
	ds_add_f32 v8, v10 offset:280
	ds_add_f32 v8, v11 offset:284
	s_andn2_b64 s[50:51], s[50:51], exec
	s_branch .LBB210_61
.LBB210_72:
	s_or_b64 exec, exec, s[20:21]
.LBB210_73:
	s_andn2_b64 vcc, exec, s[44:45]
	s_waitcnt lgkmcnt(0)
	s_barrier
	s_cbranch_vccnz .LBB210_126
; %bb.74:
	s_lshl_b64 s[4:5], s[6:7], 3
	s_add_u32 s4, s22, s4
	s_addc_u32 s5, s23, s5
	s_load_dwordx4 s[16:19], s[4:5], 0x0
	v_subrev_co_u32_e32 v2, vcc, s39, v0
	v_subb_co_u32_e64 v3, s[4:5], 0, 0, vcc
	s_waitcnt lgkmcnt(0)
	s_sub_u32 s4, s18, s39
	v_mov_b32_e32 v4, s17
	v_add_co_u32_e32 v2, vcc, s16, v2
	s_subb_u32 s5, s19, 0
	v_addc_co_u32_e32 v3, vcc, v4, v3, vcc
	v_cmp_gt_i64_e32 vcc, s[4:5], v[2:3]
	s_and_saveexec_b64 s[16:17], vcc
	s_cbranch_execz .LBB210_125
; %bb.75:
	s_cmp_eq_u32 s59, 0
	s_cselect_b32 s35, 1, 2
	s_cselect_b32 s36, 2, 1
	s_mov_b64 s[18:19], 0
	v_mov_b32_e32 v11, s11
	v_mov_b32_e32 v12, s9
	s_branch .LBB210_77
.LBB210_76:                             ;   in Loop: Header=BB210_77 Depth=1
	s_or_b64 exec, exec, s[20:21]
	v_add_co_u32_e32 v2, vcc, 0x100, v2
	v_addc_co_u32_e32 v3, vcc, 0, v3, vcc
	v_cmp_le_i64_e32 vcc, s[4:5], v[2:3]
	s_or_b64 s[18:19], vcc, s[18:19]
	s_andn2_b64 exec, exec, s[18:19]
	s_cbranch_execz .LBB210_125
.LBB210_77:                             ; =>This Loop Header: Depth=1
                                        ;     Child Loop BB210_79 Depth 2
                                        ;     Child Loop BB210_91 Depth 2
	;; [unrolled: 1-line block ×4, first 2 shown]
	v_lshlrev_b64 v[6:7], 5, v[2:3]
	v_lshlrev_b64 v[4:5], 2, v[2:3]
	v_add_co_u32_e32 v14, vcc, s10, v6
	v_addc_co_u32_e32 v15, vcc, v11, v7, vcc
	v_or_b32_e32 v7, 0, v5
	v_or_b32_e32 v6, s35, v4
	v_lshlrev_b64 v[6:7], 3, v[6:7]
	v_add_co_u32_e32 v16, vcc, s10, v6
	v_addc_co_u32_e32 v17, vcc, v11, v7, vcc
	v_or_b32_e32 v6, s36, v4
	v_add_co_u32_e32 v4, vcc, s8, v4
	v_or_b32_e32 v7, 0, v5
	v_addc_co_u32_e32 v5, vcc, v12, v5, vcc
	global_load_dword v10, v[4:5], off
	v_lshlrev_b64 v[6:7], 3, v[6:7]
	global_load_dwordx2 v[18:19], v[14:15], off
	v_add_co_u32_e32 v20, vcc, s10, v6
	v_addc_co_u32_e32 v21, vcc, v11, v7, vcc
	global_load_dwordx2 v[4:5], v[14:15], off offset:24
	global_load_dwordx2 v[8:9], v[16:17], off
	global_load_dwordx2 v[6:7], v[20:21], off
	s_mov_b64 s[20:21], 0
	s_waitcnt vmcnt(4)
	v_subrev_u32_e32 v13, s39, v10
	v_lshl_add_u32 v10, v13, 3, v13
	s_waitcnt vmcnt(3)
	v_mul_f32_e64 v15, v19, -s34
	v_mul_f32_e32 v16, s33, v19
	v_and_b32_e32 v14, 63, v10
	v_fmac_f32_e32 v15, s33, v18
	v_fmac_f32_e32 v16, s34, v18
	v_mov_b32_e32 v17, v14
	s_branch .LBB210_79
.LBB210_78:                             ;   in Loop: Header=BB210_79 Depth=2
	s_or_b64 exec, exec, s[22:23]
	s_xor_b64 s[22:23], s[24:25], -1
	s_and_b64 s[22:23], exec, s[22:23]
	s_or_b64 s[20:21], s[22:23], s[20:21]
	s_andn2_b64 exec, exec, s[20:21]
	s_cbranch_execz .LBB210_89
.LBB210_79:                             ;   Parent Loop BB210_77 Depth=1
                                        ; =>  This Inner Loop Header: Depth=2
	v_lshl_add_u32 v10, v17, 2, 0
	ds_read_b32 v18, v10
                                        ; implicit-def: $sgpr24_sgpr25
	s_waitcnt lgkmcnt(0)
	v_cmp_ne_u32_e32 vcc, v18, v13
	s_and_saveexec_b64 s[22:23], vcc
	s_xor_b64 s[22:23], exec, s[22:23]
	s_cbranch_execz .LBB210_87
; %bb.80:                               ;   in Loop: Header=BB210_79 Depth=2
	v_cmp_ne_u32_e32 vcc, s58, v18
                                        ; implicit-def: $sgpr24_sgpr25
	s_and_saveexec_b64 s[26:27], vcc
	s_xor_b64 s[26:27], exec, s[26:27]
; %bb.81:                               ;   in Loop: Header=BB210_79 Depth=2
	v_add_u32_e32 v10, 1, v17
	v_and_b32_e32 v17, 63, v10
	s_mov_b64 s[24:25], -1
                                        ; implicit-def: $vgpr10
; %bb.82:                               ;   in Loop: Header=BB210_79 Depth=2
	s_andn2_saveexec_b64 s[26:27], s[26:27]
	s_cbranch_execz .LBB210_86
; %bb.83:                               ;   in Loop: Header=BB210_79 Depth=2
	v_mov_b32_e32 v18, s58
	ds_cmpst_rtn_b32 v18, v10, v18, v13
	s_mov_b64 s[30:31], -1
	s_waitcnt lgkmcnt(0)
	v_cmp_eq_u32_e32 vcc, s58, v18
	s_and_saveexec_b64 s[28:29], vcc
	s_cbranch_execz .LBB210_85
; %bb.84:                               ;   in Loop: Header=BB210_79 Depth=2
	v_mad_u64_u32 v[18:19], s[30:31], v17, 28, v[10:11]
	ds_add_f32 v18, v15 offset:256
	ds_add_f32 v18, v16 offset:260
	s_xor_b64 s[30:31], exec, -1
.LBB210_85:                             ;   in Loop: Header=BB210_79 Depth=2
	s_or_b64 exec, exec, s[28:29]
	s_andn2_b64 s[24:25], s[24:25], exec
	s_and_b64 s[28:29], s[30:31], exec
	s_or_b64 s[24:25], s[24:25], s[28:29]
.LBB210_86:                             ;   in Loop: Header=BB210_79 Depth=2
	s_or_b64 exec, exec, s[26:27]
	s_and_b64 s[24:25], s[24:25], exec
                                        ; implicit-def: $vgpr10
.LBB210_87:                             ;   in Loop: Header=BB210_79 Depth=2
	s_andn2_saveexec_b64 s[22:23], s[22:23]
	s_cbranch_execz .LBB210_78
; %bb.88:                               ;   in Loop: Header=BB210_79 Depth=2
	v_mad_u64_u32 v[18:19], s[26:27], v17, 28, v[10:11]
	ds_add_f32 v18, v15 offset:256
	ds_add_f32 v18, v16 offset:260
	s_andn2_b64 s[24:25], s[24:25], exec
	s_branch .LBB210_78
.LBB210_89:                             ;   in Loop: Header=BB210_77 Depth=1
	s_or_b64 exec, exec, s[20:21]
	s_waitcnt vmcnt(1)
	v_mul_f32_e64 v10, v9, -s34
	v_mul_f32_e32 v9, s33, v9
	v_fmac_f32_e32 v10, s33, v8
	v_fmac_f32_e32 v9, s34, v8
	s_mov_b64 s[20:21], 0
	v_mov_b32_e32 v15, v14
	s_branch .LBB210_91
.LBB210_90:                             ;   in Loop: Header=BB210_91 Depth=2
	s_or_b64 exec, exec, s[22:23]
	s_xor_b64 s[22:23], s[24:25], -1
	s_and_b64 s[22:23], exec, s[22:23]
	s_or_b64 s[20:21], s[22:23], s[20:21]
	s_andn2_b64 exec, exec, s[20:21]
	s_cbranch_execz .LBB210_101
.LBB210_91:                             ;   Parent Loop BB210_77 Depth=1
                                        ; =>  This Inner Loop Header: Depth=2
	v_lshl_add_u32 v8, v15, 2, 0
	ds_read_b32 v16, v8
                                        ; implicit-def: $sgpr24_sgpr25
	s_waitcnt lgkmcnt(0)
	v_cmp_ne_u32_e32 vcc, v16, v13
	s_and_saveexec_b64 s[22:23], vcc
	s_xor_b64 s[22:23], exec, s[22:23]
	s_cbranch_execz .LBB210_99
; %bb.92:                               ;   in Loop: Header=BB210_91 Depth=2
	v_cmp_ne_u32_e32 vcc, s58, v16
                                        ; implicit-def: $sgpr24_sgpr25
	s_and_saveexec_b64 s[26:27], vcc
	s_xor_b64 s[26:27], exec, s[26:27]
; %bb.93:                               ;   in Loop: Header=BB210_91 Depth=2
	v_add_u32_e32 v8, 1, v15
	v_and_b32_e32 v15, 63, v8
	s_mov_b64 s[24:25], -1
                                        ; implicit-def: $vgpr8
; %bb.94:                               ;   in Loop: Header=BB210_91 Depth=2
	s_andn2_saveexec_b64 s[26:27], s[26:27]
	s_cbranch_execz .LBB210_98
; %bb.95:                               ;   in Loop: Header=BB210_91 Depth=2
	v_mov_b32_e32 v16, s58
	ds_cmpst_rtn_b32 v16, v8, v16, v13
	s_mov_b64 s[30:31], -1
	s_waitcnt lgkmcnt(0)
	v_cmp_eq_u32_e32 vcc, s58, v16
	s_and_saveexec_b64 s[28:29], vcc
	s_cbranch_execz .LBB210_97
; %bb.96:                               ;   in Loop: Header=BB210_91 Depth=2
	v_mad_u64_u32 v[16:17], s[30:31], v15, 28, v[8:9]
	ds_add_f32 v16, v10 offset:264
	ds_add_f32 v16, v9 offset:268
	s_xor_b64 s[30:31], exec, -1
.LBB210_97:                             ;   in Loop: Header=BB210_91 Depth=2
	s_or_b64 exec, exec, s[28:29]
	s_andn2_b64 s[24:25], s[24:25], exec
	s_and_b64 s[28:29], s[30:31], exec
	s_or_b64 s[24:25], s[24:25], s[28:29]
.LBB210_98:                             ;   in Loop: Header=BB210_91 Depth=2
	s_or_b64 exec, exec, s[26:27]
	s_and_b64 s[24:25], s[24:25], exec
                                        ; implicit-def: $vgpr8
.LBB210_99:                             ;   in Loop: Header=BB210_91 Depth=2
	s_andn2_saveexec_b64 s[22:23], s[22:23]
	s_cbranch_execz .LBB210_90
; %bb.100:                              ;   in Loop: Header=BB210_91 Depth=2
	v_mad_u64_u32 v[16:17], s[26:27], v15, 28, v[8:9]
	ds_add_f32 v16, v10 offset:264
	ds_add_f32 v16, v9 offset:268
	s_andn2_b64 s[24:25], s[24:25], exec
	s_branch .LBB210_90
.LBB210_101:                            ;   in Loop: Header=BB210_77 Depth=1
	s_or_b64 exec, exec, s[20:21]
	s_waitcnt vmcnt(0)
	v_mul_f32_e64 v8, v7, -s34
	v_mul_f32_e32 v7, s33, v7
	v_fmac_f32_e32 v8, s33, v6
	v_fmac_f32_e32 v7, s34, v6
	s_mov_b64 s[20:21], 0
	v_mov_b32_e32 v9, v14
	s_branch .LBB210_103
.LBB210_102:                            ;   in Loop: Header=BB210_103 Depth=2
	s_or_b64 exec, exec, s[22:23]
	s_xor_b64 s[22:23], s[24:25], -1
	s_and_b64 s[22:23], exec, s[22:23]
	s_or_b64 s[20:21], s[22:23], s[20:21]
	s_andn2_b64 exec, exec, s[20:21]
	s_cbranch_execz .LBB210_113
.LBB210_103:                            ;   Parent Loop BB210_77 Depth=1
                                        ; =>  This Inner Loop Header: Depth=2
	v_lshl_add_u32 v6, v9, 2, 0
	ds_read_b32 v10, v6
                                        ; implicit-def: $sgpr24_sgpr25
	s_waitcnt lgkmcnt(0)
	v_cmp_ne_u32_e32 vcc, v10, v13
	s_and_saveexec_b64 s[22:23], vcc
	s_xor_b64 s[22:23], exec, s[22:23]
	s_cbranch_execz .LBB210_111
; %bb.104:                              ;   in Loop: Header=BB210_103 Depth=2
	v_cmp_ne_u32_e32 vcc, s58, v10
                                        ; implicit-def: $sgpr24_sgpr25
	s_and_saveexec_b64 s[26:27], vcc
	s_xor_b64 s[26:27], exec, s[26:27]
; %bb.105:                              ;   in Loop: Header=BB210_103 Depth=2
	v_add_u32_e32 v6, 1, v9
	v_and_b32_e32 v9, 63, v6
	s_mov_b64 s[24:25], -1
                                        ; implicit-def: $vgpr6
; %bb.106:                              ;   in Loop: Header=BB210_103 Depth=2
	s_andn2_saveexec_b64 s[26:27], s[26:27]
	s_cbranch_execz .LBB210_110
; %bb.107:                              ;   in Loop: Header=BB210_103 Depth=2
	v_mov_b32_e32 v10, s58
	ds_cmpst_rtn_b32 v10, v6, v10, v13
	s_mov_b64 s[30:31], -1
	s_waitcnt lgkmcnt(0)
	v_cmp_eq_u32_e32 vcc, s58, v10
	s_and_saveexec_b64 s[28:29], vcc
	s_cbranch_execz .LBB210_109
; %bb.108:                              ;   in Loop: Header=BB210_103 Depth=2
	v_mad_u64_u32 v[16:17], s[30:31], v9, 28, v[6:7]
	ds_add_f32 v16, v8 offset:272
	ds_add_f32 v16, v7 offset:276
	s_xor_b64 s[30:31], exec, -1
.LBB210_109:                            ;   in Loop: Header=BB210_103 Depth=2
	s_or_b64 exec, exec, s[28:29]
	s_andn2_b64 s[24:25], s[24:25], exec
	s_and_b64 s[28:29], s[30:31], exec
	s_or_b64 s[24:25], s[24:25], s[28:29]
.LBB210_110:                            ;   in Loop: Header=BB210_103 Depth=2
	s_or_b64 exec, exec, s[26:27]
	s_and_b64 s[24:25], s[24:25], exec
                                        ; implicit-def: $vgpr6
.LBB210_111:                            ;   in Loop: Header=BB210_103 Depth=2
	s_andn2_saveexec_b64 s[22:23], s[22:23]
	s_cbranch_execz .LBB210_102
; %bb.112:                              ;   in Loop: Header=BB210_103 Depth=2
	v_mad_u64_u32 v[16:17], s[26:27], v9, 28, v[6:7]
	ds_add_f32 v16, v8 offset:272
	ds_add_f32 v16, v7 offset:276
	s_andn2_b64 s[24:25], s[24:25], exec
	s_branch .LBB210_102
.LBB210_113:                            ;   in Loop: Header=BB210_77 Depth=1
	s_or_b64 exec, exec, s[20:21]
	v_mul_f32_e64 v6, v5, -s34
	v_mul_f32_e32 v5, s33, v5
	v_fmac_f32_e32 v6, s33, v4
	v_fmac_f32_e32 v5, s34, v4
	s_mov_b64 s[20:21], 0
	s_branch .LBB210_115
.LBB210_114:                            ;   in Loop: Header=BB210_115 Depth=2
	s_or_b64 exec, exec, s[22:23]
	s_xor_b64 s[22:23], s[24:25], -1
	s_and_b64 s[22:23], exec, s[22:23]
	s_or_b64 s[20:21], s[22:23], s[20:21]
	s_andn2_b64 exec, exec, s[20:21]
	s_cbranch_execz .LBB210_76
.LBB210_115:                            ;   Parent Loop BB210_77 Depth=1
                                        ; =>  This Inner Loop Header: Depth=2
	v_lshl_add_u32 v4, v14, 2, 0
	ds_read_b32 v7, v4
                                        ; implicit-def: $sgpr24_sgpr25
	s_waitcnt lgkmcnt(0)
	v_cmp_ne_u32_e32 vcc, v7, v13
	s_and_saveexec_b64 s[22:23], vcc
	s_xor_b64 s[22:23], exec, s[22:23]
	s_cbranch_execz .LBB210_123
; %bb.116:                              ;   in Loop: Header=BB210_115 Depth=2
	v_cmp_ne_u32_e32 vcc, s58, v7
                                        ; implicit-def: $sgpr24_sgpr25
	s_and_saveexec_b64 s[26:27], vcc
	s_xor_b64 s[26:27], exec, s[26:27]
; %bb.117:                              ;   in Loop: Header=BB210_115 Depth=2
	v_add_u32_e32 v4, 1, v14
	v_and_b32_e32 v14, 63, v4
	s_mov_b64 s[24:25], -1
                                        ; implicit-def: $vgpr4
; %bb.118:                              ;   in Loop: Header=BB210_115 Depth=2
	s_andn2_saveexec_b64 s[26:27], s[26:27]
	s_cbranch_execz .LBB210_122
; %bb.119:                              ;   in Loop: Header=BB210_115 Depth=2
	v_mov_b32_e32 v7, s58
	ds_cmpst_rtn_b32 v7, v4, v7, v13
	s_mov_b64 s[30:31], -1
	s_waitcnt lgkmcnt(0)
	v_cmp_eq_u32_e32 vcc, s58, v7
	s_and_saveexec_b64 s[28:29], vcc
	s_cbranch_execz .LBB210_121
; %bb.120:                              ;   in Loop: Header=BB210_115 Depth=2
	v_mad_u64_u32 v[8:9], s[30:31], v14, 28, v[4:5]
	ds_add_f32 v8, v6 offset:280
	ds_add_f32 v8, v5 offset:284
	s_xor_b64 s[30:31], exec, -1
.LBB210_121:                            ;   in Loop: Header=BB210_115 Depth=2
	s_or_b64 exec, exec, s[28:29]
	s_andn2_b64 s[24:25], s[24:25], exec
	s_and_b64 s[28:29], s[30:31], exec
	s_or_b64 s[24:25], s[24:25], s[28:29]
.LBB210_122:                            ;   in Loop: Header=BB210_115 Depth=2
	s_or_b64 exec, exec, s[26:27]
	s_and_b64 s[24:25], s[24:25], exec
                                        ; implicit-def: $vgpr4
.LBB210_123:                            ;   in Loop: Header=BB210_115 Depth=2
	s_andn2_saveexec_b64 s[22:23], s[22:23]
	s_cbranch_execz .LBB210_114
; %bb.124:                              ;   in Loop: Header=BB210_115 Depth=2
	v_mad_u64_u32 v[8:9], s[26:27], v14, 28, v[4:5]
	ds_add_f32 v8, v6 offset:280
	ds_add_f32 v8, v5 offset:284
	s_andn2_b64 s[24:25], s[24:25], exec
	s_branch .LBB210_114
.LBB210_125:
	s_or_b64 exec, exec, s[16:17]
.LBB210_126:
	s_waitcnt lgkmcnt(0)
	s_barrier
	s_and_saveexec_b64 s[4:5], s[0:1]
	s_cbranch_execz .LBB210_129
; %bb.127:
	ds_read_b32 v1, v1
	s_waitcnt lgkmcnt(0)
	v_cmp_gt_i32_e32 vcc, s58, v1
	s_and_b64 exec, exec, vcc
	s_cbranch_execz .LBB210_129
; %bb.128:
	s_lshl_b64 s[0:1], s[6:7], 3
	s_add_u32 s0, s12, s0
	s_addc_u32 s1, s13, s1
	v_mov_b32_e32 v10, 0
	s_load_dwordx2 s[0:1], s[0:1], 0x0
	ds_read2_b32 v[2:3], v10 offset1:1
	ds_read2_b32 v[4:5], v10 offset0:2 offset1:3
	ds_read2_b32 v[6:7], v10 offset0:4 offset1:5
	;; [unrolled: 1-line block ×3, first 2 shown]
	s_waitcnt lgkmcnt(0)
	s_sub_u32 s4, s0, s38
	v_cmp_gt_i32_e32 vcc, v1, v2
	s_subb_u32 s1, s1, 0
	v_cndmask_b32_e64 v2, 0, 1, vcc
	v_mov_b32_e32 v11, s1
	v_add_co_u32_e32 v2, vcc, s4, v2
	v_addc_co_u32_e32 v11, vcc, 0, v11, vcc
	v_cmp_gt_i32_e32 vcc, v1, v3
	v_cndmask_b32_e64 v3, 0, 1, vcc
	v_add_co_u32_e32 v2, vcc, v2, v3
	v_addc_co_u32_e32 v3, vcc, 0, v11, vcc
	v_cmp_gt_i32_e32 vcc, v1, v4
	v_cndmask_b32_e64 v4, 0, 1, vcc
	;; [unrolled: 4-line block ×6, first 2 shown]
	v_add_co_u32_e32 v4, vcc, v2, v4
	v_addc_co_u32_e32 v5, vcc, 0, v3, vcc
	ds_read2_b32 v[2:3], v10 offset0:8 offset1:9
	v_cmp_gt_i32_e32 vcc, v1, v9
	v_cndmask_b32_e64 v6, 0, 1, vcc
	v_add_co_u32_e32 v11, vcc, v4, v6
	v_addc_co_u32_e32 v12, vcc, 0, v5, vcc
	s_waitcnt lgkmcnt(0)
	v_cmp_gt_i32_e32 vcc, v1, v2
	v_cndmask_b32_e64 v2, 0, 1, vcc
	v_add_co_u32_e32 v2, vcc, v11, v2
	v_addc_co_u32_e32 v11, vcc, 0, v12, vcc
	v_cmp_gt_i32_e32 vcc, v1, v3
	ds_read2_b32 v[4:5], v10 offset0:10 offset1:11
	ds_read2_b32 v[6:7], v10 offset0:12 offset1:13
	ds_read2_b32 v[8:9], v10 offset0:14 offset1:15
	v_cndmask_b32_e64 v3, 0, 1, vcc
	v_add_co_u32_e32 v2, vcc, v2, v3
	v_addc_co_u32_e32 v3, vcc, 0, v11, vcc
	s_waitcnt lgkmcnt(2)
	v_cmp_gt_i32_e32 vcc, v1, v4
	v_cndmask_b32_e64 v4, 0, 1, vcc
	v_add_co_u32_e32 v2, vcc, v2, v4
	v_addc_co_u32_e32 v3, vcc, 0, v3, vcc
	v_cmp_gt_i32_e32 vcc, v1, v5
	v_cndmask_b32_e64 v4, 0, 1, vcc
	v_add_co_u32_e32 v2, vcc, v2, v4
	v_addc_co_u32_e32 v3, vcc, 0, v3, vcc
	s_waitcnt lgkmcnt(1)
	v_cmp_gt_i32_e32 vcc, v1, v6
	v_cndmask_b32_e64 v4, 0, 1, vcc
	v_add_co_u32_e32 v2, vcc, v2, v4
	v_addc_co_u32_e32 v3, vcc, 0, v3, vcc
	v_cmp_gt_i32_e32 vcc, v1, v7
	v_cndmask_b32_e64 v4, 0, 1, vcc
	v_add_co_u32_e32 v2, vcc, v2, v4
	v_addc_co_u32_e32 v3, vcc, 0, v3, vcc
	s_waitcnt lgkmcnt(0)
	v_cmp_gt_i32_e32 vcc, v1, v8
	v_cndmask_b32_e64 v4, 0, 1, vcc
	v_add_co_u32_e32 v4, vcc, v2, v4
	v_addc_co_u32_e32 v5, vcc, 0, v3, vcc
	ds_read2_b32 v[2:3], v10 offset0:16 offset1:17
	v_cmp_gt_i32_e32 vcc, v1, v9
	v_cndmask_b32_e64 v6, 0, 1, vcc
	v_add_co_u32_e32 v11, vcc, v4, v6
	v_addc_co_u32_e32 v12, vcc, 0, v5, vcc
	s_waitcnt lgkmcnt(0)
	v_cmp_gt_i32_e32 vcc, v1, v2
	v_cndmask_b32_e64 v2, 0, 1, vcc
	v_add_co_u32_e32 v2, vcc, v11, v2
	v_addc_co_u32_e32 v11, vcc, 0, v12, vcc
	v_cmp_gt_i32_e32 vcc, v1, v3
	ds_read2_b32 v[4:5], v10 offset0:18 offset1:19
	ds_read2_b32 v[6:7], v10 offset0:20 offset1:21
	ds_read2_b32 v[8:9], v10 offset0:22 offset1:23
	v_cndmask_b32_e64 v3, 0, 1, vcc
	v_add_co_u32_e32 v2, vcc, v2, v3
	v_addc_co_u32_e32 v3, vcc, 0, v11, vcc
	s_waitcnt lgkmcnt(2)
	v_cmp_gt_i32_e32 vcc, v1, v4
	v_cndmask_b32_e64 v4, 0, 1, vcc
	v_add_co_u32_e32 v2, vcc, v2, v4
	v_addc_co_u32_e32 v3, vcc, 0, v3, vcc
	v_cmp_gt_i32_e32 vcc, v1, v5
	v_cndmask_b32_e64 v4, 0, 1, vcc
	v_add_co_u32_e32 v2, vcc, v2, v4
	v_addc_co_u32_e32 v3, vcc, 0, v3, vcc
	s_waitcnt lgkmcnt(1)
	v_cmp_gt_i32_e32 vcc, v1, v6
	v_cndmask_b32_e64 v4, 0, 1, vcc
	v_add_co_u32_e32 v2, vcc, v2, v4
	v_addc_co_u32_e32 v3, vcc, 0, v3, vcc
	v_cmp_gt_i32_e32 vcc, v1, v7
	v_cndmask_b32_e64 v4, 0, 1, vcc
	v_add_co_u32_e32 v2, vcc, v2, v4
	v_addc_co_u32_e32 v3, vcc, 0, v3, vcc
	s_waitcnt lgkmcnt(0)
	v_cmp_gt_i32_e32 vcc, v1, v8
	v_cndmask_b32_e64 v4, 0, 1, vcc
	;; [unrolled: 40-line block ×6, first 2 shown]
	v_add_co_u32_e32 v4, vcc, v2, v4
	v_addc_co_u32_e32 v5, vcc, 0, v3, vcc
	ds_read2_b32 v[2:3], v10 offset0:56 offset1:57
	v_cmp_gt_i32_e32 vcc, v1, v9
	v_cndmask_b32_e64 v6, 0, 1, vcc
	v_add_co_u32_e32 v11, vcc, v4, v6
	v_addc_co_u32_e32 v12, vcc, 0, v5, vcc
	s_waitcnt lgkmcnt(0)
	v_cmp_gt_i32_e32 vcc, v1, v2
	v_cndmask_b32_e64 v2, 0, 1, vcc
	v_add_co_u32_e32 v2, vcc, v11, v2
	ds_read2_b32 v[4:5], v10 offset0:58 offset1:59
	ds_read2_b32 v[6:7], v10 offset0:60 offset1:61
	ds_read2_b32 v[8:9], v10 offset0:62 offset1:63
	v_addc_co_u32_e32 v10, vcc, 0, v12, vcc
	v_cmp_gt_i32_e32 vcc, v1, v3
	v_cndmask_b32_e64 v3, 0, 1, vcc
	v_add_co_u32_e32 v2, vcc, v2, v3
	v_addc_co_u32_e32 v3, vcc, 0, v10, vcc
	s_waitcnt lgkmcnt(2)
	v_cmp_gt_i32_e32 vcc, v1, v4
	v_cndmask_b32_e64 v4, 0, 1, vcc
	v_add_co_u32_e32 v2, vcc, v2, v4
	v_addc_co_u32_e32 v3, vcc, 0, v3, vcc
	v_cmp_gt_i32_e32 vcc, v1, v5
	v_cndmask_b32_e64 v4, 0, 1, vcc
	v_add_co_u32_e32 v2, vcc, v2, v4
	v_addc_co_u32_e32 v3, vcc, 0, v3, vcc
	s_waitcnt lgkmcnt(1)
	v_cmp_gt_i32_e32 vcc, v1, v6
	v_cndmask_b32_e64 v4, 0, 1, vcc
	v_add_co_u32_e32 v2, vcc, v2, v4
	;; [unrolled: 9-line block ×3, first 2 shown]
	v_addc_co_u32_e32 v3, vcc, 0, v3, vcc
	v_cmp_gt_i32_e32 vcc, v1, v9
	v_cndmask_b32_e64 v4, 0, 1, vcc
	v_add_co_u32_e32 v2, vcc, v2, v4
	v_addc_co_u32_e32 v3, vcc, 0, v3, vcc
	v_lshlrev_b64 v[4:5], 2, v[2:3]
	v_mov_b32_e32 v6, s15
	v_add_co_u32_e32 v4, vcc, s14, v4
	s_add_i32 s0, 0, 0x100
	v_add_u32_e32 v1, s38, v1
	v_addc_co_u32_e32 v5, vcc, v6, v5, vcc
	s_cmp_eq_u32 s59, 0
	global_store_dword v[4:5], v1, off
	v_lshlrev_b32_e32 v5, 5, v0
	v_lshlrev_b32_e32 v4, 2, v0
	v_add_u32_e32 v6, s0, v5
	s_cselect_b32 s0, 1, 2
	s_cselect_b32 s1, 2, 1
	v_lshlrev_b64 v[8:9], 5, v[2:3]
	v_or_b32_e32 v2, s0, v4
	v_or_b32_e32 v3, s1, v4
	v_add_u32_e32 v0, 0, v5
	v_lshl_add_u32 v2, v2, 3, 0
	v_lshl_add_u32 v3, v3, 3, 0
	ds_read2_b32 v[0:1], v0 offset0:64 offset1:65
	ds_read2_b32 v[4:5], v3 offset0:64 offset1:65
	;; [unrolled: 1-line block ×4, first 2 shown]
	v_mov_b32_e32 v10, s3
	v_add_co_u32_e32 v8, vcc, s2, v8
	v_addc_co_u32_e32 v9, vcc, v10, v9, vcc
	s_waitcnt lgkmcnt(1)
	global_store_dwordx4 v[8:9], v[0:3], off
	s_waitcnt lgkmcnt(0)
	global_store_dwordx4 v[8:9], v[4:7], off offset:16
.LBB210_129:
	s_endpgm
	.section	.rodata,"a",@progbits
	.p2align	6, 0x0
	.amdhsa_kernel _ZN9rocsparseL30bsrgemm_fill_block_per_row_2x2ILj256ELj16ELj64ELj137Eli21rocsparse_complex_numIfEEEv20rocsparse_direction_T4_S4_PKS4_S6_NS_24const_host_device_scalarIT5_EEPKT3_S6_PKS8_SC_S6_SE_S9_SC_S6_SE_SC_PS4_PS8_21rocsparse_index_base_SH_SH_SH_bbb
		.amdhsa_group_segment_fixed_size 0
		.amdhsa_private_segment_fixed_size 0
		.amdhsa_kernarg_size 164
		.amdhsa_user_sgpr_count 6
		.amdhsa_user_sgpr_private_segment_buffer 1
		.amdhsa_user_sgpr_dispatch_ptr 0
		.amdhsa_user_sgpr_queue_ptr 0
		.amdhsa_user_sgpr_kernarg_segment_ptr 1
		.amdhsa_user_sgpr_dispatch_id 0
		.amdhsa_user_sgpr_flat_scratch_init 0
		.amdhsa_user_sgpr_kernarg_preload_length 0
		.amdhsa_user_sgpr_kernarg_preload_offset 0
		.amdhsa_user_sgpr_private_segment_size 0
		.amdhsa_uses_dynamic_stack 0
		.amdhsa_system_sgpr_private_segment_wavefront_offset 0
		.amdhsa_system_sgpr_workgroup_id_x 1
		.amdhsa_system_sgpr_workgroup_id_y 0
		.amdhsa_system_sgpr_workgroup_id_z 0
		.amdhsa_system_sgpr_workgroup_info 0
		.amdhsa_system_vgpr_workitem_id 0
		.amdhsa_next_free_vgpr 38
		.amdhsa_next_free_sgpr 64
		.amdhsa_accum_offset 40
		.amdhsa_reserve_vcc 1
		.amdhsa_reserve_flat_scratch 0
		.amdhsa_float_round_mode_32 0
		.amdhsa_float_round_mode_16_64 0
		.amdhsa_float_denorm_mode_32 3
		.amdhsa_float_denorm_mode_16_64 3
		.amdhsa_dx10_clamp 1
		.amdhsa_ieee_mode 1
		.amdhsa_fp16_overflow 0
		.amdhsa_tg_split 0
		.amdhsa_exception_fp_ieee_invalid_op 0
		.amdhsa_exception_fp_denorm_src 0
		.amdhsa_exception_fp_ieee_div_zero 0
		.amdhsa_exception_fp_ieee_overflow 0
		.amdhsa_exception_fp_ieee_underflow 0
		.amdhsa_exception_fp_ieee_inexact 0
		.amdhsa_exception_int_div_zero 0
	.end_amdhsa_kernel
	.section	.text._ZN9rocsparseL30bsrgemm_fill_block_per_row_2x2ILj256ELj16ELj64ELj137Eli21rocsparse_complex_numIfEEEv20rocsparse_direction_T4_S4_PKS4_S6_NS_24const_host_device_scalarIT5_EEPKT3_S6_PKS8_SC_S6_SE_S9_SC_S6_SE_SC_PS4_PS8_21rocsparse_index_base_SH_SH_SH_bbb,"axG",@progbits,_ZN9rocsparseL30bsrgemm_fill_block_per_row_2x2ILj256ELj16ELj64ELj137Eli21rocsparse_complex_numIfEEEv20rocsparse_direction_T4_S4_PKS4_S6_NS_24const_host_device_scalarIT5_EEPKT3_S6_PKS8_SC_S6_SE_S9_SC_S6_SE_SC_PS4_PS8_21rocsparse_index_base_SH_SH_SH_bbb,comdat
.Lfunc_end210:
	.size	_ZN9rocsparseL30bsrgemm_fill_block_per_row_2x2ILj256ELj16ELj64ELj137Eli21rocsparse_complex_numIfEEEv20rocsparse_direction_T4_S4_PKS4_S6_NS_24const_host_device_scalarIT5_EEPKT3_S6_PKS8_SC_S6_SE_S9_SC_S6_SE_SC_PS4_PS8_21rocsparse_index_base_SH_SH_SH_bbb, .Lfunc_end210-_ZN9rocsparseL30bsrgemm_fill_block_per_row_2x2ILj256ELj16ELj64ELj137Eli21rocsparse_complex_numIfEEEv20rocsparse_direction_T4_S4_PKS4_S6_NS_24const_host_device_scalarIT5_EEPKT3_S6_PKS8_SC_S6_SE_S9_SC_S6_SE_SC_PS4_PS8_21rocsparse_index_base_SH_SH_SH_bbb
                                        ; -- End function
	.section	.AMDGPU.csdata,"",@progbits
; Kernel info:
; codeLenInByte = 5340
; NumSgprs: 68
; NumVgprs: 38
; NumAgprs: 0
; TotalNumVgprs: 38
; ScratchSize: 0
; MemoryBound: 0
; FloatMode: 240
; IeeeMode: 1
; LDSByteSize: 0 bytes/workgroup (compile time only)
; SGPRBlocks: 8
; VGPRBlocks: 4
; NumSGPRsForWavesPerEU: 68
; NumVGPRsForWavesPerEU: 38
; AccumOffset: 40
; Occupancy: 8
; WaveLimiterHint : 1
; COMPUTE_PGM_RSRC2:SCRATCH_EN: 0
; COMPUTE_PGM_RSRC2:USER_SGPR: 6
; COMPUTE_PGM_RSRC2:TRAP_HANDLER: 0
; COMPUTE_PGM_RSRC2:TGID_X_EN: 1
; COMPUTE_PGM_RSRC2:TGID_Y_EN: 0
; COMPUTE_PGM_RSRC2:TGID_Z_EN: 0
; COMPUTE_PGM_RSRC2:TIDIG_COMP_CNT: 0
; COMPUTE_PGM_RSRC3_GFX90A:ACCUM_OFFSET: 9
; COMPUTE_PGM_RSRC3_GFX90A:TG_SPLIT: 0
	.section	.text._ZN9rocsparseL30bsrgemm_fill_block_per_row_2x2ILj256ELj16ELj128ELj137Eli21rocsparse_complex_numIfEEEv20rocsparse_direction_T4_S4_PKS4_S6_NS_24const_host_device_scalarIT5_EEPKT3_S6_PKS8_SC_S6_SE_S9_SC_S6_SE_SC_PS4_PS8_21rocsparse_index_base_SH_SH_SH_bbb,"axG",@progbits,_ZN9rocsparseL30bsrgemm_fill_block_per_row_2x2ILj256ELj16ELj128ELj137Eli21rocsparse_complex_numIfEEEv20rocsparse_direction_T4_S4_PKS4_S6_NS_24const_host_device_scalarIT5_EEPKT3_S6_PKS8_SC_S6_SE_S9_SC_S6_SE_SC_PS4_PS8_21rocsparse_index_base_SH_SH_SH_bbb,comdat
	.globl	_ZN9rocsparseL30bsrgemm_fill_block_per_row_2x2ILj256ELj16ELj128ELj137Eli21rocsparse_complex_numIfEEEv20rocsparse_direction_T4_S4_PKS4_S6_NS_24const_host_device_scalarIT5_EEPKT3_S6_PKS8_SC_S6_SE_S9_SC_S6_SE_SC_PS4_PS8_21rocsparse_index_base_SH_SH_SH_bbb ; -- Begin function _ZN9rocsparseL30bsrgemm_fill_block_per_row_2x2ILj256ELj16ELj128ELj137Eli21rocsparse_complex_numIfEEEv20rocsparse_direction_T4_S4_PKS4_S6_NS_24const_host_device_scalarIT5_EEPKT3_S6_PKS8_SC_S6_SE_S9_SC_S6_SE_SC_PS4_PS8_21rocsparse_index_base_SH_SH_SH_bbb
	.p2align	8
	.type	_ZN9rocsparseL30bsrgemm_fill_block_per_row_2x2ILj256ELj16ELj128ELj137Eli21rocsparse_complex_numIfEEEv20rocsparse_direction_T4_S4_PKS4_S6_NS_24const_host_device_scalarIT5_EEPKT3_S6_PKS8_SC_S6_SE_S9_SC_S6_SE_SC_PS4_PS8_21rocsparse_index_base_SH_SH_SH_bbb,@function
_ZN9rocsparseL30bsrgemm_fill_block_per_row_2x2ILj256ELj16ELj128ELj137Eli21rocsparse_complex_numIfEEEv20rocsparse_direction_T4_S4_PKS4_S6_NS_24const_host_device_scalarIT5_EEPKT3_S6_PKS8_SC_S6_SE_S9_SC_S6_SE_SC_PS4_PS8_21rocsparse_index_base_SH_SH_SH_bbb: ; @_ZN9rocsparseL30bsrgemm_fill_block_per_row_2x2ILj256ELj16ELj128ELj137Eli21rocsparse_complex_numIfEEEv20rocsparse_direction_T4_S4_PKS4_S6_NS_24const_host_device_scalarIT5_EEPKT3_S6_PKS8_SC_S6_SE_S9_SC_S6_SE_SC_PS4_PS8_21rocsparse_index_base_SH_SH_SH_bbb
; %bb.0:
	s_load_dwordx8 s[8:15], s[4:5], 0x68
	s_load_dwordx8 s[16:23], s[4:5], 0x48
	s_load_dword s7, s[4:5], 0xa0
	s_load_dwordx4 s[40:43], s[4:5], 0x10
	s_load_dwordx8 s[24:31], s[4:5], 0x28
	s_load_dwordx2 s[2:3], s[4:5], 0x88
	s_load_dwordx4 s[36:39], s[4:5], 0x90
	s_waitcnt lgkmcnt(0)
	s_bitcmp1_b32 s7, 0
	s_cselect_b64 s[46:47], -1, 0
	s_bitcmp1_b32 s7, 16
	s_cselect_b64 s[0:1], -1, 0
	s_xor_b64 s[0:1], s[0:1], -1
	v_cndmask_b32_e64 v1, 0, 1, s[0:1]
	s_mov_b32 s35, 0
	s_bitcmp0_b32 s7, 0
	v_cmp_ne_u32_e64 s[0:1], 1, v1
	s_mov_b32 s60, 0
	s_cbranch_scc1 .LBB211_5
; %bb.1:
	s_load_dwordx2 s[34:35], s[4:5], 0x20
	s_and_b64 vcc, exec, s[0:1]
	s_waitcnt lgkmcnt(0)
	s_mov_b32 s60, s34
	s_cbranch_vccnz .LBB211_3
; %bb.2:
	s_load_dword s60, s[34:35], 0x0
.LBB211_3:
	s_and_b64 vcc, exec, s[0:1]
	s_cbranch_vccnz .LBB211_5
; %bb.4:
	s_load_dword s35, s[34:35], 0x4
.LBB211_5:
	s_bitcmp1_b32 s7, 8
	s_cselect_b64 s[44:45], -1, 0
	s_bfe_u32 s7, s7, 0x10008
	s_mov_b32 s59, 0
	s_cmp_eq_u32 s7, 0
	s_mov_b32 s34, 0
	s_cbranch_scc1 .LBB211_11
; %bb.6:
	s_and_b64 vcc, exec, s[0:1]
	s_mov_b32 s34, s20
	s_cbranch_vccnz .LBB211_8
; %bb.7:
	s_load_dword s34, s[20:21], 0x0
.LBB211_8:
	s_and_b64 vcc, exec, s[0:1]
	s_cbranch_vccnz .LBB211_10
; %bb.9:
	s_load_dword s21, s[20:21], 0x4
.LBB211_10:
	s_waitcnt lgkmcnt(0)
	s_mov_b32 s59, s21
.LBB211_11:
	s_load_dword s58, s[4:5], 0x8
	s_movk_i32 s0, 0x80
	v_cmp_gt_u32_e64 s[0:1], s0, v0
	v_lshl_add_u32 v1, v0, 2, 0
	s_and_saveexec_b64 s[20:21], s[0:1]
	s_cbranch_execz .LBB211_13
; %bb.12:
	s_waitcnt lgkmcnt(0)
	v_mov_b32_e32 v2, s58
	ds_write_b32 v1, v2
.LBB211_13:
	s_or_b64 exec, exec, s[20:21]
	s_movk_i32 s7, 0x200
	v_cmp_gt_u32_e32 vcc, s7, v0
	s_and_saveexec_b64 s[20:21], vcc
	s_cbranch_execz .LBB211_16
; %bb.14:
	v_lshl_add_u32 v2, v0, 3, 0
	v_add_u32_e32 v2, 0x200, v2
	v_or_b32_e32 v3, 0xffffff00, v0
	s_mov_b64 s[48:49], 0
	v_mov_b32_e32 v4, 0
.LBB211_15:                             ; =>This Inner Loop Header: Depth=1
	v_add_co_u32_e32 v3, vcc, 0x100, v3
	s_xor_b64 s[50:51], vcc, -1
	s_and_b64 s[50:51], exec, s[50:51]
	ds_write2_b32 v2, v4, v4 offset1:1
	s_or_b64 s[48:49], s[50:51], s[48:49]
	v_add_u32_e32 v2, 0x800, v2
	s_andn2_b64 exec, exec, s[48:49]
	s_cbranch_execnz .LBB211_15
.LBB211_16:
	s_or_b64 exec, exec, s[20:21]
	s_cmp_lg_u64 s[42:43], 0
	s_waitcnt lgkmcnt(0)
	s_barrier
	s_cbranch_scc0 .LBB211_18
; %bb.17:
	s_load_dword s7, s[40:41], 0x0
	s_waitcnt lgkmcnt(0)
	s_add_i32 s6, s7, s6
	s_mov_b32 s7, 0
	s_lshl_b64 s[6:7], s[6:7], 2
	s_add_u32 s6, s42, s6
	s_addc_u32 s7, s43, s7
	s_load_dword s6, s[6:7], 0x0
.LBB211_18:
	s_nop 0
	s_load_dword s33, s[4:5], 0x0
	s_andn2_b64 vcc, exec, s[46:47]
	s_waitcnt lgkmcnt(0)
	s_ashr_i32 s7, s6, 31
	s_cbranch_vccnz .LBB211_74
; %bb.19:
	s_lshl_b64 s[4:5], s[6:7], 3
	s_add_u32 s4, s24, s4
	s_addc_u32 s5, s25, s5
	s_load_dwordx4 s[48:51], s[4:5], 0x0
	v_lshrrev_b32_e32 v2, 4, v0
	v_subrev_co_u32_e32 v2, vcc, s36, v2
	v_subb_co_u32_e64 v3, s[20:21], 0, 0, vcc
	s_waitcnt lgkmcnt(0)
	s_sub_u32 s4, s50, s36
	v_mov_b32_e32 v4, s49
	v_add_co_u32_e32 v2, vcc, s48, v2
	s_subb_u32 s5, s51, 0
	v_addc_co_u32_e32 v3, vcc, v4, v3, vcc
	s_mov_b32 s40, 0
	v_cmp_gt_i64_e32 vcc, s[4:5], v[2:3]
	s_and_saveexec_b64 s[20:21], vcc
	s_cbranch_execz .LBB211_73
; %bb.20:
	v_and_b32_e32 v4, 15, v0
	v_subrev_co_u32_e32 v17, vcc, s37, v4
	s_cmp_eq_u32 s33, 0
	v_subb_co_u32_e64 v18, s[24:25], 0, 0, vcc
	s_mov_b32 s61, s37
	s_cselect_b32 s62, 2, 1
	s_cselect_b32 s63, 1, 2
	s_mov_b64 s[24:25], 0
	v_mov_b32_e32 v19, s27
	v_mov_b32_e32 v20, s31
	;; [unrolled: 1-line block ×3, first 2 shown]
	s_branch .LBB211_22
.LBB211_21:                             ;   in Loop: Header=BB211_22 Depth=1
	s_or_b64 exec, exec, s[40:41]
	v_add_co_u32_e32 v2, vcc, 16, v2
	v_addc_co_u32_e32 v3, vcc, 0, v3, vcc
	v_cmp_le_i64_e32 vcc, s[4:5], v[2:3]
	s_or_b64 s[24:25], vcc, s[24:25]
	s_andn2_b64 exec, exec, s[24:25]
	s_cbranch_execz .LBB211_73
.LBB211_22:                             ; =>This Loop Header: Depth=1
                                        ;     Child Loop BB211_25 Depth 2
                                        ;       Child Loop BB211_27 Depth 3
                                        ;       Child Loop BB211_39 Depth 3
                                        ;       Child Loop BB211_51 Depth 3
                                        ;       Child Loop BB211_63 Depth 3
	v_lshlrev_b64 v[8:9], 2, v[2:3]
	v_add_co_u32_e32 v4, vcc, s26, v8
	v_addc_co_u32_e32 v5, vcc, v19, v9, vcc
	global_load_dword v4, v[4:5], off
	s_waitcnt vmcnt(0)
	v_subrev_u32_e32 v4, s36, v4
	v_ashrrev_i32_e32 v5, 31, v4
	v_lshlrev_b64 v[4:5], 3, v[4:5]
	v_add_co_u32_e32 v4, vcc, s30, v4
	v_addc_co_u32_e32 v5, vcc, v20, v5, vcc
	global_load_dwordx4 v[10:13], v[4:5], off
	s_waitcnt vmcnt(0)
	v_subrev_co_u32_e32 v4, vcc, s61, v12
	v_subb_co_u32_e32 v5, vcc, v13, v21, vcc
	v_add_co_u32_e32 v6, vcc, v10, v17
	v_addc_co_u32_e32 v7, vcc, v11, v18, vcc
	v_cmp_lt_i64_e32 vcc, v[6:7], v[4:5]
	s_and_saveexec_b64 s[40:41], vcc
	s_cbranch_execz .LBB211_21
; %bb.23:                               ;   in Loop: Header=BB211_22 Depth=1
	v_lshlrev_b64 v[10:11], 5, v[2:3]
	v_mov_b32_e32 v16, s29
	v_add_co_u32_e32 v10, vcc, s28, v10
	v_or_b32_e32 v15, 0, v9
	v_or_b32_e32 v14, s62, v8
	v_addc_co_u32_e32 v11, vcc, v16, v11, vcc
	v_lshlrev_b64 v[14:15], 3, v[14:15]
	v_add_co_u32_e32 v14, vcc, s28, v14
	v_or_b32_e32 v9, 0, v9
	v_or_b32_e32 v8, s63, v8
	v_addc_co_u32_e32 v15, vcc, v16, v15, vcc
	v_lshlrev_b64 v[8:9], 3, v[8:9]
	v_add_co_u32_e32 v8, vcc, s28, v8
	global_load_dwordx2 v[12:13], v[10:11], off
	v_addc_co_u32_e32 v9, vcc, v16, v9, vcc
	global_load_dwordx2 v[14:15], v[14:15], off
	s_nop 0
	global_load_dwordx2 v[30:31], v[8:9], off
	global_load_dwordx2 v[32:33], v[10:11], off offset:24
	s_mov_b64 s[42:43], 0
	s_waitcnt vmcnt(3)
	v_mul_f32_e64 v22, v13, -s35
	v_mul_f32_e32 v23, s60, v13
	s_waitcnt vmcnt(2)
	v_mul_f32_e64 v24, v15, -s35
	v_mul_f32_e32 v25, s60, v15
	s_waitcnt vmcnt(0)
	v_mul_f32_e32 v26, s60, v33
	v_mul_f32_e64 v27, v33, -s35
	v_mul_f32_e32 v28, s60, v31
	v_mul_f32_e64 v29, v31, -s35
	v_fmac_f32_e32 v22, s60, v12
	v_fmac_f32_e32 v23, s35, v12
	;; [unrolled: 1-line block ×8, first 2 shown]
	s_branch .LBB211_25
.LBB211_24:                             ;   in Loop: Header=BB211_25 Depth=2
	s_or_b64 exec, exec, s[46:47]
	v_add_co_u32_e32 v6, vcc, 16, v6
	v_addc_co_u32_e32 v7, vcc, 0, v7, vcc
	v_cmp_ge_i64_e32 vcc, v[6:7], v[4:5]
	s_or_b64 s[42:43], vcc, s[42:43]
	s_andn2_b64 exec, exec, s[42:43]
	s_cbranch_execz .LBB211_21
.LBB211_25:                             ;   Parent Loop BB211_22 Depth=1
                                        ; =>  This Loop Header: Depth=2
                                        ;       Child Loop BB211_27 Depth 3
                                        ;       Child Loop BB211_39 Depth 3
	;; [unrolled: 1-line block ×4, first 2 shown]
	v_lshlrev_b64 v[8:9], 2, v[6:7]
	v_mov_b32_e32 v11, s17
	v_add_co_u32_e32 v10, vcc, s16, v8
	v_addc_co_u32_e32 v11, vcc, v11, v9, vcc
	global_load_dword v16, v[10:11], off
	v_or_b32_e32 v11, 0, v9
	v_or_b32_e32 v10, s63, v8
	;; [unrolled: 1-line block ×4, first 2 shown]
	v_lshlrev_b64 v[8:9], 3, v[8:9]
	v_mov_b32_e32 v32, s19
	v_add_co_u32_e32 v8, vcc, s18, v8
	v_lshlrev_b64 v[12:13], 5, v[6:7]
	v_addc_co_u32_e32 v9, vcc, v32, v9, vcc
	v_add_co_u32_e32 v30, vcc, s18, v12
	global_load_dwordx2 v[14:15], v[8:9], off
	v_addc_co_u32_e32 v31, vcc, v32, v13, vcc
	global_load_dwordx2 v[12:13], v[30:31], off
	v_lshlrev_b64 v[8:9], 3, v[10:11]
	v_add_co_u32_e32 v8, vcc, s18, v8
	v_addc_co_u32_e32 v9, vcc, v32, v9, vcc
	global_load_dwordx2 v[8:9], v[8:9], off
	s_nop 0
	global_load_dwordx2 v[10:11], v[30:31], off offset:24
	s_mov_b64 s[46:47], 0
	s_waitcnt vmcnt(4)
	v_subrev_u32_e32 v30, s37, v16
	v_lshl_add_u32 v16, v30, 3, v30
	v_and_b32_e32 v31, 0x7f, v16
	v_mov_b32_e32 v34, v31
	s_waitcnt vmcnt(3)
	v_mul_f32_e64 v33, v15, -v28
	v_mul_f32_e32 v32, v29, v15
	v_fmac_f32_e32 v33, v29, v14
	v_fmac_f32_e32 v32, v28, v14
	s_waitcnt vmcnt(2)
	v_fmac_f32_e32 v33, v22, v12
	v_fmac_f32_e32 v32, v23, v12
	v_fma_f32 v33, -v23, v13, v33
	v_fmac_f32_e32 v32, v22, v13
	s_branch .LBB211_27
.LBB211_26:                             ;   in Loop: Header=BB211_27 Depth=3
	s_or_b64 exec, exec, s[48:49]
	s_xor_b64 s[48:49], s[50:51], -1
	s_and_b64 s[48:49], exec, s[48:49]
	s_or_b64 s[46:47], s[48:49], s[46:47]
	s_andn2_b64 exec, exec, s[46:47]
	s_cbranch_execz .LBB211_37
.LBB211_27:                             ;   Parent Loop BB211_22 Depth=1
                                        ;     Parent Loop BB211_25 Depth=2
                                        ; =>    This Inner Loop Header: Depth=3
	v_lshl_add_u32 v16, v34, 2, 0
	ds_read_b32 v35, v16
                                        ; implicit-def: $sgpr50_sgpr51
	s_waitcnt lgkmcnt(0)
	v_cmp_ne_u32_e32 vcc, v35, v30
	s_and_saveexec_b64 s[48:49], vcc
	s_xor_b64 s[48:49], exec, s[48:49]
	s_cbranch_execz .LBB211_35
; %bb.28:                               ;   in Loop: Header=BB211_27 Depth=3
	v_cmp_ne_u32_e32 vcc, s58, v35
                                        ; implicit-def: $sgpr50_sgpr51
	s_and_saveexec_b64 s[52:53], vcc
	s_xor_b64 s[52:53], exec, s[52:53]
; %bb.29:                               ;   in Loop: Header=BB211_27 Depth=3
	v_add_u32_e32 v16, 1, v34
	v_and_b32_e32 v34, 0x7f, v16
	s_mov_b64 s[50:51], -1
                                        ; implicit-def: $vgpr16
; %bb.30:                               ;   in Loop: Header=BB211_27 Depth=3
	s_andn2_saveexec_b64 s[52:53], s[52:53]
	s_cbranch_execz .LBB211_34
; %bb.31:                               ;   in Loop: Header=BB211_27 Depth=3
	v_mov_b32_e32 v35, s58
	ds_cmpst_rtn_b32 v35, v16, v35, v30
	s_mov_b64 s[56:57], -1
	s_waitcnt lgkmcnt(0)
	v_cmp_eq_u32_e32 vcc, s58, v35
	s_and_saveexec_b64 s[54:55], vcc
	s_cbranch_execz .LBB211_33
; %bb.32:                               ;   in Loop: Header=BB211_27 Depth=3
	v_mad_u64_u32 v[36:37], s[56:57], v34, 28, v[16:17]
	ds_add_f32 v36, v33 offset:512
	ds_add_f32 v36, v32 offset:516
	s_xor_b64 s[56:57], exec, -1
.LBB211_33:                             ;   in Loop: Header=BB211_27 Depth=3
	s_or_b64 exec, exec, s[54:55]
	s_andn2_b64 s[50:51], s[50:51], exec
	s_and_b64 s[54:55], s[56:57], exec
	s_or_b64 s[50:51], s[50:51], s[54:55]
.LBB211_34:                             ;   in Loop: Header=BB211_27 Depth=3
	s_or_b64 exec, exec, s[52:53]
	s_and_b64 s[50:51], s[50:51], exec
                                        ; implicit-def: $vgpr16
.LBB211_35:                             ;   in Loop: Header=BB211_27 Depth=3
	s_andn2_saveexec_b64 s[48:49], s[48:49]
	s_cbranch_execz .LBB211_26
; %bb.36:                               ;   in Loop: Header=BB211_27 Depth=3
	v_mad_u64_u32 v[36:37], s[52:53], v34, 28, v[16:17]
	ds_add_f32 v36, v33 offset:512
	ds_add_f32 v36, v32 offset:516
	s_andn2_b64 s[50:51], s[50:51], exec
	s_branch .LBB211_26
.LBB211_37:                             ;   in Loop: Header=BB211_25 Depth=2
	s_or_b64 exec, exec, s[46:47]
	s_waitcnt vmcnt(0)
	v_mul_f32_e64 v16, v11, -v28
	v_mul_f32_e32 v32, v29, v11
	v_fmac_f32_e32 v16, v29, v10
	v_fmac_f32_e32 v32, v28, v10
	;; [unrolled: 1-line block ×4, first 2 shown]
	v_fma_f32 v33, -v23, v9, v16
	v_fmac_f32_e32 v32, v22, v9
	s_mov_b64 s[46:47], 0
	v_mov_b32_e32 v34, v31
	s_branch .LBB211_39
.LBB211_38:                             ;   in Loop: Header=BB211_39 Depth=3
	s_or_b64 exec, exec, s[48:49]
	s_xor_b64 s[48:49], s[50:51], -1
	s_and_b64 s[48:49], exec, s[48:49]
	s_or_b64 s[46:47], s[48:49], s[46:47]
	s_andn2_b64 exec, exec, s[46:47]
	s_cbranch_execz .LBB211_49
.LBB211_39:                             ;   Parent Loop BB211_22 Depth=1
                                        ;     Parent Loop BB211_25 Depth=2
                                        ; =>    This Inner Loop Header: Depth=3
	v_lshl_add_u32 v16, v34, 2, 0
	ds_read_b32 v35, v16
                                        ; implicit-def: $sgpr50_sgpr51
	s_waitcnt lgkmcnt(0)
	v_cmp_ne_u32_e32 vcc, v35, v30
	s_and_saveexec_b64 s[48:49], vcc
	s_xor_b64 s[48:49], exec, s[48:49]
	s_cbranch_execz .LBB211_47
; %bb.40:                               ;   in Loop: Header=BB211_39 Depth=3
	v_cmp_ne_u32_e32 vcc, s58, v35
                                        ; implicit-def: $sgpr50_sgpr51
	s_and_saveexec_b64 s[52:53], vcc
	s_xor_b64 s[52:53], exec, s[52:53]
; %bb.41:                               ;   in Loop: Header=BB211_39 Depth=3
	v_add_u32_e32 v16, 1, v34
	v_and_b32_e32 v34, 0x7f, v16
	s_mov_b64 s[50:51], -1
                                        ; implicit-def: $vgpr16
; %bb.42:                               ;   in Loop: Header=BB211_39 Depth=3
	s_andn2_saveexec_b64 s[52:53], s[52:53]
	s_cbranch_execz .LBB211_46
; %bb.43:                               ;   in Loop: Header=BB211_39 Depth=3
	v_mov_b32_e32 v35, s58
	ds_cmpst_rtn_b32 v35, v16, v35, v30
	s_mov_b64 s[56:57], -1
	s_waitcnt lgkmcnt(0)
	v_cmp_eq_u32_e32 vcc, s58, v35
	s_and_saveexec_b64 s[54:55], vcc
	s_cbranch_execz .LBB211_45
; %bb.44:                               ;   in Loop: Header=BB211_39 Depth=3
	v_mad_u64_u32 v[36:37], s[56:57], v34, 28, v[16:17]
	ds_add_f32 v36, v33 offset:520
	ds_add_f32 v36, v32 offset:524
	s_xor_b64 s[56:57], exec, -1
.LBB211_45:                             ;   in Loop: Header=BB211_39 Depth=3
	s_or_b64 exec, exec, s[54:55]
	s_andn2_b64 s[50:51], s[50:51], exec
	s_and_b64 s[54:55], s[56:57], exec
	s_or_b64 s[50:51], s[50:51], s[54:55]
.LBB211_46:                             ;   in Loop: Header=BB211_39 Depth=3
	s_or_b64 exec, exec, s[52:53]
	s_and_b64 s[50:51], s[50:51], exec
                                        ; implicit-def: $vgpr16
.LBB211_47:                             ;   in Loop: Header=BB211_39 Depth=3
	s_andn2_saveexec_b64 s[48:49], s[48:49]
	s_cbranch_execz .LBB211_38
; %bb.48:                               ;   in Loop: Header=BB211_39 Depth=3
	v_mad_u64_u32 v[36:37], s[52:53], v34, 28, v[16:17]
	ds_add_f32 v36, v33 offset:520
	ds_add_f32 v36, v32 offset:524
	s_andn2_b64 s[50:51], s[50:51], exec
	s_branch .LBB211_38
.LBB211_49:                             ;   in Loop: Header=BB211_25 Depth=2
	s_or_b64 exec, exec, s[46:47]
	v_mul_f32_e64 v16, v15, -v26
	v_mul_f32_e32 v15, v27, v15
	v_fmac_f32_e32 v16, v27, v14
	v_fmac_f32_e32 v15, v26, v14
	;; [unrolled: 1-line block ×4, first 2 shown]
	v_fma_f32 v14, -v25, v13, v16
	v_fmac_f32_e32 v15, v24, v13
	s_mov_b64 s[46:47], 0
	v_mov_b32_e32 v13, v31
	s_branch .LBB211_51
.LBB211_50:                             ;   in Loop: Header=BB211_51 Depth=3
	s_or_b64 exec, exec, s[48:49]
	s_xor_b64 s[48:49], s[50:51], -1
	s_and_b64 s[48:49], exec, s[48:49]
	s_or_b64 s[46:47], s[48:49], s[46:47]
	s_andn2_b64 exec, exec, s[46:47]
	s_cbranch_execz .LBB211_61
.LBB211_51:                             ;   Parent Loop BB211_22 Depth=1
                                        ;     Parent Loop BB211_25 Depth=2
                                        ; =>    This Inner Loop Header: Depth=3
	v_lshl_add_u32 v12, v13, 2, 0
	ds_read_b32 v16, v12
                                        ; implicit-def: $sgpr50_sgpr51
	s_waitcnt lgkmcnt(0)
	v_cmp_ne_u32_e32 vcc, v16, v30
	s_and_saveexec_b64 s[48:49], vcc
	s_xor_b64 s[48:49], exec, s[48:49]
	s_cbranch_execz .LBB211_59
; %bb.52:                               ;   in Loop: Header=BB211_51 Depth=3
	v_cmp_ne_u32_e32 vcc, s58, v16
                                        ; implicit-def: $sgpr50_sgpr51
	s_and_saveexec_b64 s[52:53], vcc
	s_xor_b64 s[52:53], exec, s[52:53]
; %bb.53:                               ;   in Loop: Header=BB211_51 Depth=3
	v_add_u32_e32 v12, 1, v13
	v_and_b32_e32 v13, 0x7f, v12
	s_mov_b64 s[50:51], -1
                                        ; implicit-def: $vgpr12
; %bb.54:                               ;   in Loop: Header=BB211_51 Depth=3
	s_andn2_saveexec_b64 s[52:53], s[52:53]
	s_cbranch_execz .LBB211_58
; %bb.55:                               ;   in Loop: Header=BB211_51 Depth=3
	v_mov_b32_e32 v16, s58
	ds_cmpst_rtn_b32 v16, v12, v16, v30
	s_mov_b64 s[56:57], -1
	s_waitcnt lgkmcnt(0)
	v_cmp_eq_u32_e32 vcc, s58, v16
	s_and_saveexec_b64 s[54:55], vcc
	s_cbranch_execz .LBB211_57
; %bb.56:                               ;   in Loop: Header=BB211_51 Depth=3
	v_mad_u64_u32 v[32:33], s[56:57], v13, 28, v[12:13]
	ds_add_f32 v32, v14 offset:528
	ds_add_f32 v32, v15 offset:532
	s_xor_b64 s[56:57], exec, -1
.LBB211_57:                             ;   in Loop: Header=BB211_51 Depth=3
	s_or_b64 exec, exec, s[54:55]
	s_andn2_b64 s[50:51], s[50:51], exec
	s_and_b64 s[54:55], s[56:57], exec
	s_or_b64 s[50:51], s[50:51], s[54:55]
.LBB211_58:                             ;   in Loop: Header=BB211_51 Depth=3
	s_or_b64 exec, exec, s[52:53]
	s_and_b64 s[50:51], s[50:51], exec
                                        ; implicit-def: $vgpr12
.LBB211_59:                             ;   in Loop: Header=BB211_51 Depth=3
	s_andn2_saveexec_b64 s[48:49], s[48:49]
	s_cbranch_execz .LBB211_50
; %bb.60:                               ;   in Loop: Header=BB211_51 Depth=3
	v_mad_u64_u32 v[32:33], s[52:53], v13, 28, v[12:13]
	ds_add_f32 v32, v14 offset:528
	ds_add_f32 v32, v15 offset:532
	s_andn2_b64 s[50:51], s[50:51], exec
	s_branch .LBB211_50
.LBB211_61:                             ;   in Loop: Header=BB211_25 Depth=2
	s_or_b64 exec, exec, s[46:47]
	v_mul_f32_e64 v12, v11, -v26
	v_mul_f32_e32 v11, v27, v11
	v_fmac_f32_e32 v12, v27, v10
	v_fmac_f32_e32 v11, v26, v10
	;; [unrolled: 1-line block ×4, first 2 shown]
	v_fma_f32 v10, -v25, v9, v12
	v_fmac_f32_e32 v11, v24, v9
	s_mov_b64 s[46:47], 0
	s_branch .LBB211_63
.LBB211_62:                             ;   in Loop: Header=BB211_63 Depth=3
	s_or_b64 exec, exec, s[48:49]
	s_xor_b64 s[48:49], s[50:51], -1
	s_and_b64 s[48:49], exec, s[48:49]
	s_or_b64 s[46:47], s[48:49], s[46:47]
	s_andn2_b64 exec, exec, s[46:47]
	s_cbranch_execz .LBB211_24
.LBB211_63:                             ;   Parent Loop BB211_22 Depth=1
                                        ;     Parent Loop BB211_25 Depth=2
                                        ; =>    This Inner Loop Header: Depth=3
	v_lshl_add_u32 v8, v31, 2, 0
	ds_read_b32 v9, v8
                                        ; implicit-def: $sgpr50_sgpr51
	s_waitcnt lgkmcnt(0)
	v_cmp_ne_u32_e32 vcc, v9, v30
	s_and_saveexec_b64 s[48:49], vcc
	s_xor_b64 s[48:49], exec, s[48:49]
	s_cbranch_execz .LBB211_71
; %bb.64:                               ;   in Loop: Header=BB211_63 Depth=3
	v_cmp_ne_u32_e32 vcc, s58, v9
                                        ; implicit-def: $sgpr50_sgpr51
	s_and_saveexec_b64 s[52:53], vcc
	s_xor_b64 s[52:53], exec, s[52:53]
; %bb.65:                               ;   in Loop: Header=BB211_63 Depth=3
	v_add_u32_e32 v8, 1, v31
	v_and_b32_e32 v31, 0x7f, v8
	s_mov_b64 s[50:51], -1
                                        ; implicit-def: $vgpr8
; %bb.66:                               ;   in Loop: Header=BB211_63 Depth=3
	s_andn2_saveexec_b64 s[52:53], s[52:53]
	s_cbranch_execz .LBB211_70
; %bb.67:                               ;   in Loop: Header=BB211_63 Depth=3
	v_mov_b32_e32 v9, s58
	ds_cmpst_rtn_b32 v9, v8, v9, v30
	s_mov_b64 s[56:57], -1
	s_waitcnt lgkmcnt(0)
	v_cmp_eq_u32_e32 vcc, s58, v9
	s_and_saveexec_b64 s[54:55], vcc
	s_cbranch_execz .LBB211_69
; %bb.68:                               ;   in Loop: Header=BB211_63 Depth=3
	v_mad_u64_u32 v[8:9], s[56:57], v31, 28, v[8:9]
	ds_add_f32 v8, v10 offset:536
	ds_add_f32 v8, v11 offset:540
	s_xor_b64 s[56:57], exec, -1
.LBB211_69:                             ;   in Loop: Header=BB211_63 Depth=3
	s_or_b64 exec, exec, s[54:55]
	s_andn2_b64 s[50:51], s[50:51], exec
	s_and_b64 s[54:55], s[56:57], exec
	s_or_b64 s[50:51], s[50:51], s[54:55]
.LBB211_70:                             ;   in Loop: Header=BB211_63 Depth=3
	s_or_b64 exec, exec, s[52:53]
	s_and_b64 s[50:51], s[50:51], exec
                                        ; implicit-def: $vgpr8
.LBB211_71:                             ;   in Loop: Header=BB211_63 Depth=3
	s_andn2_saveexec_b64 s[48:49], s[48:49]
	s_cbranch_execz .LBB211_62
; %bb.72:                               ;   in Loop: Header=BB211_63 Depth=3
	v_mad_u64_u32 v[8:9], s[52:53], v31, 28, v[8:9]
	ds_add_f32 v8, v10 offset:536
	ds_add_f32 v8, v11 offset:540
	s_andn2_b64 s[50:51], s[50:51], exec
	s_branch .LBB211_62
.LBB211_73:
	s_or_b64 exec, exec, s[20:21]
.LBB211_74:
	s_andn2_b64 vcc, exec, s[44:45]
	s_waitcnt lgkmcnt(0)
	s_barrier
	s_cbranch_vccnz .LBB211_127
; %bb.75:
	s_lshl_b64 s[4:5], s[6:7], 3
	s_add_u32 s4, s22, s4
	s_addc_u32 s5, s23, s5
	s_load_dwordx4 s[16:19], s[4:5], 0x0
	v_subrev_co_u32_e32 v2, vcc, s39, v0
	v_subb_co_u32_e64 v3, s[4:5], 0, 0, vcc
	s_waitcnt lgkmcnt(0)
	s_sub_u32 s4, s18, s39
	v_mov_b32_e32 v4, s17
	v_add_co_u32_e32 v2, vcc, s16, v2
	s_subb_u32 s5, s19, 0
	v_addc_co_u32_e32 v3, vcc, v4, v3, vcc
	v_cmp_gt_i64_e32 vcc, s[4:5], v[2:3]
	s_and_saveexec_b64 s[16:17], vcc
	s_cbranch_execz .LBB211_126
; %bb.76:
	s_cmp_eq_u32 s33, 0
	s_cselect_b32 s35, 1, 2
	s_cselect_b32 s36, 2, 1
	s_mov_b64 s[18:19], 0
	v_mov_b32_e32 v11, s11
	v_mov_b32_e32 v12, s9
	s_branch .LBB211_78
.LBB211_77:                             ;   in Loop: Header=BB211_78 Depth=1
	s_or_b64 exec, exec, s[20:21]
	v_add_co_u32_e32 v2, vcc, 0x100, v2
	v_addc_co_u32_e32 v3, vcc, 0, v3, vcc
	v_cmp_le_i64_e32 vcc, s[4:5], v[2:3]
	s_or_b64 s[18:19], vcc, s[18:19]
	s_andn2_b64 exec, exec, s[18:19]
	s_cbranch_execz .LBB211_126
.LBB211_78:                             ; =>This Loop Header: Depth=1
                                        ;     Child Loop BB211_80 Depth 2
                                        ;     Child Loop BB211_92 Depth 2
	;; [unrolled: 1-line block ×4, first 2 shown]
	v_lshlrev_b64 v[6:7], 5, v[2:3]
	v_lshlrev_b64 v[4:5], 2, v[2:3]
	v_add_co_u32_e32 v14, vcc, s10, v6
	v_addc_co_u32_e32 v15, vcc, v11, v7, vcc
	v_or_b32_e32 v7, 0, v5
	v_or_b32_e32 v6, s35, v4
	v_lshlrev_b64 v[6:7], 3, v[6:7]
	v_add_co_u32_e32 v16, vcc, s10, v6
	v_addc_co_u32_e32 v17, vcc, v11, v7, vcc
	v_or_b32_e32 v6, s36, v4
	v_add_co_u32_e32 v4, vcc, s8, v4
	v_or_b32_e32 v7, 0, v5
	v_addc_co_u32_e32 v5, vcc, v12, v5, vcc
	global_load_dword v10, v[4:5], off
	v_lshlrev_b64 v[6:7], 3, v[6:7]
	global_load_dwordx2 v[18:19], v[14:15], off
	v_add_co_u32_e32 v20, vcc, s10, v6
	v_addc_co_u32_e32 v21, vcc, v11, v7, vcc
	global_load_dwordx2 v[4:5], v[14:15], off offset:24
	global_load_dwordx2 v[8:9], v[16:17], off
	global_load_dwordx2 v[6:7], v[20:21], off
	s_mov_b64 s[20:21], 0
	s_waitcnt vmcnt(4)
	v_subrev_u32_e32 v13, s39, v10
	v_lshl_add_u32 v10, v13, 3, v13
	s_waitcnt vmcnt(3)
	v_mul_f32_e64 v15, v19, -s59
	v_mul_f32_e32 v16, s34, v19
	v_and_b32_e32 v14, 0x7f, v10
	v_fmac_f32_e32 v15, s34, v18
	v_fmac_f32_e32 v16, s59, v18
	v_mov_b32_e32 v17, v14
	s_branch .LBB211_80
.LBB211_79:                             ;   in Loop: Header=BB211_80 Depth=2
	s_or_b64 exec, exec, s[22:23]
	s_xor_b64 s[22:23], s[24:25], -1
	s_and_b64 s[22:23], exec, s[22:23]
	s_or_b64 s[20:21], s[22:23], s[20:21]
	s_andn2_b64 exec, exec, s[20:21]
	s_cbranch_execz .LBB211_90
.LBB211_80:                             ;   Parent Loop BB211_78 Depth=1
                                        ; =>  This Inner Loop Header: Depth=2
	v_lshl_add_u32 v10, v17, 2, 0
	ds_read_b32 v18, v10
                                        ; implicit-def: $sgpr24_sgpr25
	s_waitcnt lgkmcnt(0)
	v_cmp_ne_u32_e32 vcc, v18, v13
	s_and_saveexec_b64 s[22:23], vcc
	s_xor_b64 s[22:23], exec, s[22:23]
	s_cbranch_execz .LBB211_88
; %bb.81:                               ;   in Loop: Header=BB211_80 Depth=2
	v_cmp_ne_u32_e32 vcc, s58, v18
                                        ; implicit-def: $sgpr24_sgpr25
	s_and_saveexec_b64 s[26:27], vcc
	s_xor_b64 s[26:27], exec, s[26:27]
; %bb.82:                               ;   in Loop: Header=BB211_80 Depth=2
	v_add_u32_e32 v10, 1, v17
	v_and_b32_e32 v17, 0x7f, v10
	s_mov_b64 s[24:25], -1
                                        ; implicit-def: $vgpr10
; %bb.83:                               ;   in Loop: Header=BB211_80 Depth=2
	s_andn2_saveexec_b64 s[26:27], s[26:27]
	s_cbranch_execz .LBB211_87
; %bb.84:                               ;   in Loop: Header=BB211_80 Depth=2
	v_mov_b32_e32 v18, s58
	ds_cmpst_rtn_b32 v18, v10, v18, v13
	s_mov_b64 s[30:31], -1
	s_waitcnt lgkmcnt(0)
	v_cmp_eq_u32_e32 vcc, s58, v18
	s_and_saveexec_b64 s[28:29], vcc
	s_cbranch_execz .LBB211_86
; %bb.85:                               ;   in Loop: Header=BB211_80 Depth=2
	v_mad_u64_u32 v[18:19], s[30:31], v17, 28, v[10:11]
	ds_add_f32 v18, v15 offset:512
	ds_add_f32 v18, v16 offset:516
	s_xor_b64 s[30:31], exec, -1
.LBB211_86:                             ;   in Loop: Header=BB211_80 Depth=2
	s_or_b64 exec, exec, s[28:29]
	s_andn2_b64 s[24:25], s[24:25], exec
	s_and_b64 s[28:29], s[30:31], exec
	s_or_b64 s[24:25], s[24:25], s[28:29]
.LBB211_87:                             ;   in Loop: Header=BB211_80 Depth=2
	s_or_b64 exec, exec, s[26:27]
	s_and_b64 s[24:25], s[24:25], exec
                                        ; implicit-def: $vgpr10
.LBB211_88:                             ;   in Loop: Header=BB211_80 Depth=2
	s_andn2_saveexec_b64 s[22:23], s[22:23]
	s_cbranch_execz .LBB211_79
; %bb.89:                               ;   in Loop: Header=BB211_80 Depth=2
	v_mad_u64_u32 v[18:19], s[26:27], v17, 28, v[10:11]
	ds_add_f32 v18, v15 offset:512
	ds_add_f32 v18, v16 offset:516
	s_andn2_b64 s[24:25], s[24:25], exec
	s_branch .LBB211_79
.LBB211_90:                             ;   in Loop: Header=BB211_78 Depth=1
	s_or_b64 exec, exec, s[20:21]
	s_waitcnt vmcnt(1)
	v_mul_f32_e64 v10, v9, -s59
	v_mul_f32_e32 v9, s34, v9
	v_fmac_f32_e32 v10, s34, v8
	v_fmac_f32_e32 v9, s59, v8
	s_mov_b64 s[20:21], 0
	v_mov_b32_e32 v15, v14
	s_branch .LBB211_92
.LBB211_91:                             ;   in Loop: Header=BB211_92 Depth=2
	s_or_b64 exec, exec, s[22:23]
	s_xor_b64 s[22:23], s[24:25], -1
	s_and_b64 s[22:23], exec, s[22:23]
	s_or_b64 s[20:21], s[22:23], s[20:21]
	s_andn2_b64 exec, exec, s[20:21]
	s_cbranch_execz .LBB211_102
.LBB211_92:                             ;   Parent Loop BB211_78 Depth=1
                                        ; =>  This Inner Loop Header: Depth=2
	v_lshl_add_u32 v8, v15, 2, 0
	ds_read_b32 v16, v8
                                        ; implicit-def: $sgpr24_sgpr25
	s_waitcnt lgkmcnt(0)
	v_cmp_ne_u32_e32 vcc, v16, v13
	s_and_saveexec_b64 s[22:23], vcc
	s_xor_b64 s[22:23], exec, s[22:23]
	s_cbranch_execz .LBB211_100
; %bb.93:                               ;   in Loop: Header=BB211_92 Depth=2
	v_cmp_ne_u32_e32 vcc, s58, v16
                                        ; implicit-def: $sgpr24_sgpr25
	s_and_saveexec_b64 s[26:27], vcc
	s_xor_b64 s[26:27], exec, s[26:27]
; %bb.94:                               ;   in Loop: Header=BB211_92 Depth=2
	v_add_u32_e32 v8, 1, v15
	v_and_b32_e32 v15, 0x7f, v8
	s_mov_b64 s[24:25], -1
                                        ; implicit-def: $vgpr8
; %bb.95:                               ;   in Loop: Header=BB211_92 Depth=2
	s_andn2_saveexec_b64 s[26:27], s[26:27]
	s_cbranch_execz .LBB211_99
; %bb.96:                               ;   in Loop: Header=BB211_92 Depth=2
	v_mov_b32_e32 v16, s58
	ds_cmpst_rtn_b32 v16, v8, v16, v13
	s_mov_b64 s[30:31], -1
	s_waitcnt lgkmcnt(0)
	v_cmp_eq_u32_e32 vcc, s58, v16
	s_and_saveexec_b64 s[28:29], vcc
	s_cbranch_execz .LBB211_98
; %bb.97:                               ;   in Loop: Header=BB211_92 Depth=2
	v_mad_u64_u32 v[16:17], s[30:31], v15, 28, v[8:9]
	ds_add_f32 v16, v10 offset:520
	ds_add_f32 v16, v9 offset:524
	s_xor_b64 s[30:31], exec, -1
.LBB211_98:                             ;   in Loop: Header=BB211_92 Depth=2
	s_or_b64 exec, exec, s[28:29]
	s_andn2_b64 s[24:25], s[24:25], exec
	s_and_b64 s[28:29], s[30:31], exec
	s_or_b64 s[24:25], s[24:25], s[28:29]
.LBB211_99:                             ;   in Loop: Header=BB211_92 Depth=2
	s_or_b64 exec, exec, s[26:27]
	s_and_b64 s[24:25], s[24:25], exec
                                        ; implicit-def: $vgpr8
.LBB211_100:                            ;   in Loop: Header=BB211_92 Depth=2
	s_andn2_saveexec_b64 s[22:23], s[22:23]
	s_cbranch_execz .LBB211_91
; %bb.101:                              ;   in Loop: Header=BB211_92 Depth=2
	v_mad_u64_u32 v[16:17], s[26:27], v15, 28, v[8:9]
	ds_add_f32 v16, v10 offset:520
	ds_add_f32 v16, v9 offset:524
	s_andn2_b64 s[24:25], s[24:25], exec
	s_branch .LBB211_91
.LBB211_102:                            ;   in Loop: Header=BB211_78 Depth=1
	s_or_b64 exec, exec, s[20:21]
	s_waitcnt vmcnt(0)
	v_mul_f32_e64 v8, v7, -s59
	v_mul_f32_e32 v7, s34, v7
	v_fmac_f32_e32 v8, s34, v6
	v_fmac_f32_e32 v7, s59, v6
	s_mov_b64 s[20:21], 0
	v_mov_b32_e32 v9, v14
	s_branch .LBB211_104
.LBB211_103:                            ;   in Loop: Header=BB211_104 Depth=2
	s_or_b64 exec, exec, s[22:23]
	s_xor_b64 s[22:23], s[24:25], -1
	s_and_b64 s[22:23], exec, s[22:23]
	s_or_b64 s[20:21], s[22:23], s[20:21]
	s_andn2_b64 exec, exec, s[20:21]
	s_cbranch_execz .LBB211_114
.LBB211_104:                            ;   Parent Loop BB211_78 Depth=1
                                        ; =>  This Inner Loop Header: Depth=2
	v_lshl_add_u32 v6, v9, 2, 0
	ds_read_b32 v10, v6
                                        ; implicit-def: $sgpr24_sgpr25
	s_waitcnt lgkmcnt(0)
	v_cmp_ne_u32_e32 vcc, v10, v13
	s_and_saveexec_b64 s[22:23], vcc
	s_xor_b64 s[22:23], exec, s[22:23]
	s_cbranch_execz .LBB211_112
; %bb.105:                              ;   in Loop: Header=BB211_104 Depth=2
	v_cmp_ne_u32_e32 vcc, s58, v10
                                        ; implicit-def: $sgpr24_sgpr25
	s_and_saveexec_b64 s[26:27], vcc
	s_xor_b64 s[26:27], exec, s[26:27]
; %bb.106:                              ;   in Loop: Header=BB211_104 Depth=2
	v_add_u32_e32 v6, 1, v9
	v_and_b32_e32 v9, 0x7f, v6
	s_mov_b64 s[24:25], -1
                                        ; implicit-def: $vgpr6
; %bb.107:                              ;   in Loop: Header=BB211_104 Depth=2
	s_andn2_saveexec_b64 s[26:27], s[26:27]
	s_cbranch_execz .LBB211_111
; %bb.108:                              ;   in Loop: Header=BB211_104 Depth=2
	v_mov_b32_e32 v10, s58
	ds_cmpst_rtn_b32 v10, v6, v10, v13
	s_mov_b64 s[30:31], -1
	s_waitcnt lgkmcnt(0)
	v_cmp_eq_u32_e32 vcc, s58, v10
	s_and_saveexec_b64 s[28:29], vcc
	s_cbranch_execz .LBB211_110
; %bb.109:                              ;   in Loop: Header=BB211_104 Depth=2
	v_mad_u64_u32 v[16:17], s[30:31], v9, 28, v[6:7]
	ds_add_f32 v16, v8 offset:528
	ds_add_f32 v16, v7 offset:532
	s_xor_b64 s[30:31], exec, -1
.LBB211_110:                            ;   in Loop: Header=BB211_104 Depth=2
	s_or_b64 exec, exec, s[28:29]
	s_andn2_b64 s[24:25], s[24:25], exec
	s_and_b64 s[28:29], s[30:31], exec
	s_or_b64 s[24:25], s[24:25], s[28:29]
.LBB211_111:                            ;   in Loop: Header=BB211_104 Depth=2
	s_or_b64 exec, exec, s[26:27]
	s_and_b64 s[24:25], s[24:25], exec
                                        ; implicit-def: $vgpr6
.LBB211_112:                            ;   in Loop: Header=BB211_104 Depth=2
	s_andn2_saveexec_b64 s[22:23], s[22:23]
	s_cbranch_execz .LBB211_103
; %bb.113:                              ;   in Loop: Header=BB211_104 Depth=2
	v_mad_u64_u32 v[16:17], s[26:27], v9, 28, v[6:7]
	ds_add_f32 v16, v8 offset:528
	ds_add_f32 v16, v7 offset:532
	s_andn2_b64 s[24:25], s[24:25], exec
	s_branch .LBB211_103
.LBB211_114:                            ;   in Loop: Header=BB211_78 Depth=1
	s_or_b64 exec, exec, s[20:21]
	v_mul_f32_e64 v6, v5, -s59
	v_mul_f32_e32 v5, s34, v5
	v_fmac_f32_e32 v6, s34, v4
	v_fmac_f32_e32 v5, s59, v4
	s_mov_b64 s[20:21], 0
	s_branch .LBB211_116
.LBB211_115:                            ;   in Loop: Header=BB211_116 Depth=2
	s_or_b64 exec, exec, s[22:23]
	s_xor_b64 s[22:23], s[24:25], -1
	s_and_b64 s[22:23], exec, s[22:23]
	s_or_b64 s[20:21], s[22:23], s[20:21]
	s_andn2_b64 exec, exec, s[20:21]
	s_cbranch_execz .LBB211_77
.LBB211_116:                            ;   Parent Loop BB211_78 Depth=1
                                        ; =>  This Inner Loop Header: Depth=2
	v_lshl_add_u32 v4, v14, 2, 0
	ds_read_b32 v7, v4
                                        ; implicit-def: $sgpr24_sgpr25
	s_waitcnt lgkmcnt(0)
	v_cmp_ne_u32_e32 vcc, v7, v13
	s_and_saveexec_b64 s[22:23], vcc
	s_xor_b64 s[22:23], exec, s[22:23]
	s_cbranch_execz .LBB211_124
; %bb.117:                              ;   in Loop: Header=BB211_116 Depth=2
	v_cmp_ne_u32_e32 vcc, s58, v7
                                        ; implicit-def: $sgpr24_sgpr25
	s_and_saveexec_b64 s[26:27], vcc
	s_xor_b64 s[26:27], exec, s[26:27]
; %bb.118:                              ;   in Loop: Header=BB211_116 Depth=2
	v_add_u32_e32 v4, 1, v14
	v_and_b32_e32 v14, 0x7f, v4
	s_mov_b64 s[24:25], -1
                                        ; implicit-def: $vgpr4
; %bb.119:                              ;   in Loop: Header=BB211_116 Depth=2
	s_andn2_saveexec_b64 s[26:27], s[26:27]
	s_cbranch_execz .LBB211_123
; %bb.120:                              ;   in Loop: Header=BB211_116 Depth=2
	v_mov_b32_e32 v7, s58
	ds_cmpst_rtn_b32 v7, v4, v7, v13
	s_mov_b64 s[30:31], -1
	s_waitcnt lgkmcnt(0)
	v_cmp_eq_u32_e32 vcc, s58, v7
	s_and_saveexec_b64 s[28:29], vcc
	s_cbranch_execz .LBB211_122
; %bb.121:                              ;   in Loop: Header=BB211_116 Depth=2
	v_mad_u64_u32 v[8:9], s[30:31], v14, 28, v[4:5]
	ds_add_f32 v8, v6 offset:536
	ds_add_f32 v8, v5 offset:540
	s_xor_b64 s[30:31], exec, -1
.LBB211_122:                            ;   in Loop: Header=BB211_116 Depth=2
	s_or_b64 exec, exec, s[28:29]
	s_andn2_b64 s[24:25], s[24:25], exec
	s_and_b64 s[28:29], s[30:31], exec
	s_or_b64 s[24:25], s[24:25], s[28:29]
.LBB211_123:                            ;   in Loop: Header=BB211_116 Depth=2
	s_or_b64 exec, exec, s[26:27]
	s_and_b64 s[24:25], s[24:25], exec
                                        ; implicit-def: $vgpr4
.LBB211_124:                            ;   in Loop: Header=BB211_116 Depth=2
	s_andn2_saveexec_b64 s[22:23], s[22:23]
	s_cbranch_execz .LBB211_115
; %bb.125:                              ;   in Loop: Header=BB211_116 Depth=2
	v_mad_u64_u32 v[8:9], s[26:27], v14, 28, v[4:5]
	ds_add_f32 v8, v6 offset:536
	ds_add_f32 v8, v5 offset:540
	s_andn2_b64 s[24:25], s[24:25], exec
	s_branch .LBB211_115
.LBB211_126:
	s_or_b64 exec, exec, s[16:17]
.LBB211_127:
	s_waitcnt lgkmcnt(0)
	s_barrier
	s_and_saveexec_b64 s[4:5], s[0:1]
	s_cbranch_execz .LBB211_132
; %bb.128:
	ds_read_b32 v1, v1
	s_mov_b32 s0, 0
	s_waitcnt lgkmcnt(0)
	v_cmp_gt_i32_e32 vcc, s58, v1
	s_and_b64 exec, exec, vcc
	s_cbranch_execz .LBB211_132
; %bb.129:
	s_lshl_b64 s[4:5], s[6:7], 3
	s_add_u32 s4, s12, s4
	s_addc_u32 s5, s13, s5
	s_load_dwordx2 s[4:5], s[4:5], 0x0
	s_waitcnt lgkmcnt(0)
	s_sub_u32 s4, s4, s38
	s_subb_u32 s5, s5, 0
	v_pk_mov_b32 v[2:3], s[4:5], s[4:5] op_sel:[0,1]
.LBB211_130:                            ; =>This Inner Loop Header: Depth=1
	s_add_i32 s1, s0, 0
	v_mov_b32_e32 v18, s1
	ds_read2_b32 v[4:5], v18 offset1:1
	ds_read2_b32 v[6:7], v18 offset0:2 offset1:3
	ds_read2_b32 v[8:9], v18 offset0:4 offset1:5
	;; [unrolled: 1-line block ×7, first 2 shown]
	s_waitcnt lgkmcnt(7)
	v_cmp_gt_i32_e32 vcc, v1, v4
	v_cndmask_b32_e64 v4, 0, 1, vcc
	v_cmp_gt_i32_e32 vcc, v1, v5
	v_cndmask_b32_e64 v5, 0, 1, vcc
	s_waitcnt lgkmcnt(6)
	v_cmp_gt_i32_e32 vcc, v1, v6
	v_cndmask_b32_e64 v6, 0, 1, vcc
	v_cmp_gt_i32_e32 vcc, v1, v7
	v_cndmask_b32_e64 v7, 0, 1, vcc
	;; [unrolled: 5-line block ×8, first 2 shown]
	v_add_co_u32_e32 v2, vcc, v2, v4
	v_addc_co_u32_e32 v3, vcc, 0, v3, vcc
	v_add_co_u32_e32 v2, vcc, v2, v5
	v_addc_co_u32_e32 v3, vcc, 0, v3, vcc
	;; [unrolled: 2-line block ×15, first 2 shown]
	s_add_i32 s0, s0, 64
	v_add_co_u32_e32 v2, vcc, v2, v19
	s_cmpk_lg_i32 s0, 0x200
	v_addc_co_u32_e32 v3, vcc, 0, v3, vcc
	s_cbranch_scc1 .LBB211_130
; %bb.131:
	v_lshlrev_b64 v[4:5], 2, v[2:3]
	v_mov_b32_e32 v6, s15
	v_add_co_u32_e32 v4, vcc, s14, v4
	s_add_i32 s0, 0, 0x200
	v_add_u32_e32 v1, s38, v1
	v_addc_co_u32_e32 v5, vcc, v6, v5, vcc
	s_cmp_eq_u32 s33, 0
	global_store_dword v[4:5], v1, off
	v_lshlrev_b32_e32 v5, 5, v0
	v_lshlrev_b32_e32 v4, 2, v0
	v_add_u32_e32 v6, s0, v5
	s_cselect_b32 s0, 1, 2
	s_cselect_b32 s1, 2, 1
	v_lshlrev_b64 v[8:9], 5, v[2:3]
	v_or_b32_e32 v2, s0, v4
	v_or_b32_e32 v3, s1, v4
	v_add_u32_e32 v0, 0, v5
	v_lshl_add_u32 v2, v2, 3, 0
	v_lshl_add_u32 v3, v3, 3, 0
	ds_read2_b32 v[0:1], v0 offset0:128 offset1:129
	ds_read2_b32 v[4:5], v3 offset0:128 offset1:129
	;; [unrolled: 1-line block ×4, first 2 shown]
	v_mov_b32_e32 v10, s3
	v_add_co_u32_e32 v8, vcc, s2, v8
	v_addc_co_u32_e32 v9, vcc, v10, v9, vcc
	s_waitcnt lgkmcnt(1)
	global_store_dwordx4 v[8:9], v[0:3], off
	s_waitcnt lgkmcnt(0)
	global_store_dwordx4 v[8:9], v[4:7], off offset:16
.LBB211_132:
	s_endpgm
	.section	.rodata,"a",@progbits
	.p2align	6, 0x0
	.amdhsa_kernel _ZN9rocsparseL30bsrgemm_fill_block_per_row_2x2ILj256ELj16ELj128ELj137Eli21rocsparse_complex_numIfEEEv20rocsparse_direction_T4_S4_PKS4_S6_NS_24const_host_device_scalarIT5_EEPKT3_S6_PKS8_SC_S6_SE_S9_SC_S6_SE_SC_PS4_PS8_21rocsparse_index_base_SH_SH_SH_bbb
		.amdhsa_group_segment_fixed_size 0
		.amdhsa_private_segment_fixed_size 0
		.amdhsa_kernarg_size 164
		.amdhsa_user_sgpr_count 6
		.amdhsa_user_sgpr_private_segment_buffer 1
		.amdhsa_user_sgpr_dispatch_ptr 0
		.amdhsa_user_sgpr_queue_ptr 0
		.amdhsa_user_sgpr_kernarg_segment_ptr 1
		.amdhsa_user_sgpr_dispatch_id 0
		.amdhsa_user_sgpr_flat_scratch_init 0
		.amdhsa_user_sgpr_kernarg_preload_length 0
		.amdhsa_user_sgpr_kernarg_preload_offset 0
		.amdhsa_user_sgpr_private_segment_size 0
		.amdhsa_uses_dynamic_stack 0
		.amdhsa_system_sgpr_private_segment_wavefront_offset 0
		.amdhsa_system_sgpr_workgroup_id_x 1
		.amdhsa_system_sgpr_workgroup_id_y 0
		.amdhsa_system_sgpr_workgroup_id_z 0
		.amdhsa_system_sgpr_workgroup_info 0
		.amdhsa_system_vgpr_workitem_id 0
		.amdhsa_next_free_vgpr 38
		.amdhsa_next_free_sgpr 64
		.amdhsa_accum_offset 40
		.amdhsa_reserve_vcc 1
		.amdhsa_reserve_flat_scratch 0
		.amdhsa_float_round_mode_32 0
		.amdhsa_float_round_mode_16_64 0
		.amdhsa_float_denorm_mode_32 3
		.amdhsa_float_denorm_mode_16_64 3
		.amdhsa_dx10_clamp 1
		.amdhsa_ieee_mode 1
		.amdhsa_fp16_overflow 0
		.amdhsa_tg_split 0
		.amdhsa_exception_fp_ieee_invalid_op 0
		.amdhsa_exception_fp_denorm_src 0
		.amdhsa_exception_fp_ieee_div_zero 0
		.amdhsa_exception_fp_ieee_overflow 0
		.amdhsa_exception_fp_ieee_underflow 0
		.amdhsa_exception_fp_ieee_inexact 0
		.amdhsa_exception_int_div_zero 0
	.end_amdhsa_kernel
	.section	.text._ZN9rocsparseL30bsrgemm_fill_block_per_row_2x2ILj256ELj16ELj128ELj137Eli21rocsparse_complex_numIfEEEv20rocsparse_direction_T4_S4_PKS4_S6_NS_24const_host_device_scalarIT5_EEPKT3_S6_PKS8_SC_S6_SE_S9_SC_S6_SE_SC_PS4_PS8_21rocsparse_index_base_SH_SH_SH_bbb,"axG",@progbits,_ZN9rocsparseL30bsrgemm_fill_block_per_row_2x2ILj256ELj16ELj128ELj137Eli21rocsparse_complex_numIfEEEv20rocsparse_direction_T4_S4_PKS4_S6_NS_24const_host_device_scalarIT5_EEPKT3_S6_PKS8_SC_S6_SE_S9_SC_S6_SE_SC_PS4_PS8_21rocsparse_index_base_SH_SH_SH_bbb,comdat
.Lfunc_end211:
	.size	_ZN9rocsparseL30bsrgemm_fill_block_per_row_2x2ILj256ELj16ELj128ELj137Eli21rocsparse_complex_numIfEEEv20rocsparse_direction_T4_S4_PKS4_S6_NS_24const_host_device_scalarIT5_EEPKT3_S6_PKS8_SC_S6_SE_S9_SC_S6_SE_SC_PS4_PS8_21rocsparse_index_base_SH_SH_SH_bbb, .Lfunc_end211-_ZN9rocsparseL30bsrgemm_fill_block_per_row_2x2ILj256ELj16ELj128ELj137Eli21rocsparse_complex_numIfEEEv20rocsparse_direction_T4_S4_PKS4_S6_NS_24const_host_device_scalarIT5_EEPKT3_S6_PKS8_SC_S6_SE_S9_SC_S6_SE_SC_PS4_PS8_21rocsparse_index_base_SH_SH_SH_bbb
                                        ; -- End function
	.section	.AMDGPU.csdata,"",@progbits
; Kernel info:
; codeLenInByte = 4232
; NumSgprs: 68
; NumVgprs: 38
; NumAgprs: 0
; TotalNumVgprs: 38
; ScratchSize: 0
; MemoryBound: 0
; FloatMode: 240
; IeeeMode: 1
; LDSByteSize: 0 bytes/workgroup (compile time only)
; SGPRBlocks: 8
; VGPRBlocks: 4
; NumSGPRsForWavesPerEU: 68
; NumVGPRsForWavesPerEU: 38
; AccumOffset: 40
; Occupancy: 8
; WaveLimiterHint : 1
; COMPUTE_PGM_RSRC2:SCRATCH_EN: 0
; COMPUTE_PGM_RSRC2:USER_SGPR: 6
; COMPUTE_PGM_RSRC2:TRAP_HANDLER: 0
; COMPUTE_PGM_RSRC2:TGID_X_EN: 1
; COMPUTE_PGM_RSRC2:TGID_Y_EN: 0
; COMPUTE_PGM_RSRC2:TGID_Z_EN: 0
; COMPUTE_PGM_RSRC2:TIDIG_COMP_CNT: 0
; COMPUTE_PGM_RSRC3_GFX90A:ACCUM_OFFSET: 9
; COMPUTE_PGM_RSRC3_GFX90A:TG_SPLIT: 0
	.section	.text._ZN9rocsparseL30bsrgemm_fill_block_per_row_2x2ILj256ELj16ELj256ELj137Eli21rocsparse_complex_numIfEEEv20rocsparse_direction_T4_S4_PKS4_S6_NS_24const_host_device_scalarIT5_EEPKT3_S6_PKS8_SC_S6_SE_S9_SC_S6_SE_SC_PS4_PS8_21rocsparse_index_base_SH_SH_SH_bbb,"axG",@progbits,_ZN9rocsparseL30bsrgemm_fill_block_per_row_2x2ILj256ELj16ELj256ELj137Eli21rocsparse_complex_numIfEEEv20rocsparse_direction_T4_S4_PKS4_S6_NS_24const_host_device_scalarIT5_EEPKT3_S6_PKS8_SC_S6_SE_S9_SC_S6_SE_SC_PS4_PS8_21rocsparse_index_base_SH_SH_SH_bbb,comdat
	.globl	_ZN9rocsparseL30bsrgemm_fill_block_per_row_2x2ILj256ELj16ELj256ELj137Eli21rocsparse_complex_numIfEEEv20rocsparse_direction_T4_S4_PKS4_S6_NS_24const_host_device_scalarIT5_EEPKT3_S6_PKS8_SC_S6_SE_S9_SC_S6_SE_SC_PS4_PS8_21rocsparse_index_base_SH_SH_SH_bbb ; -- Begin function _ZN9rocsparseL30bsrgemm_fill_block_per_row_2x2ILj256ELj16ELj256ELj137Eli21rocsparse_complex_numIfEEEv20rocsparse_direction_T4_S4_PKS4_S6_NS_24const_host_device_scalarIT5_EEPKT3_S6_PKS8_SC_S6_SE_S9_SC_S6_SE_SC_PS4_PS8_21rocsparse_index_base_SH_SH_SH_bbb
	.p2align	8
	.type	_ZN9rocsparseL30bsrgemm_fill_block_per_row_2x2ILj256ELj16ELj256ELj137Eli21rocsparse_complex_numIfEEEv20rocsparse_direction_T4_S4_PKS4_S6_NS_24const_host_device_scalarIT5_EEPKT3_S6_PKS8_SC_S6_SE_S9_SC_S6_SE_SC_PS4_PS8_21rocsparse_index_base_SH_SH_SH_bbb,@function
_ZN9rocsparseL30bsrgemm_fill_block_per_row_2x2ILj256ELj16ELj256ELj137Eli21rocsparse_complex_numIfEEEv20rocsparse_direction_T4_S4_PKS4_S6_NS_24const_host_device_scalarIT5_EEPKT3_S6_PKS8_SC_S6_SE_S9_SC_S6_SE_SC_PS4_PS8_21rocsparse_index_base_SH_SH_SH_bbb: ; @_ZN9rocsparseL30bsrgemm_fill_block_per_row_2x2ILj256ELj16ELj256ELj137Eli21rocsparse_complex_numIfEEEv20rocsparse_direction_T4_S4_PKS4_S6_NS_24const_host_device_scalarIT5_EEPKT3_S6_PKS8_SC_S6_SE_S9_SC_S6_SE_SC_PS4_PS8_21rocsparse_index_base_SH_SH_SH_bbb
; %bb.0:
	s_load_dwordx8 s[8:15], s[4:5], 0x68
	s_load_dwordx8 s[16:23], s[4:5], 0x48
	s_load_dword s7, s[4:5], 0xa0
	s_load_dwordx4 s[40:43], s[4:5], 0x10
	s_load_dwordx8 s[24:31], s[4:5], 0x28
	s_load_dwordx2 s[2:3], s[4:5], 0x88
	s_load_dwordx4 s[36:39], s[4:5], 0x90
	s_waitcnt lgkmcnt(0)
	s_bitcmp1_b32 s7, 0
	s_cselect_b64 s[46:47], -1, 0
	s_bitcmp1_b32 s7, 16
	s_cselect_b64 s[0:1], -1, 0
	s_xor_b64 s[0:1], s[0:1], -1
	v_cndmask_b32_e64 v1, 0, 1, s[0:1]
	s_mov_b32 s35, 0
	s_bitcmp0_b32 s7, 0
	v_cmp_ne_u32_e64 s[0:1], 1, v1
	s_mov_b32 s60, 0
	s_cbranch_scc1 .LBB212_5
; %bb.1:
	s_load_dwordx2 s[34:35], s[4:5], 0x20
	s_and_b64 vcc, exec, s[0:1]
	s_waitcnt lgkmcnt(0)
	s_mov_b32 s60, s34
	s_cbranch_vccnz .LBB212_3
; %bb.2:
	s_load_dword s60, s[34:35], 0x0
.LBB212_3:
	s_and_b64 vcc, exec, s[0:1]
	s_cbranch_vccnz .LBB212_5
; %bb.4:
	s_load_dword s35, s[34:35], 0x4
.LBB212_5:
	s_bitcmp1_b32 s7, 8
	s_cselect_b64 s[44:45], -1, 0
	s_bfe_u32 s7, s7, 0x10008
	s_mov_b32 s59, 0
	s_cmp_eq_u32 s7, 0
	s_mov_b32 s34, 0
	s_cbranch_scc1 .LBB212_11
; %bb.6:
	s_and_b64 vcc, exec, s[0:1]
	s_mov_b32 s34, s20
	s_cbranch_vccnz .LBB212_8
; %bb.7:
	s_load_dword s34, s[20:21], 0x0
.LBB212_8:
	s_and_b64 vcc, exec, s[0:1]
	s_cbranch_vccnz .LBB212_10
; %bb.9:
	s_load_dword s21, s[20:21], 0x4
.LBB212_10:
	s_waitcnt lgkmcnt(0)
	s_mov_b32 s59, s21
.LBB212_11:
	s_load_dword s58, s[4:5], 0x8
	s_movk_i32 s0, 0x100
	v_cmp_gt_u32_e64 s[0:1], s0, v0
	v_lshl_add_u32 v1, v0, 2, 0
	s_and_saveexec_b64 s[20:21], s[0:1]
	s_cbranch_execz .LBB212_13
; %bb.12:
	s_waitcnt lgkmcnt(0)
	v_mov_b32_e32 v2, s58
	ds_write_b32 v1, v2
.LBB212_13:
	s_or_b64 exec, exec, s[20:21]
	v_lshl_add_u32 v2, v0, 3, 0
	v_add_u32_e32 v2, 0x400, v2
	v_or_b32_e32 v3, 0xffffff00, v0
	s_mov_b64 s[20:21], 0
	v_mov_b32_e32 v4, 0
	s_movk_i32 s7, 0x2ff
.LBB212_14:                             ; =>This Inner Loop Header: Depth=1
	v_add_u32_e32 v3, 0x100, v3
	v_cmp_lt_u32_e32 vcc, s7, v3
	ds_write2_b32 v2, v4, v4 offset1:1
	s_or_b64 s[20:21], vcc, s[20:21]
	v_add_u32_e32 v2, 0x800, v2
	s_andn2_b64 exec, exec, s[20:21]
	s_cbranch_execnz .LBB212_14
; %bb.15:
	s_or_b64 exec, exec, s[20:21]
	s_cmp_lg_u64 s[42:43], 0
	s_waitcnt lgkmcnt(0)
	s_barrier
	s_cbranch_scc0 .LBB212_17
; %bb.16:
	s_load_dword s7, s[40:41], 0x0
	s_waitcnt lgkmcnt(0)
	s_add_i32 s6, s7, s6
	s_mov_b32 s7, 0
	s_lshl_b64 s[6:7], s[6:7], 2
	s_add_u32 s6, s42, s6
	s_addc_u32 s7, s43, s7
	s_load_dword s6, s[6:7], 0x0
.LBB212_17:
	s_nop 0
	s_load_dword s33, s[4:5], 0x0
	s_andn2_b64 vcc, exec, s[46:47]
	s_waitcnt lgkmcnt(0)
	s_ashr_i32 s7, s6, 31
	s_cbranch_vccnz .LBB212_73
; %bb.18:
	s_lshl_b64 s[4:5], s[6:7], 3
	s_add_u32 s4, s24, s4
	s_addc_u32 s5, s25, s5
	s_load_dwordx4 s[48:51], s[4:5], 0x0
	v_lshrrev_b32_e32 v2, 4, v0
	v_subrev_co_u32_e32 v2, vcc, s36, v2
	v_subb_co_u32_e64 v3, s[20:21], 0, 0, vcc
	s_waitcnt lgkmcnt(0)
	s_sub_u32 s4, s50, s36
	v_mov_b32_e32 v4, s49
	v_add_co_u32_e32 v2, vcc, s48, v2
	s_subb_u32 s5, s51, 0
	v_addc_co_u32_e32 v3, vcc, v4, v3, vcc
	s_mov_b32 s40, 0
	v_cmp_gt_i64_e32 vcc, s[4:5], v[2:3]
	s_and_saveexec_b64 s[20:21], vcc
	s_cbranch_execz .LBB212_72
; %bb.19:
	v_and_b32_e32 v4, 15, v0
	v_subrev_co_u32_e32 v17, vcc, s37, v4
	s_cmp_eq_u32 s33, 0
	v_subb_co_u32_e64 v18, s[24:25], 0, 0, vcc
	s_mov_b32 s61, s37
	s_cselect_b32 s62, 2, 1
	s_cselect_b32 s63, 1, 2
	s_mov_b64 s[24:25], 0
	v_mov_b32_e32 v19, s27
	v_mov_b32_e32 v20, s31
	;; [unrolled: 1-line block ×3, first 2 shown]
	s_movk_i32 s27, 0x89
	s_branch .LBB212_21
.LBB212_20:                             ;   in Loop: Header=BB212_21 Depth=1
	s_or_b64 exec, exec, s[40:41]
	v_add_co_u32_e32 v2, vcc, 16, v2
	v_addc_co_u32_e32 v3, vcc, 0, v3, vcc
	v_cmp_le_i64_e32 vcc, s[4:5], v[2:3]
	s_or_b64 s[24:25], vcc, s[24:25]
	s_andn2_b64 exec, exec, s[24:25]
	s_cbranch_execz .LBB212_72
.LBB212_21:                             ; =>This Loop Header: Depth=1
                                        ;     Child Loop BB212_24 Depth 2
                                        ;       Child Loop BB212_26 Depth 3
                                        ;       Child Loop BB212_38 Depth 3
	;; [unrolled: 1-line block ×4, first 2 shown]
	v_lshlrev_b64 v[8:9], 2, v[2:3]
	v_add_co_u32_e32 v4, vcc, s26, v8
	v_addc_co_u32_e32 v5, vcc, v19, v9, vcc
	global_load_dword v4, v[4:5], off
	s_waitcnt vmcnt(0)
	v_subrev_u32_e32 v4, s36, v4
	v_ashrrev_i32_e32 v5, 31, v4
	v_lshlrev_b64 v[4:5], 3, v[4:5]
	v_add_co_u32_e32 v4, vcc, s30, v4
	v_addc_co_u32_e32 v5, vcc, v20, v5, vcc
	global_load_dwordx4 v[10:13], v[4:5], off
	s_waitcnt vmcnt(0)
	v_subrev_co_u32_e32 v4, vcc, s61, v12
	v_subb_co_u32_e32 v5, vcc, v13, v21, vcc
	v_add_co_u32_e32 v6, vcc, v10, v17
	v_addc_co_u32_e32 v7, vcc, v11, v18, vcc
	v_cmp_lt_i64_e32 vcc, v[6:7], v[4:5]
	s_and_saveexec_b64 s[40:41], vcc
	s_cbranch_execz .LBB212_20
; %bb.22:                               ;   in Loop: Header=BB212_21 Depth=1
	v_lshlrev_b64 v[10:11], 5, v[2:3]
	v_mov_b32_e32 v16, s29
	v_add_co_u32_e32 v10, vcc, s28, v10
	v_or_b32_e32 v15, 0, v9
	v_or_b32_e32 v14, s62, v8
	v_addc_co_u32_e32 v11, vcc, v16, v11, vcc
	v_lshlrev_b64 v[14:15], 3, v[14:15]
	v_add_co_u32_e32 v14, vcc, s28, v14
	v_or_b32_e32 v9, 0, v9
	v_or_b32_e32 v8, s63, v8
	v_addc_co_u32_e32 v15, vcc, v16, v15, vcc
	v_lshlrev_b64 v[8:9], 3, v[8:9]
	v_add_co_u32_e32 v8, vcc, s28, v8
	v_addc_co_u32_e32 v9, vcc, v16, v9, vcc
	global_load_dwordx2 v[12:13], v[10:11], off
	s_nop 0
	global_load_dwordx2 v[14:15], v[14:15], off
	s_nop 0
	;; [unrolled: 2-line block ×3, first 2 shown]
	global_load_dwordx2 v[10:11], v[10:11], off offset:24
	s_mov_b64 s[42:43], 0
	s_waitcnt vmcnt(2)
	v_mul_f32_e64 v24, v15, -s35
	v_mul_f32_e64 v22, v13, -s35
	v_mul_f32_e32 v23, s60, v13
	v_mul_f32_e32 v25, s60, v15
	s_waitcnt vmcnt(0)
	v_mul_f32_e32 v26, s60, v11
	v_mul_f32_e64 v27, v11, -s35
	v_mul_f32_e32 v28, s60, v9
	v_mul_f32_e64 v29, v9, -s35
	v_fmac_f32_e32 v22, s60, v12
	v_fmac_f32_e32 v23, s35, v12
	;; [unrolled: 1-line block ×8, first 2 shown]
	s_branch .LBB212_24
.LBB212_23:                             ;   in Loop: Header=BB212_24 Depth=2
	s_or_b64 exec, exec, s[46:47]
	v_add_co_u32_e32 v6, vcc, 16, v6
	v_addc_co_u32_e32 v7, vcc, 0, v7, vcc
	v_cmp_ge_i64_e32 vcc, v[6:7], v[4:5]
	s_or_b64 s[42:43], vcc, s[42:43]
	s_andn2_b64 exec, exec, s[42:43]
	s_cbranch_execz .LBB212_20
.LBB212_24:                             ;   Parent Loop BB212_21 Depth=1
                                        ; =>  This Loop Header: Depth=2
                                        ;       Child Loop BB212_26 Depth 3
                                        ;       Child Loop BB212_38 Depth 3
	;; [unrolled: 1-line block ×4, first 2 shown]
	v_lshlrev_b64 v[8:9], 2, v[6:7]
	v_mov_b32_e32 v11, s17
	v_add_co_u32_e32 v10, vcc, s16, v8
	v_addc_co_u32_e32 v11, vcc, v11, v9, vcc
	global_load_dword v16, v[10:11], off
	v_or_b32_e32 v11, 0, v9
	v_or_b32_e32 v10, s63, v8
	v_or_b32_e32 v9, 0, v9
	v_or_b32_e32 v8, s62, v8
	v_lshlrev_b64 v[8:9], 3, v[8:9]
	v_mov_b32_e32 v32, s19
	v_add_co_u32_e32 v8, vcc, s18, v8
	v_lshlrev_b64 v[12:13], 5, v[6:7]
	v_addc_co_u32_e32 v9, vcc, v32, v9, vcc
	v_add_co_u32_e32 v30, vcc, s18, v12
	global_load_dwordx2 v[14:15], v[8:9], off
	v_addc_co_u32_e32 v31, vcc, v32, v13, vcc
	global_load_dwordx2 v[12:13], v[30:31], off
	v_lshlrev_b64 v[8:9], 3, v[10:11]
	v_add_co_u32_e32 v8, vcc, s18, v8
	v_addc_co_u32_e32 v9, vcc, v32, v9, vcc
	global_load_dwordx2 v[8:9], v[8:9], off
	s_nop 0
	global_load_dwordx2 v[10:11], v[30:31], off offset:24
	s_mov_b64 s[46:47], 0
	s_waitcnt vmcnt(4)
	v_subrev_u32_e32 v30, s37, v16
	v_mul_lo_u32 v16, v30, s27
	v_and_b32_e32 v31, 0xff, v16
	v_mov_b32_e32 v34, v31
	s_waitcnt vmcnt(3)
	v_mul_f32_e64 v33, v15, -v28
	v_mul_f32_e32 v32, v29, v15
	v_fmac_f32_e32 v33, v29, v14
	v_fmac_f32_e32 v32, v28, v14
	s_waitcnt vmcnt(2)
	v_fmac_f32_e32 v33, v22, v12
	v_fmac_f32_e32 v32, v23, v12
	v_fma_f32 v33, -v23, v13, v33
	v_fmac_f32_e32 v32, v22, v13
	s_branch .LBB212_26
.LBB212_25:                             ;   in Loop: Header=BB212_26 Depth=3
	s_or_b64 exec, exec, s[48:49]
	s_xor_b64 s[48:49], s[50:51], -1
	s_and_b64 s[48:49], exec, s[48:49]
	s_or_b64 s[46:47], s[48:49], s[46:47]
	s_andn2_b64 exec, exec, s[46:47]
	s_cbranch_execz .LBB212_36
.LBB212_26:                             ;   Parent Loop BB212_21 Depth=1
                                        ;     Parent Loop BB212_24 Depth=2
                                        ; =>    This Inner Loop Header: Depth=3
	v_lshl_add_u32 v16, v34, 2, 0
	ds_read_b32 v35, v16
                                        ; implicit-def: $sgpr50_sgpr51
	s_waitcnt lgkmcnt(0)
	v_cmp_ne_u32_e32 vcc, v35, v30
	s_and_saveexec_b64 s[48:49], vcc
	s_xor_b64 s[48:49], exec, s[48:49]
	s_cbranch_execz .LBB212_34
; %bb.27:                               ;   in Loop: Header=BB212_26 Depth=3
	v_cmp_ne_u32_e32 vcc, s58, v35
                                        ; implicit-def: $sgpr50_sgpr51
	s_and_saveexec_b64 s[52:53], vcc
	s_xor_b64 s[52:53], exec, s[52:53]
; %bb.28:                               ;   in Loop: Header=BB212_26 Depth=3
	v_add_u32_e32 v16, 1, v34
	v_and_b32_e32 v34, 0xff, v16
	s_mov_b64 s[50:51], -1
                                        ; implicit-def: $vgpr16
; %bb.29:                               ;   in Loop: Header=BB212_26 Depth=3
	s_andn2_saveexec_b64 s[52:53], s[52:53]
	s_cbranch_execz .LBB212_33
; %bb.30:                               ;   in Loop: Header=BB212_26 Depth=3
	v_mov_b32_e32 v35, s58
	ds_cmpst_rtn_b32 v35, v16, v35, v30
	s_mov_b64 s[56:57], -1
	s_waitcnt lgkmcnt(0)
	v_cmp_eq_u32_e32 vcc, s58, v35
	s_and_saveexec_b64 s[54:55], vcc
	s_cbranch_execz .LBB212_32
; %bb.31:                               ;   in Loop: Header=BB212_26 Depth=3
	v_mad_u64_u32 v[36:37], s[56:57], v34, 28, v[16:17]
	ds_add_f32 v36, v33 offset:1024
	ds_add_f32 v36, v32 offset:1028
	s_xor_b64 s[56:57], exec, -1
.LBB212_32:                             ;   in Loop: Header=BB212_26 Depth=3
	s_or_b64 exec, exec, s[54:55]
	s_andn2_b64 s[50:51], s[50:51], exec
	s_and_b64 s[54:55], s[56:57], exec
	s_or_b64 s[50:51], s[50:51], s[54:55]
.LBB212_33:                             ;   in Loop: Header=BB212_26 Depth=3
	s_or_b64 exec, exec, s[52:53]
	s_and_b64 s[50:51], s[50:51], exec
                                        ; implicit-def: $vgpr16
.LBB212_34:                             ;   in Loop: Header=BB212_26 Depth=3
	s_andn2_saveexec_b64 s[48:49], s[48:49]
	s_cbranch_execz .LBB212_25
; %bb.35:                               ;   in Loop: Header=BB212_26 Depth=3
	v_mad_u64_u32 v[36:37], s[52:53], v34, 28, v[16:17]
	ds_add_f32 v36, v33 offset:1024
	ds_add_f32 v36, v32 offset:1028
	s_andn2_b64 s[50:51], s[50:51], exec
	s_branch .LBB212_25
.LBB212_36:                             ;   in Loop: Header=BB212_24 Depth=2
	s_or_b64 exec, exec, s[46:47]
	s_waitcnt vmcnt(0)
	v_mul_f32_e64 v16, v11, -v28
	v_mul_f32_e32 v32, v29, v11
	v_fmac_f32_e32 v16, v29, v10
	v_fmac_f32_e32 v32, v28, v10
	;; [unrolled: 1-line block ×4, first 2 shown]
	v_fma_f32 v33, -v23, v9, v16
	v_fmac_f32_e32 v32, v22, v9
	s_mov_b64 s[46:47], 0
	v_mov_b32_e32 v34, v31
	s_branch .LBB212_38
.LBB212_37:                             ;   in Loop: Header=BB212_38 Depth=3
	s_or_b64 exec, exec, s[48:49]
	s_xor_b64 s[48:49], s[50:51], -1
	s_and_b64 s[48:49], exec, s[48:49]
	s_or_b64 s[46:47], s[48:49], s[46:47]
	s_andn2_b64 exec, exec, s[46:47]
	s_cbranch_execz .LBB212_48
.LBB212_38:                             ;   Parent Loop BB212_21 Depth=1
                                        ;     Parent Loop BB212_24 Depth=2
                                        ; =>    This Inner Loop Header: Depth=3
	v_lshl_add_u32 v16, v34, 2, 0
	ds_read_b32 v35, v16
                                        ; implicit-def: $sgpr50_sgpr51
	s_waitcnt lgkmcnt(0)
	v_cmp_ne_u32_e32 vcc, v35, v30
	s_and_saveexec_b64 s[48:49], vcc
	s_xor_b64 s[48:49], exec, s[48:49]
	s_cbranch_execz .LBB212_46
; %bb.39:                               ;   in Loop: Header=BB212_38 Depth=3
	v_cmp_ne_u32_e32 vcc, s58, v35
                                        ; implicit-def: $sgpr50_sgpr51
	s_and_saveexec_b64 s[52:53], vcc
	s_xor_b64 s[52:53], exec, s[52:53]
; %bb.40:                               ;   in Loop: Header=BB212_38 Depth=3
	v_add_u32_e32 v16, 1, v34
	v_and_b32_e32 v34, 0xff, v16
	s_mov_b64 s[50:51], -1
                                        ; implicit-def: $vgpr16
; %bb.41:                               ;   in Loop: Header=BB212_38 Depth=3
	s_andn2_saveexec_b64 s[52:53], s[52:53]
	s_cbranch_execz .LBB212_45
; %bb.42:                               ;   in Loop: Header=BB212_38 Depth=3
	v_mov_b32_e32 v35, s58
	ds_cmpst_rtn_b32 v35, v16, v35, v30
	s_mov_b64 s[56:57], -1
	s_waitcnt lgkmcnt(0)
	v_cmp_eq_u32_e32 vcc, s58, v35
	s_and_saveexec_b64 s[54:55], vcc
	s_cbranch_execz .LBB212_44
; %bb.43:                               ;   in Loop: Header=BB212_38 Depth=3
	v_mad_u64_u32 v[36:37], s[56:57], v34, 28, v[16:17]
	ds_add_f32 v36, v33 offset:1032
	ds_add_f32 v36, v32 offset:1036
	s_xor_b64 s[56:57], exec, -1
.LBB212_44:                             ;   in Loop: Header=BB212_38 Depth=3
	s_or_b64 exec, exec, s[54:55]
	s_andn2_b64 s[50:51], s[50:51], exec
	s_and_b64 s[54:55], s[56:57], exec
	s_or_b64 s[50:51], s[50:51], s[54:55]
.LBB212_45:                             ;   in Loop: Header=BB212_38 Depth=3
	s_or_b64 exec, exec, s[52:53]
	s_and_b64 s[50:51], s[50:51], exec
                                        ; implicit-def: $vgpr16
.LBB212_46:                             ;   in Loop: Header=BB212_38 Depth=3
	s_andn2_saveexec_b64 s[48:49], s[48:49]
	s_cbranch_execz .LBB212_37
; %bb.47:                               ;   in Loop: Header=BB212_38 Depth=3
	v_mad_u64_u32 v[36:37], s[52:53], v34, 28, v[16:17]
	ds_add_f32 v36, v33 offset:1032
	ds_add_f32 v36, v32 offset:1036
	s_andn2_b64 s[50:51], s[50:51], exec
	s_branch .LBB212_37
.LBB212_48:                             ;   in Loop: Header=BB212_24 Depth=2
	s_or_b64 exec, exec, s[46:47]
	v_mul_f32_e64 v16, v15, -v26
	v_mul_f32_e32 v15, v27, v15
	v_fmac_f32_e32 v16, v27, v14
	v_fmac_f32_e32 v15, v26, v14
	;; [unrolled: 1-line block ×4, first 2 shown]
	v_fma_f32 v14, -v25, v13, v16
	v_fmac_f32_e32 v15, v24, v13
	s_mov_b64 s[46:47], 0
	v_mov_b32_e32 v13, v31
	s_branch .LBB212_50
.LBB212_49:                             ;   in Loop: Header=BB212_50 Depth=3
	s_or_b64 exec, exec, s[48:49]
	s_xor_b64 s[48:49], s[50:51], -1
	s_and_b64 s[48:49], exec, s[48:49]
	s_or_b64 s[46:47], s[48:49], s[46:47]
	s_andn2_b64 exec, exec, s[46:47]
	s_cbranch_execz .LBB212_60
.LBB212_50:                             ;   Parent Loop BB212_21 Depth=1
                                        ;     Parent Loop BB212_24 Depth=2
                                        ; =>    This Inner Loop Header: Depth=3
	v_lshl_add_u32 v12, v13, 2, 0
	ds_read_b32 v16, v12
                                        ; implicit-def: $sgpr50_sgpr51
	s_waitcnt lgkmcnt(0)
	v_cmp_ne_u32_e32 vcc, v16, v30
	s_and_saveexec_b64 s[48:49], vcc
	s_xor_b64 s[48:49], exec, s[48:49]
	s_cbranch_execz .LBB212_58
; %bb.51:                               ;   in Loop: Header=BB212_50 Depth=3
	v_cmp_ne_u32_e32 vcc, s58, v16
                                        ; implicit-def: $sgpr50_sgpr51
	s_and_saveexec_b64 s[52:53], vcc
	s_xor_b64 s[52:53], exec, s[52:53]
; %bb.52:                               ;   in Loop: Header=BB212_50 Depth=3
	v_add_u32_e32 v12, 1, v13
	v_and_b32_e32 v13, 0xff, v12
	s_mov_b64 s[50:51], -1
                                        ; implicit-def: $vgpr12
; %bb.53:                               ;   in Loop: Header=BB212_50 Depth=3
	s_andn2_saveexec_b64 s[52:53], s[52:53]
	s_cbranch_execz .LBB212_57
; %bb.54:                               ;   in Loop: Header=BB212_50 Depth=3
	v_mov_b32_e32 v16, s58
	ds_cmpst_rtn_b32 v16, v12, v16, v30
	s_mov_b64 s[56:57], -1
	s_waitcnt lgkmcnt(0)
	v_cmp_eq_u32_e32 vcc, s58, v16
	s_and_saveexec_b64 s[54:55], vcc
	s_cbranch_execz .LBB212_56
; %bb.55:                               ;   in Loop: Header=BB212_50 Depth=3
	v_mad_u64_u32 v[32:33], s[56:57], v13, 28, v[12:13]
	ds_add_f32 v32, v14 offset:1040
	ds_add_f32 v32, v15 offset:1044
	s_xor_b64 s[56:57], exec, -1
.LBB212_56:                             ;   in Loop: Header=BB212_50 Depth=3
	s_or_b64 exec, exec, s[54:55]
	s_andn2_b64 s[50:51], s[50:51], exec
	s_and_b64 s[54:55], s[56:57], exec
	s_or_b64 s[50:51], s[50:51], s[54:55]
.LBB212_57:                             ;   in Loop: Header=BB212_50 Depth=3
	s_or_b64 exec, exec, s[52:53]
	s_and_b64 s[50:51], s[50:51], exec
                                        ; implicit-def: $vgpr12
.LBB212_58:                             ;   in Loop: Header=BB212_50 Depth=3
	s_andn2_saveexec_b64 s[48:49], s[48:49]
	s_cbranch_execz .LBB212_49
; %bb.59:                               ;   in Loop: Header=BB212_50 Depth=3
	v_mad_u64_u32 v[32:33], s[52:53], v13, 28, v[12:13]
	ds_add_f32 v32, v14 offset:1040
	ds_add_f32 v32, v15 offset:1044
	s_andn2_b64 s[50:51], s[50:51], exec
	s_branch .LBB212_49
.LBB212_60:                             ;   in Loop: Header=BB212_24 Depth=2
	s_or_b64 exec, exec, s[46:47]
	v_mul_f32_e64 v12, v11, -v26
	v_mul_f32_e32 v11, v27, v11
	v_fmac_f32_e32 v12, v27, v10
	v_fmac_f32_e32 v11, v26, v10
	;; [unrolled: 1-line block ×4, first 2 shown]
	v_fma_f32 v10, -v25, v9, v12
	v_fmac_f32_e32 v11, v24, v9
	s_mov_b64 s[46:47], 0
	s_branch .LBB212_62
.LBB212_61:                             ;   in Loop: Header=BB212_62 Depth=3
	s_or_b64 exec, exec, s[48:49]
	s_xor_b64 s[48:49], s[50:51], -1
	s_and_b64 s[48:49], exec, s[48:49]
	s_or_b64 s[46:47], s[48:49], s[46:47]
	s_andn2_b64 exec, exec, s[46:47]
	s_cbranch_execz .LBB212_23
.LBB212_62:                             ;   Parent Loop BB212_21 Depth=1
                                        ;     Parent Loop BB212_24 Depth=2
                                        ; =>    This Inner Loop Header: Depth=3
	v_lshl_add_u32 v8, v31, 2, 0
	ds_read_b32 v9, v8
                                        ; implicit-def: $sgpr50_sgpr51
	s_waitcnt lgkmcnt(0)
	v_cmp_ne_u32_e32 vcc, v9, v30
	s_and_saveexec_b64 s[48:49], vcc
	s_xor_b64 s[48:49], exec, s[48:49]
	s_cbranch_execz .LBB212_70
; %bb.63:                               ;   in Loop: Header=BB212_62 Depth=3
	v_cmp_ne_u32_e32 vcc, s58, v9
                                        ; implicit-def: $sgpr50_sgpr51
	s_and_saveexec_b64 s[52:53], vcc
	s_xor_b64 s[52:53], exec, s[52:53]
; %bb.64:                               ;   in Loop: Header=BB212_62 Depth=3
	v_add_u32_e32 v8, 1, v31
	v_and_b32_e32 v31, 0xff, v8
	s_mov_b64 s[50:51], -1
                                        ; implicit-def: $vgpr8
; %bb.65:                               ;   in Loop: Header=BB212_62 Depth=3
	s_andn2_saveexec_b64 s[52:53], s[52:53]
	s_cbranch_execz .LBB212_69
; %bb.66:                               ;   in Loop: Header=BB212_62 Depth=3
	v_mov_b32_e32 v9, s58
	ds_cmpst_rtn_b32 v9, v8, v9, v30
	s_mov_b64 s[56:57], -1
	s_waitcnt lgkmcnt(0)
	v_cmp_eq_u32_e32 vcc, s58, v9
	s_and_saveexec_b64 s[54:55], vcc
	s_cbranch_execz .LBB212_68
; %bb.67:                               ;   in Loop: Header=BB212_62 Depth=3
	v_mad_u64_u32 v[8:9], s[56:57], v31, 28, v[8:9]
	ds_add_f32 v8, v10 offset:1048
	ds_add_f32 v8, v11 offset:1052
	s_xor_b64 s[56:57], exec, -1
.LBB212_68:                             ;   in Loop: Header=BB212_62 Depth=3
	s_or_b64 exec, exec, s[54:55]
	s_andn2_b64 s[50:51], s[50:51], exec
	s_and_b64 s[54:55], s[56:57], exec
	s_or_b64 s[50:51], s[50:51], s[54:55]
.LBB212_69:                             ;   in Loop: Header=BB212_62 Depth=3
	s_or_b64 exec, exec, s[52:53]
	s_and_b64 s[50:51], s[50:51], exec
                                        ; implicit-def: $vgpr8
.LBB212_70:                             ;   in Loop: Header=BB212_62 Depth=3
	s_andn2_saveexec_b64 s[48:49], s[48:49]
	s_cbranch_execz .LBB212_61
; %bb.71:                               ;   in Loop: Header=BB212_62 Depth=3
	v_mad_u64_u32 v[8:9], s[52:53], v31, 28, v[8:9]
	ds_add_f32 v8, v10 offset:1048
	ds_add_f32 v8, v11 offset:1052
	s_andn2_b64 s[50:51], s[50:51], exec
	s_branch .LBB212_61
.LBB212_72:
	s_or_b64 exec, exec, s[20:21]
.LBB212_73:
	s_andn2_b64 vcc, exec, s[44:45]
	s_waitcnt lgkmcnt(0)
	s_barrier
	s_cbranch_vccnz .LBB212_126
; %bb.74:
	s_lshl_b64 s[4:5], s[6:7], 3
	s_add_u32 s4, s22, s4
	s_addc_u32 s5, s23, s5
	s_load_dwordx4 s[16:19], s[4:5], 0x0
	v_subrev_co_u32_e32 v2, vcc, s39, v0
	v_subb_co_u32_e64 v3, s[4:5], 0, 0, vcc
	s_waitcnt lgkmcnt(0)
	s_sub_u32 s4, s18, s39
	v_mov_b32_e32 v4, s17
	v_add_co_u32_e32 v2, vcc, s16, v2
	s_subb_u32 s5, s19, 0
	v_addc_co_u32_e32 v3, vcc, v4, v3, vcc
	v_cmp_gt_i64_e32 vcc, s[4:5], v[2:3]
	s_and_saveexec_b64 s[16:17], vcc
	s_cbranch_execz .LBB212_125
; %bb.75:
	s_cmp_eq_u32 s33, 0
	s_cselect_b32 s35, 1, 2
	s_cselect_b32 s36, 2, 1
	s_mov_b64 s[18:19], 0
	v_mov_b32_e32 v11, s11
	v_mov_b32_e32 v12, s9
	s_movk_i32 s9, 0x89
	s_branch .LBB212_77
.LBB212_76:                             ;   in Loop: Header=BB212_77 Depth=1
	s_or_b64 exec, exec, s[20:21]
	v_add_co_u32_e32 v2, vcc, 0x100, v2
	v_addc_co_u32_e32 v3, vcc, 0, v3, vcc
	v_cmp_le_i64_e32 vcc, s[4:5], v[2:3]
	s_or_b64 s[18:19], vcc, s[18:19]
	s_andn2_b64 exec, exec, s[18:19]
	s_cbranch_execz .LBB212_125
.LBB212_77:                             ; =>This Loop Header: Depth=1
                                        ;     Child Loop BB212_79 Depth 2
                                        ;     Child Loop BB212_91 Depth 2
	;; [unrolled: 1-line block ×4, first 2 shown]
	v_lshlrev_b64 v[6:7], 5, v[2:3]
	v_lshlrev_b64 v[4:5], 2, v[2:3]
	v_add_co_u32_e32 v14, vcc, s10, v6
	v_addc_co_u32_e32 v15, vcc, v11, v7, vcc
	v_or_b32_e32 v7, 0, v5
	v_or_b32_e32 v6, s35, v4
	v_lshlrev_b64 v[6:7], 3, v[6:7]
	v_add_co_u32_e32 v16, vcc, s10, v6
	v_addc_co_u32_e32 v17, vcc, v11, v7, vcc
	v_or_b32_e32 v6, s36, v4
	v_add_co_u32_e32 v4, vcc, s8, v4
	v_or_b32_e32 v7, 0, v5
	v_addc_co_u32_e32 v5, vcc, v12, v5, vcc
	global_load_dword v10, v[4:5], off
	v_lshlrev_b64 v[6:7], 3, v[6:7]
	global_load_dwordx2 v[18:19], v[14:15], off
	v_add_co_u32_e32 v20, vcc, s10, v6
	v_addc_co_u32_e32 v21, vcc, v11, v7, vcc
	global_load_dwordx2 v[4:5], v[14:15], off offset:24
	global_load_dwordx2 v[8:9], v[16:17], off
	global_load_dwordx2 v[6:7], v[20:21], off
	s_mov_b64 s[20:21], 0
	s_waitcnt vmcnt(4)
	v_subrev_u32_e32 v13, s39, v10
	v_mul_lo_u32 v10, v13, s9
	s_waitcnt vmcnt(3)
	v_mul_f32_e64 v15, v19, -s59
	v_mul_f32_e32 v16, s34, v19
	v_and_b32_e32 v14, 0xff, v10
	v_fmac_f32_e32 v15, s34, v18
	v_fmac_f32_e32 v16, s59, v18
	v_mov_b32_e32 v17, v14
	s_branch .LBB212_79
.LBB212_78:                             ;   in Loop: Header=BB212_79 Depth=2
	s_or_b64 exec, exec, s[22:23]
	s_xor_b64 s[22:23], s[24:25], -1
	s_and_b64 s[22:23], exec, s[22:23]
	s_or_b64 s[20:21], s[22:23], s[20:21]
	s_andn2_b64 exec, exec, s[20:21]
	s_cbranch_execz .LBB212_89
.LBB212_79:                             ;   Parent Loop BB212_77 Depth=1
                                        ; =>  This Inner Loop Header: Depth=2
	v_lshl_add_u32 v10, v17, 2, 0
	ds_read_b32 v18, v10
                                        ; implicit-def: $sgpr24_sgpr25
	s_waitcnt lgkmcnt(0)
	v_cmp_ne_u32_e32 vcc, v18, v13
	s_and_saveexec_b64 s[22:23], vcc
	s_xor_b64 s[22:23], exec, s[22:23]
	s_cbranch_execz .LBB212_87
; %bb.80:                               ;   in Loop: Header=BB212_79 Depth=2
	v_cmp_ne_u32_e32 vcc, s58, v18
                                        ; implicit-def: $sgpr24_sgpr25
	s_and_saveexec_b64 s[26:27], vcc
	s_xor_b64 s[26:27], exec, s[26:27]
; %bb.81:                               ;   in Loop: Header=BB212_79 Depth=2
	v_add_u32_e32 v10, 1, v17
	v_and_b32_e32 v17, 0xff, v10
	s_mov_b64 s[24:25], -1
                                        ; implicit-def: $vgpr10
; %bb.82:                               ;   in Loop: Header=BB212_79 Depth=2
	s_andn2_saveexec_b64 s[26:27], s[26:27]
	s_cbranch_execz .LBB212_86
; %bb.83:                               ;   in Loop: Header=BB212_79 Depth=2
	v_mov_b32_e32 v18, s58
	ds_cmpst_rtn_b32 v18, v10, v18, v13
	s_mov_b64 s[30:31], -1
	s_waitcnt lgkmcnt(0)
	v_cmp_eq_u32_e32 vcc, s58, v18
	s_and_saveexec_b64 s[28:29], vcc
	s_cbranch_execz .LBB212_85
; %bb.84:                               ;   in Loop: Header=BB212_79 Depth=2
	v_mad_u64_u32 v[18:19], s[30:31], v17, 28, v[10:11]
	ds_add_f32 v18, v15 offset:1024
	ds_add_f32 v18, v16 offset:1028
	s_xor_b64 s[30:31], exec, -1
.LBB212_85:                             ;   in Loop: Header=BB212_79 Depth=2
	s_or_b64 exec, exec, s[28:29]
	s_andn2_b64 s[24:25], s[24:25], exec
	s_and_b64 s[28:29], s[30:31], exec
	s_or_b64 s[24:25], s[24:25], s[28:29]
.LBB212_86:                             ;   in Loop: Header=BB212_79 Depth=2
	s_or_b64 exec, exec, s[26:27]
	s_and_b64 s[24:25], s[24:25], exec
                                        ; implicit-def: $vgpr10
.LBB212_87:                             ;   in Loop: Header=BB212_79 Depth=2
	s_andn2_saveexec_b64 s[22:23], s[22:23]
	s_cbranch_execz .LBB212_78
; %bb.88:                               ;   in Loop: Header=BB212_79 Depth=2
	v_mad_u64_u32 v[18:19], s[26:27], v17, 28, v[10:11]
	ds_add_f32 v18, v15 offset:1024
	ds_add_f32 v18, v16 offset:1028
	s_andn2_b64 s[24:25], s[24:25], exec
	s_branch .LBB212_78
.LBB212_89:                             ;   in Loop: Header=BB212_77 Depth=1
	s_or_b64 exec, exec, s[20:21]
	s_waitcnt vmcnt(1)
	v_mul_f32_e64 v10, v9, -s59
	v_mul_f32_e32 v9, s34, v9
	v_fmac_f32_e32 v10, s34, v8
	v_fmac_f32_e32 v9, s59, v8
	s_mov_b64 s[20:21], 0
	v_mov_b32_e32 v15, v14
	s_branch .LBB212_91
.LBB212_90:                             ;   in Loop: Header=BB212_91 Depth=2
	s_or_b64 exec, exec, s[22:23]
	s_xor_b64 s[22:23], s[24:25], -1
	s_and_b64 s[22:23], exec, s[22:23]
	s_or_b64 s[20:21], s[22:23], s[20:21]
	s_andn2_b64 exec, exec, s[20:21]
	s_cbranch_execz .LBB212_101
.LBB212_91:                             ;   Parent Loop BB212_77 Depth=1
                                        ; =>  This Inner Loop Header: Depth=2
	v_lshl_add_u32 v8, v15, 2, 0
	ds_read_b32 v16, v8
                                        ; implicit-def: $sgpr24_sgpr25
	s_waitcnt lgkmcnt(0)
	v_cmp_ne_u32_e32 vcc, v16, v13
	s_and_saveexec_b64 s[22:23], vcc
	s_xor_b64 s[22:23], exec, s[22:23]
	s_cbranch_execz .LBB212_99
; %bb.92:                               ;   in Loop: Header=BB212_91 Depth=2
	v_cmp_ne_u32_e32 vcc, s58, v16
                                        ; implicit-def: $sgpr24_sgpr25
	s_and_saveexec_b64 s[26:27], vcc
	s_xor_b64 s[26:27], exec, s[26:27]
; %bb.93:                               ;   in Loop: Header=BB212_91 Depth=2
	v_add_u32_e32 v8, 1, v15
	v_and_b32_e32 v15, 0xff, v8
	s_mov_b64 s[24:25], -1
                                        ; implicit-def: $vgpr8
; %bb.94:                               ;   in Loop: Header=BB212_91 Depth=2
	s_andn2_saveexec_b64 s[26:27], s[26:27]
	s_cbranch_execz .LBB212_98
; %bb.95:                               ;   in Loop: Header=BB212_91 Depth=2
	v_mov_b32_e32 v16, s58
	ds_cmpst_rtn_b32 v16, v8, v16, v13
	s_mov_b64 s[30:31], -1
	s_waitcnt lgkmcnt(0)
	v_cmp_eq_u32_e32 vcc, s58, v16
	s_and_saveexec_b64 s[28:29], vcc
	s_cbranch_execz .LBB212_97
; %bb.96:                               ;   in Loop: Header=BB212_91 Depth=2
	v_mad_u64_u32 v[16:17], s[30:31], v15, 28, v[8:9]
	ds_add_f32 v16, v10 offset:1032
	ds_add_f32 v16, v9 offset:1036
	s_xor_b64 s[30:31], exec, -1
.LBB212_97:                             ;   in Loop: Header=BB212_91 Depth=2
	s_or_b64 exec, exec, s[28:29]
	s_andn2_b64 s[24:25], s[24:25], exec
	s_and_b64 s[28:29], s[30:31], exec
	s_or_b64 s[24:25], s[24:25], s[28:29]
.LBB212_98:                             ;   in Loop: Header=BB212_91 Depth=2
	s_or_b64 exec, exec, s[26:27]
	s_and_b64 s[24:25], s[24:25], exec
                                        ; implicit-def: $vgpr8
.LBB212_99:                             ;   in Loop: Header=BB212_91 Depth=2
	s_andn2_saveexec_b64 s[22:23], s[22:23]
	s_cbranch_execz .LBB212_90
; %bb.100:                              ;   in Loop: Header=BB212_91 Depth=2
	v_mad_u64_u32 v[16:17], s[26:27], v15, 28, v[8:9]
	ds_add_f32 v16, v10 offset:1032
	ds_add_f32 v16, v9 offset:1036
	s_andn2_b64 s[24:25], s[24:25], exec
	s_branch .LBB212_90
.LBB212_101:                            ;   in Loop: Header=BB212_77 Depth=1
	s_or_b64 exec, exec, s[20:21]
	s_waitcnt vmcnt(0)
	v_mul_f32_e64 v8, v7, -s59
	v_mul_f32_e32 v7, s34, v7
	v_fmac_f32_e32 v8, s34, v6
	v_fmac_f32_e32 v7, s59, v6
	s_mov_b64 s[20:21], 0
	v_mov_b32_e32 v9, v14
	s_branch .LBB212_103
.LBB212_102:                            ;   in Loop: Header=BB212_103 Depth=2
	s_or_b64 exec, exec, s[22:23]
	s_xor_b64 s[22:23], s[24:25], -1
	s_and_b64 s[22:23], exec, s[22:23]
	s_or_b64 s[20:21], s[22:23], s[20:21]
	s_andn2_b64 exec, exec, s[20:21]
	s_cbranch_execz .LBB212_113
.LBB212_103:                            ;   Parent Loop BB212_77 Depth=1
                                        ; =>  This Inner Loop Header: Depth=2
	v_lshl_add_u32 v6, v9, 2, 0
	ds_read_b32 v10, v6
                                        ; implicit-def: $sgpr24_sgpr25
	s_waitcnt lgkmcnt(0)
	v_cmp_ne_u32_e32 vcc, v10, v13
	s_and_saveexec_b64 s[22:23], vcc
	s_xor_b64 s[22:23], exec, s[22:23]
	s_cbranch_execz .LBB212_111
; %bb.104:                              ;   in Loop: Header=BB212_103 Depth=2
	v_cmp_ne_u32_e32 vcc, s58, v10
                                        ; implicit-def: $sgpr24_sgpr25
	s_and_saveexec_b64 s[26:27], vcc
	s_xor_b64 s[26:27], exec, s[26:27]
; %bb.105:                              ;   in Loop: Header=BB212_103 Depth=2
	v_add_u32_e32 v6, 1, v9
	v_and_b32_e32 v9, 0xff, v6
	s_mov_b64 s[24:25], -1
                                        ; implicit-def: $vgpr6
; %bb.106:                              ;   in Loop: Header=BB212_103 Depth=2
	s_andn2_saveexec_b64 s[26:27], s[26:27]
	s_cbranch_execz .LBB212_110
; %bb.107:                              ;   in Loop: Header=BB212_103 Depth=2
	v_mov_b32_e32 v10, s58
	ds_cmpst_rtn_b32 v10, v6, v10, v13
	s_mov_b64 s[30:31], -1
	s_waitcnt lgkmcnt(0)
	v_cmp_eq_u32_e32 vcc, s58, v10
	s_and_saveexec_b64 s[28:29], vcc
	s_cbranch_execz .LBB212_109
; %bb.108:                              ;   in Loop: Header=BB212_103 Depth=2
	v_mad_u64_u32 v[16:17], s[30:31], v9, 28, v[6:7]
	ds_add_f32 v16, v8 offset:1040
	ds_add_f32 v16, v7 offset:1044
	s_xor_b64 s[30:31], exec, -1
.LBB212_109:                            ;   in Loop: Header=BB212_103 Depth=2
	s_or_b64 exec, exec, s[28:29]
	s_andn2_b64 s[24:25], s[24:25], exec
	s_and_b64 s[28:29], s[30:31], exec
	s_or_b64 s[24:25], s[24:25], s[28:29]
.LBB212_110:                            ;   in Loop: Header=BB212_103 Depth=2
	s_or_b64 exec, exec, s[26:27]
	s_and_b64 s[24:25], s[24:25], exec
                                        ; implicit-def: $vgpr6
.LBB212_111:                            ;   in Loop: Header=BB212_103 Depth=2
	s_andn2_saveexec_b64 s[22:23], s[22:23]
	s_cbranch_execz .LBB212_102
; %bb.112:                              ;   in Loop: Header=BB212_103 Depth=2
	v_mad_u64_u32 v[16:17], s[26:27], v9, 28, v[6:7]
	ds_add_f32 v16, v8 offset:1040
	ds_add_f32 v16, v7 offset:1044
	s_andn2_b64 s[24:25], s[24:25], exec
	s_branch .LBB212_102
.LBB212_113:                            ;   in Loop: Header=BB212_77 Depth=1
	s_or_b64 exec, exec, s[20:21]
	v_mul_f32_e64 v6, v5, -s59
	v_mul_f32_e32 v5, s34, v5
	v_fmac_f32_e32 v6, s34, v4
	v_fmac_f32_e32 v5, s59, v4
	s_mov_b64 s[20:21], 0
	s_branch .LBB212_115
.LBB212_114:                            ;   in Loop: Header=BB212_115 Depth=2
	s_or_b64 exec, exec, s[22:23]
	s_xor_b64 s[22:23], s[24:25], -1
	s_and_b64 s[22:23], exec, s[22:23]
	s_or_b64 s[20:21], s[22:23], s[20:21]
	s_andn2_b64 exec, exec, s[20:21]
	s_cbranch_execz .LBB212_76
.LBB212_115:                            ;   Parent Loop BB212_77 Depth=1
                                        ; =>  This Inner Loop Header: Depth=2
	v_lshl_add_u32 v4, v14, 2, 0
	ds_read_b32 v7, v4
                                        ; implicit-def: $sgpr24_sgpr25
	s_waitcnt lgkmcnt(0)
	v_cmp_ne_u32_e32 vcc, v7, v13
	s_and_saveexec_b64 s[22:23], vcc
	s_xor_b64 s[22:23], exec, s[22:23]
	s_cbranch_execz .LBB212_123
; %bb.116:                              ;   in Loop: Header=BB212_115 Depth=2
	v_cmp_ne_u32_e32 vcc, s58, v7
                                        ; implicit-def: $sgpr24_sgpr25
	s_and_saveexec_b64 s[26:27], vcc
	s_xor_b64 s[26:27], exec, s[26:27]
; %bb.117:                              ;   in Loop: Header=BB212_115 Depth=2
	v_add_u32_e32 v4, 1, v14
	v_and_b32_e32 v14, 0xff, v4
	s_mov_b64 s[24:25], -1
                                        ; implicit-def: $vgpr4
; %bb.118:                              ;   in Loop: Header=BB212_115 Depth=2
	s_andn2_saveexec_b64 s[26:27], s[26:27]
	s_cbranch_execz .LBB212_122
; %bb.119:                              ;   in Loop: Header=BB212_115 Depth=2
	v_mov_b32_e32 v7, s58
	ds_cmpst_rtn_b32 v7, v4, v7, v13
	s_mov_b64 s[30:31], -1
	s_waitcnt lgkmcnt(0)
	v_cmp_eq_u32_e32 vcc, s58, v7
	s_and_saveexec_b64 s[28:29], vcc
	s_cbranch_execz .LBB212_121
; %bb.120:                              ;   in Loop: Header=BB212_115 Depth=2
	v_mad_u64_u32 v[8:9], s[30:31], v14, 28, v[4:5]
	ds_add_f32 v8, v6 offset:1048
	ds_add_f32 v8, v5 offset:1052
	s_xor_b64 s[30:31], exec, -1
.LBB212_121:                            ;   in Loop: Header=BB212_115 Depth=2
	s_or_b64 exec, exec, s[28:29]
	s_andn2_b64 s[24:25], s[24:25], exec
	s_and_b64 s[28:29], s[30:31], exec
	s_or_b64 s[24:25], s[24:25], s[28:29]
.LBB212_122:                            ;   in Loop: Header=BB212_115 Depth=2
	s_or_b64 exec, exec, s[26:27]
	s_and_b64 s[24:25], s[24:25], exec
                                        ; implicit-def: $vgpr4
.LBB212_123:                            ;   in Loop: Header=BB212_115 Depth=2
	s_andn2_saveexec_b64 s[22:23], s[22:23]
	s_cbranch_execz .LBB212_114
; %bb.124:                              ;   in Loop: Header=BB212_115 Depth=2
	v_mad_u64_u32 v[8:9], s[26:27], v14, 28, v[4:5]
	ds_add_f32 v8, v6 offset:1048
	ds_add_f32 v8, v5 offset:1052
	s_andn2_b64 s[24:25], s[24:25], exec
	s_branch .LBB212_114
.LBB212_125:
	s_or_b64 exec, exec, s[16:17]
.LBB212_126:
	s_waitcnt lgkmcnt(0)
	s_barrier
	s_and_saveexec_b64 s[4:5], s[0:1]
	s_cbranch_execz .LBB212_131
; %bb.127:
	ds_read_b32 v1, v1
	s_mov_b32 s0, 0
	s_waitcnt lgkmcnt(0)
	v_cmp_gt_i32_e32 vcc, s58, v1
	s_and_b64 exec, exec, vcc
	s_cbranch_execz .LBB212_131
; %bb.128:
	s_lshl_b64 s[4:5], s[6:7], 3
	s_add_u32 s4, s12, s4
	s_addc_u32 s5, s13, s5
	s_load_dwordx2 s[4:5], s[4:5], 0x0
	s_waitcnt lgkmcnt(0)
	s_sub_u32 s4, s4, s38
	s_subb_u32 s5, s5, 0
	v_pk_mov_b32 v[2:3], s[4:5], s[4:5] op_sel:[0,1]
.LBB212_129:                            ; =>This Inner Loop Header: Depth=1
	s_add_i32 s1, s0, 0
	v_mov_b32_e32 v18, s1
	ds_read2_b32 v[4:5], v18 offset1:1
	ds_read2_b32 v[6:7], v18 offset0:2 offset1:3
	ds_read2_b32 v[8:9], v18 offset0:4 offset1:5
	ds_read2_b32 v[10:11], v18 offset0:6 offset1:7
	ds_read2_b32 v[12:13], v18 offset0:8 offset1:9
	ds_read2_b32 v[14:15], v18 offset0:10 offset1:11
	ds_read2_b32 v[16:17], v18 offset0:12 offset1:13
	ds_read2_b32 v[18:19], v18 offset0:14 offset1:15
	s_waitcnt lgkmcnt(7)
	v_cmp_gt_i32_e32 vcc, v1, v4
	v_cndmask_b32_e64 v4, 0, 1, vcc
	v_cmp_gt_i32_e32 vcc, v1, v5
	v_cndmask_b32_e64 v5, 0, 1, vcc
	s_waitcnt lgkmcnt(6)
	v_cmp_gt_i32_e32 vcc, v1, v6
	v_cndmask_b32_e64 v6, 0, 1, vcc
	v_cmp_gt_i32_e32 vcc, v1, v7
	v_cndmask_b32_e64 v7, 0, 1, vcc
	;; [unrolled: 5-line block ×8, first 2 shown]
	v_add_co_u32_e32 v2, vcc, v2, v4
	v_addc_co_u32_e32 v3, vcc, 0, v3, vcc
	v_add_co_u32_e32 v2, vcc, v2, v5
	v_addc_co_u32_e32 v3, vcc, 0, v3, vcc
	;; [unrolled: 2-line block ×15, first 2 shown]
	s_add_i32 s0, s0, 64
	v_add_co_u32_e32 v2, vcc, v2, v19
	s_cmpk_lg_i32 s0, 0x400
	v_addc_co_u32_e32 v3, vcc, 0, v3, vcc
	s_cbranch_scc1 .LBB212_129
; %bb.130:
	v_lshlrev_b64 v[4:5], 2, v[2:3]
	v_mov_b32_e32 v6, s15
	v_add_co_u32_e32 v4, vcc, s14, v4
	s_add_i32 s0, 0, 0x400
	v_add_u32_e32 v1, s38, v1
	v_addc_co_u32_e32 v5, vcc, v6, v5, vcc
	s_cmp_eq_u32 s33, 0
	global_store_dword v[4:5], v1, off
	v_lshlrev_b32_e32 v5, 5, v0
	v_lshlrev_b32_e32 v4, 2, v0
	v_add_u32_e32 v6, s0, v5
	s_cselect_b32 s0, 1, 2
	s_cselect_b32 s1, 2, 1
	v_lshlrev_b64 v[8:9], 5, v[2:3]
	v_or_b32_e32 v2, s0, v4
	v_or_b32_e32 v3, s1, v4
	v_add_u32_e32 v0, 0, v5
	v_lshl_add_u32 v2, v2, 3, 0
	v_lshl_add_u32 v3, v3, 3, 0
	v_add_u32_e32 v0, 0x400, v0
	v_add_u32_e32 v2, 0x400, v2
	v_add_u32_e32 v3, 0x400, v3
	ds_read2_b32 v[0:1], v0 offset1:1
	ds_read2_b32 v[4:5], v3 offset1:1
	;; [unrolled: 1-line block ×3, first 2 shown]
	ds_read2_b32 v[6:7], v6 offset0:6 offset1:7
	v_mov_b32_e32 v10, s3
	v_add_co_u32_e32 v8, vcc, s2, v8
	v_addc_co_u32_e32 v9, vcc, v10, v9, vcc
	s_waitcnt lgkmcnt(1)
	global_store_dwordx4 v[8:9], v[0:3], off
	s_waitcnt lgkmcnt(0)
	global_store_dwordx4 v[8:9], v[4:7], off offset:16
.LBB212_131:
	s_endpgm
	.section	.rodata,"a",@progbits
	.p2align	6, 0x0
	.amdhsa_kernel _ZN9rocsparseL30bsrgemm_fill_block_per_row_2x2ILj256ELj16ELj256ELj137Eli21rocsparse_complex_numIfEEEv20rocsparse_direction_T4_S4_PKS4_S6_NS_24const_host_device_scalarIT5_EEPKT3_S6_PKS8_SC_S6_SE_S9_SC_S6_SE_SC_PS4_PS8_21rocsparse_index_base_SH_SH_SH_bbb
		.amdhsa_group_segment_fixed_size 0
		.amdhsa_private_segment_fixed_size 0
		.amdhsa_kernarg_size 164
		.amdhsa_user_sgpr_count 6
		.amdhsa_user_sgpr_private_segment_buffer 1
		.amdhsa_user_sgpr_dispatch_ptr 0
		.amdhsa_user_sgpr_queue_ptr 0
		.amdhsa_user_sgpr_kernarg_segment_ptr 1
		.amdhsa_user_sgpr_dispatch_id 0
		.amdhsa_user_sgpr_flat_scratch_init 0
		.amdhsa_user_sgpr_kernarg_preload_length 0
		.amdhsa_user_sgpr_kernarg_preload_offset 0
		.amdhsa_user_sgpr_private_segment_size 0
		.amdhsa_uses_dynamic_stack 0
		.amdhsa_system_sgpr_private_segment_wavefront_offset 0
		.amdhsa_system_sgpr_workgroup_id_x 1
		.amdhsa_system_sgpr_workgroup_id_y 0
		.amdhsa_system_sgpr_workgroup_id_z 0
		.amdhsa_system_sgpr_workgroup_info 0
		.amdhsa_system_vgpr_workitem_id 0
		.amdhsa_next_free_vgpr 38
		.amdhsa_next_free_sgpr 64
		.amdhsa_accum_offset 40
		.amdhsa_reserve_vcc 1
		.amdhsa_reserve_flat_scratch 0
		.amdhsa_float_round_mode_32 0
		.amdhsa_float_round_mode_16_64 0
		.amdhsa_float_denorm_mode_32 3
		.amdhsa_float_denorm_mode_16_64 3
		.amdhsa_dx10_clamp 1
		.amdhsa_ieee_mode 1
		.amdhsa_fp16_overflow 0
		.amdhsa_tg_split 0
		.amdhsa_exception_fp_ieee_invalid_op 0
		.amdhsa_exception_fp_denorm_src 0
		.amdhsa_exception_fp_ieee_div_zero 0
		.amdhsa_exception_fp_ieee_overflow 0
		.amdhsa_exception_fp_ieee_underflow 0
		.amdhsa_exception_fp_ieee_inexact 0
		.amdhsa_exception_int_div_zero 0
	.end_amdhsa_kernel
	.section	.text._ZN9rocsparseL30bsrgemm_fill_block_per_row_2x2ILj256ELj16ELj256ELj137Eli21rocsparse_complex_numIfEEEv20rocsparse_direction_T4_S4_PKS4_S6_NS_24const_host_device_scalarIT5_EEPKT3_S6_PKS8_SC_S6_SE_S9_SC_S6_SE_SC_PS4_PS8_21rocsparse_index_base_SH_SH_SH_bbb,"axG",@progbits,_ZN9rocsparseL30bsrgemm_fill_block_per_row_2x2ILj256ELj16ELj256ELj137Eli21rocsparse_complex_numIfEEEv20rocsparse_direction_T4_S4_PKS4_S6_NS_24const_host_device_scalarIT5_EEPKT3_S6_PKS8_SC_S6_SE_S9_SC_S6_SE_SC_PS4_PS8_21rocsparse_index_base_SH_SH_SH_bbb,comdat
.Lfunc_end212:
	.size	_ZN9rocsparseL30bsrgemm_fill_block_per_row_2x2ILj256ELj16ELj256ELj137Eli21rocsparse_complex_numIfEEEv20rocsparse_direction_T4_S4_PKS4_S6_NS_24const_host_device_scalarIT5_EEPKT3_S6_PKS8_SC_S6_SE_S9_SC_S6_SE_SC_PS4_PS8_21rocsparse_index_base_SH_SH_SH_bbb, .Lfunc_end212-_ZN9rocsparseL30bsrgemm_fill_block_per_row_2x2ILj256ELj16ELj256ELj137Eli21rocsparse_complex_numIfEEEv20rocsparse_direction_T4_S4_PKS4_S6_NS_24const_host_device_scalarIT5_EEPKT3_S6_PKS8_SC_S6_SE_S9_SC_S6_SE_SC_PS4_PS8_21rocsparse_index_base_SH_SH_SH_bbb
                                        ; -- End function
	.section	.AMDGPU.csdata,"",@progbits
; Kernel info:
; codeLenInByte = 4252
; NumSgprs: 68
; NumVgprs: 38
; NumAgprs: 0
; TotalNumVgprs: 38
; ScratchSize: 0
; MemoryBound: 0
; FloatMode: 240
; IeeeMode: 1
; LDSByteSize: 0 bytes/workgroup (compile time only)
; SGPRBlocks: 8
; VGPRBlocks: 4
; NumSGPRsForWavesPerEU: 68
; NumVGPRsForWavesPerEU: 38
; AccumOffset: 40
; Occupancy: 8
; WaveLimiterHint : 1
; COMPUTE_PGM_RSRC2:SCRATCH_EN: 0
; COMPUTE_PGM_RSRC2:USER_SGPR: 6
; COMPUTE_PGM_RSRC2:TRAP_HANDLER: 0
; COMPUTE_PGM_RSRC2:TGID_X_EN: 1
; COMPUTE_PGM_RSRC2:TGID_Y_EN: 0
; COMPUTE_PGM_RSRC2:TGID_Z_EN: 0
; COMPUTE_PGM_RSRC2:TIDIG_COMP_CNT: 0
; COMPUTE_PGM_RSRC3_GFX90A:ACCUM_OFFSET: 9
; COMPUTE_PGM_RSRC3_GFX90A:TG_SPLIT: 0
	.section	.text._ZN9rocsparseL30bsrgemm_fill_block_per_row_2x2ILj256ELj16ELj512ELj137Eli21rocsparse_complex_numIfEEEv20rocsparse_direction_T4_S4_PKS4_S6_NS_24const_host_device_scalarIT5_EEPKT3_S6_PKS8_SC_S6_SE_S9_SC_S6_SE_SC_PS4_PS8_21rocsparse_index_base_SH_SH_SH_bbb,"axG",@progbits,_ZN9rocsparseL30bsrgemm_fill_block_per_row_2x2ILj256ELj16ELj512ELj137Eli21rocsparse_complex_numIfEEEv20rocsparse_direction_T4_S4_PKS4_S6_NS_24const_host_device_scalarIT5_EEPKT3_S6_PKS8_SC_S6_SE_S9_SC_S6_SE_SC_PS4_PS8_21rocsparse_index_base_SH_SH_SH_bbb,comdat
	.globl	_ZN9rocsparseL30bsrgemm_fill_block_per_row_2x2ILj256ELj16ELj512ELj137Eli21rocsparse_complex_numIfEEEv20rocsparse_direction_T4_S4_PKS4_S6_NS_24const_host_device_scalarIT5_EEPKT3_S6_PKS8_SC_S6_SE_S9_SC_S6_SE_SC_PS4_PS8_21rocsparse_index_base_SH_SH_SH_bbb ; -- Begin function _ZN9rocsparseL30bsrgemm_fill_block_per_row_2x2ILj256ELj16ELj512ELj137Eli21rocsparse_complex_numIfEEEv20rocsparse_direction_T4_S4_PKS4_S6_NS_24const_host_device_scalarIT5_EEPKT3_S6_PKS8_SC_S6_SE_S9_SC_S6_SE_SC_PS4_PS8_21rocsparse_index_base_SH_SH_SH_bbb
	.p2align	8
	.type	_ZN9rocsparseL30bsrgemm_fill_block_per_row_2x2ILj256ELj16ELj512ELj137Eli21rocsparse_complex_numIfEEEv20rocsparse_direction_T4_S4_PKS4_S6_NS_24const_host_device_scalarIT5_EEPKT3_S6_PKS8_SC_S6_SE_S9_SC_S6_SE_SC_PS4_PS8_21rocsparse_index_base_SH_SH_SH_bbb,@function
_ZN9rocsparseL30bsrgemm_fill_block_per_row_2x2ILj256ELj16ELj512ELj137Eli21rocsparse_complex_numIfEEEv20rocsparse_direction_T4_S4_PKS4_S6_NS_24const_host_device_scalarIT5_EEPKT3_S6_PKS8_SC_S6_SE_S9_SC_S6_SE_SC_PS4_PS8_21rocsparse_index_base_SH_SH_SH_bbb: ; @_ZN9rocsparseL30bsrgemm_fill_block_per_row_2x2ILj256ELj16ELj512ELj137Eli21rocsparse_complex_numIfEEEv20rocsparse_direction_T4_S4_PKS4_S6_NS_24const_host_device_scalarIT5_EEPKT3_S6_PKS8_SC_S6_SE_S9_SC_S6_SE_SC_PS4_PS8_21rocsparse_index_base_SH_SH_SH_bbb
; %bb.0:
	s_load_dwordx8 s[8:15], s[4:5], 0x68
	s_load_dwordx8 s[16:23], s[4:5], 0x48
	s_load_dword s7, s[4:5], 0xa0
	s_load_dwordx4 s[40:43], s[4:5], 0x10
	s_load_dwordx8 s[24:31], s[4:5], 0x28
	s_load_dwordx2 s[2:3], s[4:5], 0x88
	s_load_dwordx4 s[36:39], s[4:5], 0x90
	s_waitcnt lgkmcnt(0)
	s_bitcmp1_b32 s7, 0
	s_cselect_b64 s[46:47], -1, 0
	s_bitcmp1_b32 s7, 16
	s_cselect_b64 s[0:1], -1, 0
	s_xor_b64 s[0:1], s[0:1], -1
	v_cndmask_b32_e64 v1, 0, 1, s[0:1]
	s_mov_b32 s35, 0
	s_bitcmp0_b32 s7, 0
	v_cmp_ne_u32_e64 s[0:1], 1, v1
	s_mov_b32 s60, 0
	s_cbranch_scc1 .LBB213_5
; %bb.1:
	s_load_dwordx2 s[34:35], s[4:5], 0x20
	s_and_b64 vcc, exec, s[0:1]
	s_waitcnt lgkmcnt(0)
	s_mov_b32 s60, s34
	s_cbranch_vccnz .LBB213_3
; %bb.2:
	s_load_dword s60, s[34:35], 0x0
.LBB213_3:
	s_and_b64 vcc, exec, s[0:1]
	s_cbranch_vccnz .LBB213_5
; %bb.4:
	s_load_dword s35, s[34:35], 0x4
.LBB213_5:
	s_bitcmp1_b32 s7, 8
	s_cselect_b64 s[44:45], -1, 0
	s_bfe_u32 s7, s7, 0x10008
	s_mov_b32 s58, 0
	s_cmp_eq_u32 s7, 0
	s_mov_b32 s34, 0
	s_cbranch_scc1 .LBB213_11
; %bb.6:
	s_and_b64 vcc, exec, s[0:1]
	s_mov_b32 s34, s20
	s_cbranch_vccnz .LBB213_8
; %bb.7:
	s_load_dword s34, s[20:21], 0x0
.LBB213_8:
	s_and_b64 vcc, exec, s[0:1]
	s_cbranch_vccnz .LBB213_10
; %bb.9:
	s_load_dword s21, s[20:21], 0x4
.LBB213_10:
	s_waitcnt lgkmcnt(0)
	s_mov_b32 s58, s21
.LBB213_11:
	s_load_dword s33, s[4:5], 0x8
	s_movk_i32 s0, 0x200
	v_cmp_gt_u32_e64 s[0:1], s0, v0
	s_and_saveexec_b64 s[20:21], s[0:1]
	s_cbranch_execz .LBB213_18
; %bb.12:
	s_mov_b32 s7, 0
	v_lshl_add_u32 v1, v0, 2, 0
	s_mov_b64 s[48:49], 0
	s_branch .LBB213_14
.LBB213_13:                             ;   in Loop: Header=BB213_14 Depth=1
	s_or_b64 exec, exec, s[52:53]
	s_add_i32 s7, s7, 2
	v_cmp_eq_u32_e64 s[50:51], 2, s7
	s_or_b64 s[48:49], s[50:51], s[48:49]
	v_add_u32_e32 v1, 0x800, v1
	s_andn2_b64 exec, exec, s[48:49]
	s_cbranch_execz .LBB213_18
.LBB213_14:                             ; =>This Inner Loop Header: Depth=1
	s_or_b32 s50, s7, 1
	v_cmp_le_u32_e64 s[50:51], s50, 1
	v_cmp_le_u32_e64 s[54:55], s7, 1
	s_and_saveexec_b64 s[52:53], s[54:55]
	s_cbranch_execz .LBB213_16
; %bb.15:                               ;   in Loop: Header=BB213_14 Depth=1
	s_waitcnt lgkmcnt(0)
	v_mov_b32_e32 v2, s33
	ds_write_b32 v1, v2
.LBB213_16:                             ;   in Loop: Header=BB213_14 Depth=1
	s_or_b64 exec, exec, s[52:53]
	s_and_saveexec_b64 s[52:53], s[50:51]
	s_cbranch_execz .LBB213_13
; %bb.17:                               ;   in Loop: Header=BB213_14 Depth=1
	s_waitcnt lgkmcnt(0)
	v_mov_b32_e32 v2, s33
	ds_write_b32 v1, v2 offset:1024
	s_branch .LBB213_13
.LBB213_18:
	s_or_b64 exec, exec, s[20:21]
	v_lshl_add_u32 v1, v0, 3, 0
	v_add_u32_e32 v1, 0x800, v1
	v_or_b32_e32 v2, 0xffffff00, v0
	s_mov_b64 s[20:21], 0
	v_mov_b32_e32 v3, 0
	s_movk_i32 s7, 0x6ff
.LBB213_19:                             ; =>This Inner Loop Header: Depth=1
	v_add_u32_e32 v2, 0x100, v2
	v_cmp_lt_u32_e32 vcc, s7, v2
	ds_write2_b32 v1, v3, v3 offset1:1
	s_or_b64 s[20:21], vcc, s[20:21]
	v_add_u32_e32 v1, 0x800, v1
	s_andn2_b64 exec, exec, s[20:21]
	s_cbranch_execnz .LBB213_19
; %bb.20:
	s_or_b64 exec, exec, s[20:21]
	s_cmp_lg_u64 s[42:43], 0
	s_waitcnt lgkmcnt(0)
	s_barrier
	s_cbranch_scc0 .LBB213_22
; %bb.21:
	s_load_dword s7, s[40:41], 0x0
	s_waitcnt lgkmcnt(0)
	s_add_i32 s6, s7, s6
	s_mov_b32 s7, 0
	s_lshl_b64 s[6:7], s[6:7], 2
	s_add_u32 s6, s42, s6
	s_addc_u32 s7, s43, s7
	s_load_dword s6, s[6:7], 0x0
.LBB213_22:
	s_nop 0
	s_load_dword s59, s[4:5], 0x0
	s_andn2_b64 vcc, exec, s[46:47]
	s_waitcnt lgkmcnt(0)
	s_ashr_i32 s7, s6, 31
	s_cbranch_vccnz .LBB213_78
; %bb.23:
	s_lshl_b64 s[4:5], s[6:7], 3
	s_add_u32 s4, s24, s4
	s_addc_u32 s5, s25, s5
	s_load_dwordx4 s[48:51], s[4:5], 0x0
	v_lshrrev_b32_e32 v1, 4, v0
	v_subrev_co_u32_e32 v1, vcc, s36, v1
	v_subb_co_u32_e64 v3, s[20:21], 0, 0, vcc
	s_waitcnt lgkmcnt(0)
	s_sub_u32 s4, s50, s36
	v_mov_b32_e32 v4, s49
	v_add_co_u32_e32 v2, vcc, s48, v1
	s_subb_u32 s5, s51, 0
	v_addc_co_u32_e32 v3, vcc, v4, v3, vcc
	s_mov_b32 s40, 0
	v_cmp_gt_i64_e32 vcc, s[4:5], v[2:3]
	s_and_saveexec_b64 s[20:21], vcc
	s_cbranch_execz .LBB213_77
; %bb.24:
	v_and_b32_e32 v1, 15, v0
	v_subrev_co_u32_e32 v1, vcc, s37, v1
	s_cmp_eq_u32 s59, 0
	v_subb_co_u32_e64 v17, s[24:25], 0, 0, vcc
	s_mov_b32 s61, s37
	s_cselect_b32 s62, 2, 1
	s_cselect_b32 s63, 1, 2
	s_mov_b64 s[24:25], 0
	v_mov_b32_e32 v18, s27
	v_mov_b32_e32 v19, s31
	v_mov_b32_e32 v20, s40
	s_movk_i32 s27, 0x89
	s_branch .LBB213_26
.LBB213_25:                             ;   in Loop: Header=BB213_26 Depth=1
	s_or_b64 exec, exec, s[40:41]
	v_add_co_u32_e32 v2, vcc, 16, v2
	v_addc_co_u32_e32 v3, vcc, 0, v3, vcc
	v_cmp_le_i64_e32 vcc, s[4:5], v[2:3]
	s_or_b64 s[24:25], vcc, s[24:25]
	s_andn2_b64 exec, exec, s[24:25]
	s_cbranch_execz .LBB213_77
.LBB213_26:                             ; =>This Loop Header: Depth=1
                                        ;     Child Loop BB213_29 Depth 2
                                        ;       Child Loop BB213_31 Depth 3
                                        ;       Child Loop BB213_43 Depth 3
	;; [unrolled: 1-line block ×4, first 2 shown]
	v_lshlrev_b64 v[8:9], 2, v[2:3]
	v_add_co_u32_e32 v4, vcc, s26, v8
	v_addc_co_u32_e32 v5, vcc, v18, v9, vcc
	global_load_dword v4, v[4:5], off
	s_waitcnt vmcnt(0)
	v_subrev_u32_e32 v4, s36, v4
	v_ashrrev_i32_e32 v5, 31, v4
	v_lshlrev_b64 v[4:5], 3, v[4:5]
	v_add_co_u32_e32 v4, vcc, s30, v4
	v_addc_co_u32_e32 v5, vcc, v19, v5, vcc
	global_load_dwordx4 v[10:13], v[4:5], off
	s_waitcnt vmcnt(0)
	v_subrev_co_u32_e32 v4, vcc, s61, v12
	v_subb_co_u32_e32 v5, vcc, v13, v20, vcc
	v_add_co_u32_e32 v6, vcc, v10, v1
	v_addc_co_u32_e32 v7, vcc, v11, v17, vcc
	v_cmp_lt_i64_e32 vcc, v[6:7], v[4:5]
	s_and_saveexec_b64 s[40:41], vcc
	s_cbranch_execz .LBB213_25
; %bb.27:                               ;   in Loop: Header=BB213_26 Depth=1
	v_lshlrev_b64 v[10:11], 5, v[2:3]
	v_mov_b32_e32 v16, s29
	v_add_co_u32_e32 v10, vcc, s28, v10
	v_or_b32_e32 v15, 0, v9
	v_or_b32_e32 v14, s62, v8
	v_addc_co_u32_e32 v11, vcc, v16, v11, vcc
	v_lshlrev_b64 v[14:15], 3, v[14:15]
	v_add_co_u32_e32 v14, vcc, s28, v14
	v_or_b32_e32 v9, 0, v9
	v_or_b32_e32 v8, s63, v8
	v_addc_co_u32_e32 v15, vcc, v16, v15, vcc
	v_lshlrev_b64 v[8:9], 3, v[8:9]
	v_add_co_u32_e32 v8, vcc, s28, v8
	v_addc_co_u32_e32 v9, vcc, v16, v9, vcc
	global_load_dwordx2 v[12:13], v[10:11], off
	s_nop 0
	global_load_dwordx2 v[14:15], v[14:15], off
	s_nop 0
	;; [unrolled: 2-line block ×3, first 2 shown]
	global_load_dwordx2 v[10:11], v[10:11], off offset:24
	s_mov_b64 s[42:43], 0
	s_waitcnt vmcnt(2)
	v_mul_f32_e64 v23, v15, -s35
	v_mul_f32_e64 v21, v13, -s35
	v_mul_f32_e32 v22, s60, v13
	v_mul_f32_e32 v24, s60, v15
	s_waitcnt vmcnt(0)
	v_mul_f32_e32 v25, s60, v11
	v_mul_f32_e64 v26, v11, -s35
	v_mul_f32_e32 v27, s60, v9
	v_mul_f32_e64 v28, v9, -s35
	v_fmac_f32_e32 v21, s60, v12
	v_fmac_f32_e32 v22, s35, v12
	;; [unrolled: 1-line block ×8, first 2 shown]
	s_branch .LBB213_29
.LBB213_28:                             ;   in Loop: Header=BB213_29 Depth=2
	s_or_b64 exec, exec, s[46:47]
	v_add_co_u32_e32 v6, vcc, 16, v6
	v_addc_co_u32_e32 v7, vcc, 0, v7, vcc
	v_cmp_ge_i64_e32 vcc, v[6:7], v[4:5]
	s_or_b64 s[42:43], vcc, s[42:43]
	s_andn2_b64 exec, exec, s[42:43]
	s_cbranch_execz .LBB213_25
.LBB213_29:                             ;   Parent Loop BB213_26 Depth=1
                                        ; =>  This Loop Header: Depth=2
                                        ;       Child Loop BB213_31 Depth 3
                                        ;       Child Loop BB213_43 Depth 3
	;; [unrolled: 1-line block ×4, first 2 shown]
	v_lshlrev_b64 v[8:9], 2, v[6:7]
	v_mov_b32_e32 v11, s17
	v_add_co_u32_e32 v10, vcc, s16, v8
	v_addc_co_u32_e32 v11, vcc, v11, v9, vcc
	global_load_dword v16, v[10:11], off
	v_or_b32_e32 v11, 0, v9
	v_or_b32_e32 v10, s63, v8
	;; [unrolled: 1-line block ×4, first 2 shown]
	v_lshlrev_b64 v[8:9], 3, v[8:9]
	v_mov_b32_e32 v29, s19
	v_add_co_u32_e32 v8, vcc, s18, v8
	v_lshlrev_b64 v[12:13], 5, v[6:7]
	v_addc_co_u32_e32 v9, vcc, v29, v9, vcc
	v_add_co_u32_e32 v30, vcc, s18, v12
	global_load_dwordx2 v[14:15], v[8:9], off
	v_addc_co_u32_e32 v31, vcc, v29, v13, vcc
	global_load_dwordx2 v[12:13], v[30:31], off
	v_lshlrev_b64 v[8:9], 3, v[10:11]
	v_add_co_u32_e32 v8, vcc, s18, v8
	v_addc_co_u32_e32 v9, vcc, v29, v9, vcc
	global_load_dwordx2 v[8:9], v[8:9], off
	s_nop 0
	global_load_dwordx2 v[10:11], v[30:31], off offset:24
	s_mov_b64 s[46:47], 0
	s_waitcnt vmcnt(4)
	v_subrev_u32_e32 v29, s37, v16
	v_mul_lo_u32 v16, v29, s27
	v_and_b32_e32 v30, 0x1ff, v16
	v_mov_b32_e32 v33, v30
	s_waitcnt vmcnt(3)
	v_mul_f32_e64 v32, v15, -v27
	v_mul_f32_e32 v31, v28, v15
	v_fmac_f32_e32 v32, v28, v14
	v_fmac_f32_e32 v31, v27, v14
	s_waitcnt vmcnt(2)
	v_fmac_f32_e32 v32, v21, v12
	v_fmac_f32_e32 v31, v22, v12
	v_fma_f32 v32, -v22, v13, v32
	v_fmac_f32_e32 v31, v21, v13
	s_branch .LBB213_31
.LBB213_30:                             ;   in Loop: Header=BB213_31 Depth=3
	s_or_b64 exec, exec, s[48:49]
	s_xor_b64 s[48:49], s[50:51], -1
	s_and_b64 s[48:49], exec, s[48:49]
	s_or_b64 s[46:47], s[48:49], s[46:47]
	s_andn2_b64 exec, exec, s[46:47]
	s_cbranch_execz .LBB213_41
.LBB213_31:                             ;   Parent Loop BB213_26 Depth=1
                                        ;     Parent Loop BB213_29 Depth=2
                                        ; =>    This Inner Loop Header: Depth=3
	v_lshl_add_u32 v16, v33, 2, 0
	ds_read_b32 v34, v16
                                        ; implicit-def: $sgpr50_sgpr51
	s_waitcnt lgkmcnt(0)
	v_cmp_ne_u32_e32 vcc, v34, v29
	s_and_saveexec_b64 s[48:49], vcc
	s_xor_b64 s[48:49], exec, s[48:49]
	s_cbranch_execz .LBB213_39
; %bb.32:                               ;   in Loop: Header=BB213_31 Depth=3
	v_cmp_ne_u32_e32 vcc, s33, v34
                                        ; implicit-def: $sgpr50_sgpr51
	s_and_saveexec_b64 s[52:53], vcc
	s_xor_b64 s[52:53], exec, s[52:53]
; %bb.33:                               ;   in Loop: Header=BB213_31 Depth=3
	v_add_u32_e32 v16, 1, v33
	v_and_b32_e32 v33, 0x1ff, v16
	s_mov_b64 s[50:51], -1
                                        ; implicit-def: $vgpr16
; %bb.34:                               ;   in Loop: Header=BB213_31 Depth=3
	s_andn2_saveexec_b64 s[52:53], s[52:53]
	s_cbranch_execz .LBB213_38
; %bb.35:                               ;   in Loop: Header=BB213_31 Depth=3
	v_mov_b32_e32 v34, s33
	ds_cmpst_rtn_b32 v34, v16, v34, v29
	s_mov_b64 s[56:57], -1
	s_waitcnt lgkmcnt(0)
	v_cmp_eq_u32_e32 vcc, s33, v34
	s_and_saveexec_b64 s[54:55], vcc
	s_cbranch_execz .LBB213_37
; %bb.36:                               ;   in Loop: Header=BB213_31 Depth=3
	v_mad_u64_u32 v[34:35], s[56:57], v33, 28, v[16:17]
	ds_add_f32 v34, v32 offset:2048
	ds_add_f32 v34, v31 offset:2052
	s_xor_b64 s[56:57], exec, -1
.LBB213_37:                             ;   in Loop: Header=BB213_31 Depth=3
	s_or_b64 exec, exec, s[54:55]
	s_andn2_b64 s[50:51], s[50:51], exec
	s_and_b64 s[54:55], s[56:57], exec
	s_or_b64 s[50:51], s[50:51], s[54:55]
.LBB213_38:                             ;   in Loop: Header=BB213_31 Depth=3
	s_or_b64 exec, exec, s[52:53]
	s_and_b64 s[50:51], s[50:51], exec
                                        ; implicit-def: $vgpr16
.LBB213_39:                             ;   in Loop: Header=BB213_31 Depth=3
	s_andn2_saveexec_b64 s[48:49], s[48:49]
	s_cbranch_execz .LBB213_30
; %bb.40:                               ;   in Loop: Header=BB213_31 Depth=3
	v_mad_u64_u32 v[34:35], s[52:53], v33, 28, v[16:17]
	ds_add_f32 v34, v32 offset:2048
	ds_add_f32 v34, v31 offset:2052
	s_andn2_b64 s[50:51], s[50:51], exec
	s_branch .LBB213_30
.LBB213_41:                             ;   in Loop: Header=BB213_29 Depth=2
	s_or_b64 exec, exec, s[46:47]
	s_waitcnt vmcnt(0)
	v_mul_f32_e64 v16, v11, -v27
	v_mul_f32_e32 v31, v28, v11
	v_fmac_f32_e32 v16, v28, v10
	v_fmac_f32_e32 v31, v27, v10
	;; [unrolled: 1-line block ×4, first 2 shown]
	v_fma_f32 v32, -v22, v9, v16
	v_fmac_f32_e32 v31, v21, v9
	s_mov_b64 s[46:47], 0
	v_mov_b32_e32 v33, v30
	s_branch .LBB213_43
.LBB213_42:                             ;   in Loop: Header=BB213_43 Depth=3
	s_or_b64 exec, exec, s[48:49]
	s_xor_b64 s[48:49], s[50:51], -1
	s_and_b64 s[48:49], exec, s[48:49]
	s_or_b64 s[46:47], s[48:49], s[46:47]
	s_andn2_b64 exec, exec, s[46:47]
	s_cbranch_execz .LBB213_53
.LBB213_43:                             ;   Parent Loop BB213_26 Depth=1
                                        ;     Parent Loop BB213_29 Depth=2
                                        ; =>    This Inner Loop Header: Depth=3
	v_lshl_add_u32 v16, v33, 2, 0
	ds_read_b32 v34, v16
                                        ; implicit-def: $sgpr50_sgpr51
	s_waitcnt lgkmcnt(0)
	v_cmp_ne_u32_e32 vcc, v34, v29
	s_and_saveexec_b64 s[48:49], vcc
	s_xor_b64 s[48:49], exec, s[48:49]
	s_cbranch_execz .LBB213_51
; %bb.44:                               ;   in Loop: Header=BB213_43 Depth=3
	v_cmp_ne_u32_e32 vcc, s33, v34
                                        ; implicit-def: $sgpr50_sgpr51
	s_and_saveexec_b64 s[52:53], vcc
	s_xor_b64 s[52:53], exec, s[52:53]
; %bb.45:                               ;   in Loop: Header=BB213_43 Depth=3
	v_add_u32_e32 v16, 1, v33
	v_and_b32_e32 v33, 0x1ff, v16
	s_mov_b64 s[50:51], -1
                                        ; implicit-def: $vgpr16
; %bb.46:                               ;   in Loop: Header=BB213_43 Depth=3
	s_andn2_saveexec_b64 s[52:53], s[52:53]
	s_cbranch_execz .LBB213_50
; %bb.47:                               ;   in Loop: Header=BB213_43 Depth=3
	v_mov_b32_e32 v34, s33
	ds_cmpst_rtn_b32 v34, v16, v34, v29
	s_mov_b64 s[56:57], -1
	s_waitcnt lgkmcnt(0)
	v_cmp_eq_u32_e32 vcc, s33, v34
	s_and_saveexec_b64 s[54:55], vcc
	s_cbranch_execz .LBB213_49
; %bb.48:                               ;   in Loop: Header=BB213_43 Depth=3
	v_mad_u64_u32 v[34:35], s[56:57], v33, 28, v[16:17]
	ds_add_f32 v34, v32 offset:2056
	ds_add_f32 v34, v31 offset:2060
	s_xor_b64 s[56:57], exec, -1
.LBB213_49:                             ;   in Loop: Header=BB213_43 Depth=3
	s_or_b64 exec, exec, s[54:55]
	s_andn2_b64 s[50:51], s[50:51], exec
	s_and_b64 s[54:55], s[56:57], exec
	s_or_b64 s[50:51], s[50:51], s[54:55]
.LBB213_50:                             ;   in Loop: Header=BB213_43 Depth=3
	s_or_b64 exec, exec, s[52:53]
	s_and_b64 s[50:51], s[50:51], exec
                                        ; implicit-def: $vgpr16
.LBB213_51:                             ;   in Loop: Header=BB213_43 Depth=3
	s_andn2_saveexec_b64 s[48:49], s[48:49]
	s_cbranch_execz .LBB213_42
; %bb.52:                               ;   in Loop: Header=BB213_43 Depth=3
	v_mad_u64_u32 v[34:35], s[52:53], v33, 28, v[16:17]
	ds_add_f32 v34, v32 offset:2056
	ds_add_f32 v34, v31 offset:2060
	s_andn2_b64 s[50:51], s[50:51], exec
	s_branch .LBB213_42
.LBB213_53:                             ;   in Loop: Header=BB213_29 Depth=2
	s_or_b64 exec, exec, s[46:47]
	v_mul_f32_e64 v16, v15, -v25
	v_mul_f32_e32 v15, v26, v15
	v_fmac_f32_e32 v16, v26, v14
	v_fmac_f32_e32 v15, v25, v14
	;; [unrolled: 1-line block ×4, first 2 shown]
	v_fma_f32 v14, -v24, v13, v16
	v_fmac_f32_e32 v15, v23, v13
	s_mov_b64 s[46:47], 0
	v_mov_b32_e32 v13, v30
	s_branch .LBB213_55
.LBB213_54:                             ;   in Loop: Header=BB213_55 Depth=3
	s_or_b64 exec, exec, s[48:49]
	s_xor_b64 s[48:49], s[50:51], -1
	s_and_b64 s[48:49], exec, s[48:49]
	s_or_b64 s[46:47], s[48:49], s[46:47]
	s_andn2_b64 exec, exec, s[46:47]
	s_cbranch_execz .LBB213_65
.LBB213_55:                             ;   Parent Loop BB213_26 Depth=1
                                        ;     Parent Loop BB213_29 Depth=2
                                        ; =>    This Inner Loop Header: Depth=3
	v_lshl_add_u32 v12, v13, 2, 0
	ds_read_b32 v16, v12
                                        ; implicit-def: $sgpr50_sgpr51
	s_waitcnt lgkmcnt(0)
	v_cmp_ne_u32_e32 vcc, v16, v29
	s_and_saveexec_b64 s[48:49], vcc
	s_xor_b64 s[48:49], exec, s[48:49]
	s_cbranch_execz .LBB213_63
; %bb.56:                               ;   in Loop: Header=BB213_55 Depth=3
	v_cmp_ne_u32_e32 vcc, s33, v16
                                        ; implicit-def: $sgpr50_sgpr51
	s_and_saveexec_b64 s[52:53], vcc
	s_xor_b64 s[52:53], exec, s[52:53]
; %bb.57:                               ;   in Loop: Header=BB213_55 Depth=3
	v_add_u32_e32 v12, 1, v13
	v_and_b32_e32 v13, 0x1ff, v12
	s_mov_b64 s[50:51], -1
                                        ; implicit-def: $vgpr12
; %bb.58:                               ;   in Loop: Header=BB213_55 Depth=3
	s_andn2_saveexec_b64 s[52:53], s[52:53]
	s_cbranch_execz .LBB213_62
; %bb.59:                               ;   in Loop: Header=BB213_55 Depth=3
	v_mov_b32_e32 v16, s33
	ds_cmpst_rtn_b32 v16, v12, v16, v29
	s_mov_b64 s[56:57], -1
	s_waitcnt lgkmcnt(0)
	v_cmp_eq_u32_e32 vcc, s33, v16
	s_and_saveexec_b64 s[54:55], vcc
	s_cbranch_execz .LBB213_61
; %bb.60:                               ;   in Loop: Header=BB213_55 Depth=3
	v_mad_u64_u32 v[32:33], s[56:57], v13, 28, v[12:13]
	ds_add_f32 v32, v14 offset:2064
	ds_add_f32 v32, v15 offset:2068
	s_xor_b64 s[56:57], exec, -1
.LBB213_61:                             ;   in Loop: Header=BB213_55 Depth=3
	s_or_b64 exec, exec, s[54:55]
	s_andn2_b64 s[50:51], s[50:51], exec
	s_and_b64 s[54:55], s[56:57], exec
	s_or_b64 s[50:51], s[50:51], s[54:55]
.LBB213_62:                             ;   in Loop: Header=BB213_55 Depth=3
	s_or_b64 exec, exec, s[52:53]
	s_and_b64 s[50:51], s[50:51], exec
                                        ; implicit-def: $vgpr12
.LBB213_63:                             ;   in Loop: Header=BB213_55 Depth=3
	s_andn2_saveexec_b64 s[48:49], s[48:49]
	s_cbranch_execz .LBB213_54
; %bb.64:                               ;   in Loop: Header=BB213_55 Depth=3
	v_mad_u64_u32 v[32:33], s[52:53], v13, 28, v[12:13]
	ds_add_f32 v32, v14 offset:2064
	ds_add_f32 v32, v15 offset:2068
	s_andn2_b64 s[50:51], s[50:51], exec
	s_branch .LBB213_54
.LBB213_65:                             ;   in Loop: Header=BB213_29 Depth=2
	s_or_b64 exec, exec, s[46:47]
	v_mul_f32_e64 v12, v11, -v25
	v_mul_f32_e32 v11, v26, v11
	v_fmac_f32_e32 v12, v26, v10
	v_fmac_f32_e32 v11, v25, v10
	;; [unrolled: 1-line block ×4, first 2 shown]
	v_fma_f32 v10, -v24, v9, v12
	v_fmac_f32_e32 v11, v23, v9
	s_mov_b64 s[46:47], 0
	s_branch .LBB213_67
.LBB213_66:                             ;   in Loop: Header=BB213_67 Depth=3
	s_or_b64 exec, exec, s[48:49]
	s_xor_b64 s[48:49], s[50:51], -1
	s_and_b64 s[48:49], exec, s[48:49]
	s_or_b64 s[46:47], s[48:49], s[46:47]
	s_andn2_b64 exec, exec, s[46:47]
	s_cbranch_execz .LBB213_28
.LBB213_67:                             ;   Parent Loop BB213_26 Depth=1
                                        ;     Parent Loop BB213_29 Depth=2
                                        ; =>    This Inner Loop Header: Depth=3
	v_lshl_add_u32 v8, v30, 2, 0
	ds_read_b32 v9, v8
                                        ; implicit-def: $sgpr50_sgpr51
	s_waitcnt lgkmcnt(0)
	v_cmp_ne_u32_e32 vcc, v9, v29
	s_and_saveexec_b64 s[48:49], vcc
	s_xor_b64 s[48:49], exec, s[48:49]
	s_cbranch_execz .LBB213_75
; %bb.68:                               ;   in Loop: Header=BB213_67 Depth=3
	v_cmp_ne_u32_e32 vcc, s33, v9
                                        ; implicit-def: $sgpr50_sgpr51
	s_and_saveexec_b64 s[52:53], vcc
	s_xor_b64 s[52:53], exec, s[52:53]
; %bb.69:                               ;   in Loop: Header=BB213_67 Depth=3
	v_add_u32_e32 v8, 1, v30
	v_and_b32_e32 v30, 0x1ff, v8
	s_mov_b64 s[50:51], -1
                                        ; implicit-def: $vgpr8
; %bb.70:                               ;   in Loop: Header=BB213_67 Depth=3
	s_andn2_saveexec_b64 s[52:53], s[52:53]
	s_cbranch_execz .LBB213_74
; %bb.71:                               ;   in Loop: Header=BB213_67 Depth=3
	v_mov_b32_e32 v9, s33
	ds_cmpst_rtn_b32 v9, v8, v9, v29
	s_mov_b64 s[56:57], -1
	s_waitcnt lgkmcnt(0)
	v_cmp_eq_u32_e32 vcc, s33, v9
	s_and_saveexec_b64 s[54:55], vcc
	s_cbranch_execz .LBB213_73
; %bb.72:                               ;   in Loop: Header=BB213_67 Depth=3
	v_mad_u64_u32 v[8:9], s[56:57], v30, 28, v[8:9]
	ds_add_f32 v8, v10 offset:2072
	ds_add_f32 v8, v11 offset:2076
	s_xor_b64 s[56:57], exec, -1
.LBB213_73:                             ;   in Loop: Header=BB213_67 Depth=3
	s_or_b64 exec, exec, s[54:55]
	s_andn2_b64 s[50:51], s[50:51], exec
	s_and_b64 s[54:55], s[56:57], exec
	s_or_b64 s[50:51], s[50:51], s[54:55]
.LBB213_74:                             ;   in Loop: Header=BB213_67 Depth=3
	s_or_b64 exec, exec, s[52:53]
	s_and_b64 s[50:51], s[50:51], exec
                                        ; implicit-def: $vgpr8
.LBB213_75:                             ;   in Loop: Header=BB213_67 Depth=3
	s_andn2_saveexec_b64 s[48:49], s[48:49]
	s_cbranch_execz .LBB213_66
; %bb.76:                               ;   in Loop: Header=BB213_67 Depth=3
	v_mad_u64_u32 v[8:9], s[52:53], v30, 28, v[8:9]
	ds_add_f32 v8, v10 offset:2072
	ds_add_f32 v8, v11 offset:2076
	s_andn2_b64 s[50:51], s[50:51], exec
	s_branch .LBB213_66
.LBB213_77:
	s_or_b64 exec, exec, s[20:21]
.LBB213_78:
	s_andn2_b64 vcc, exec, s[44:45]
	s_waitcnt lgkmcnt(0)
	s_barrier
	s_cbranch_vccnz .LBB213_131
; %bb.79:
	s_lshl_b64 s[4:5], s[6:7], 3
	s_add_u32 s4, s22, s4
	s_addc_u32 s5, s23, s5
	s_load_dwordx4 s[16:19], s[4:5], 0x0
	v_subrev_co_u32_e32 v1, vcc, s39, v0
	v_subb_co_u32_e64 v3, s[4:5], 0, 0, vcc
	s_waitcnt lgkmcnt(0)
	s_sub_u32 s4, s18, s39
	v_mov_b32_e32 v4, s17
	v_add_co_u32_e32 v2, vcc, s16, v1
	s_subb_u32 s5, s19, 0
	v_addc_co_u32_e32 v3, vcc, v4, v3, vcc
	v_cmp_gt_i64_e32 vcc, s[4:5], v[2:3]
	s_and_saveexec_b64 s[16:17], vcc
	s_cbranch_execz .LBB213_130
; %bb.80:
	s_cmp_eq_u32 s59, 0
	s_cselect_b32 s35, 1, 2
	s_cselect_b32 s36, 2, 1
	s_mov_b64 s[18:19], 0
	v_mov_b32_e32 v1, s11
	v_mov_b32_e32 v11, s9
	s_movk_i32 s9, 0x89
	s_branch .LBB213_82
.LBB213_81:                             ;   in Loop: Header=BB213_82 Depth=1
	s_or_b64 exec, exec, s[20:21]
	v_add_co_u32_e32 v2, vcc, 0x100, v2
	v_addc_co_u32_e32 v3, vcc, 0, v3, vcc
	v_cmp_le_i64_e32 vcc, s[4:5], v[2:3]
	s_or_b64 s[18:19], vcc, s[18:19]
	s_andn2_b64 exec, exec, s[18:19]
	s_cbranch_execz .LBB213_130
.LBB213_82:                             ; =>This Loop Header: Depth=1
                                        ;     Child Loop BB213_84 Depth 2
                                        ;     Child Loop BB213_96 Depth 2
                                        ;     Child Loop BB213_108 Depth 2
                                        ;     Child Loop BB213_120 Depth 2
	v_lshlrev_b64 v[6:7], 5, v[2:3]
	v_lshlrev_b64 v[4:5], 2, v[2:3]
	v_add_co_u32_e32 v12, vcc, s10, v6
	v_addc_co_u32_e32 v13, vcc, v1, v7, vcc
	v_or_b32_e32 v7, 0, v5
	v_or_b32_e32 v6, s35, v4
	v_lshlrev_b64 v[6:7], 3, v[6:7]
	v_add_co_u32_e32 v14, vcc, s10, v6
	v_addc_co_u32_e32 v15, vcc, v1, v7, vcc
	v_or_b32_e32 v6, s36, v4
	v_add_co_u32_e32 v4, vcc, s8, v4
	v_or_b32_e32 v7, 0, v5
	v_addc_co_u32_e32 v5, vcc, v11, v5, vcc
	global_load_dword v10, v[4:5], off
	v_lshlrev_b64 v[6:7], 3, v[6:7]
	global_load_dwordx2 v[16:17], v[12:13], off
	v_add_co_u32_e32 v18, vcc, s10, v6
	v_addc_co_u32_e32 v19, vcc, v1, v7, vcc
	global_load_dwordx2 v[4:5], v[12:13], off offset:24
	global_load_dwordx2 v[8:9], v[14:15], off
	global_load_dwordx2 v[6:7], v[18:19], off
	s_mov_b64 s[20:21], 0
	s_waitcnt vmcnt(4)
	v_subrev_u32_e32 v12, s39, v10
	v_mul_lo_u32 v10, v12, s9
	s_waitcnt vmcnt(3)
	v_mul_f32_e64 v14, v17, -s58
	v_mul_f32_e32 v15, s34, v17
	v_and_b32_e32 v13, 0x1ff, v10
	v_fmac_f32_e32 v14, s34, v16
	v_fmac_f32_e32 v15, s58, v16
	v_mov_b32_e32 v16, v13
	s_branch .LBB213_84
.LBB213_83:                             ;   in Loop: Header=BB213_84 Depth=2
	s_or_b64 exec, exec, s[22:23]
	s_xor_b64 s[22:23], s[24:25], -1
	s_and_b64 s[22:23], exec, s[22:23]
	s_or_b64 s[20:21], s[22:23], s[20:21]
	s_andn2_b64 exec, exec, s[20:21]
	s_cbranch_execz .LBB213_94
.LBB213_84:                             ;   Parent Loop BB213_82 Depth=1
                                        ; =>  This Inner Loop Header: Depth=2
	v_lshl_add_u32 v10, v16, 2, 0
	ds_read_b32 v17, v10
                                        ; implicit-def: $sgpr24_sgpr25
	s_waitcnt lgkmcnt(0)
	v_cmp_ne_u32_e32 vcc, v17, v12
	s_and_saveexec_b64 s[22:23], vcc
	s_xor_b64 s[22:23], exec, s[22:23]
	s_cbranch_execz .LBB213_92
; %bb.85:                               ;   in Loop: Header=BB213_84 Depth=2
	v_cmp_ne_u32_e32 vcc, s33, v17
                                        ; implicit-def: $sgpr24_sgpr25
	s_and_saveexec_b64 s[26:27], vcc
	s_xor_b64 s[26:27], exec, s[26:27]
; %bb.86:                               ;   in Loop: Header=BB213_84 Depth=2
	v_add_u32_e32 v10, 1, v16
	v_and_b32_e32 v16, 0x1ff, v10
	s_mov_b64 s[24:25], -1
                                        ; implicit-def: $vgpr10
; %bb.87:                               ;   in Loop: Header=BB213_84 Depth=2
	s_andn2_saveexec_b64 s[26:27], s[26:27]
	s_cbranch_execz .LBB213_91
; %bb.88:                               ;   in Loop: Header=BB213_84 Depth=2
	v_mov_b32_e32 v17, s33
	ds_cmpst_rtn_b32 v17, v10, v17, v12
	s_mov_b64 s[30:31], -1
	s_waitcnt lgkmcnt(0)
	v_cmp_eq_u32_e32 vcc, s33, v17
	s_and_saveexec_b64 s[28:29], vcc
	s_cbranch_execz .LBB213_90
; %bb.89:                               ;   in Loop: Header=BB213_84 Depth=2
	v_mad_u64_u32 v[18:19], s[30:31], v16, 28, v[10:11]
	ds_add_f32 v18, v14 offset:2048
	ds_add_f32 v18, v15 offset:2052
	s_xor_b64 s[30:31], exec, -1
.LBB213_90:                             ;   in Loop: Header=BB213_84 Depth=2
	s_or_b64 exec, exec, s[28:29]
	s_andn2_b64 s[24:25], s[24:25], exec
	s_and_b64 s[28:29], s[30:31], exec
	s_or_b64 s[24:25], s[24:25], s[28:29]
.LBB213_91:                             ;   in Loop: Header=BB213_84 Depth=2
	s_or_b64 exec, exec, s[26:27]
	s_and_b64 s[24:25], s[24:25], exec
                                        ; implicit-def: $vgpr10
.LBB213_92:                             ;   in Loop: Header=BB213_84 Depth=2
	s_andn2_saveexec_b64 s[22:23], s[22:23]
	s_cbranch_execz .LBB213_83
; %bb.93:                               ;   in Loop: Header=BB213_84 Depth=2
	v_mad_u64_u32 v[18:19], s[26:27], v16, 28, v[10:11]
	ds_add_f32 v18, v14 offset:2048
	ds_add_f32 v18, v15 offset:2052
	s_andn2_b64 s[24:25], s[24:25], exec
	s_branch .LBB213_83
.LBB213_94:                             ;   in Loop: Header=BB213_82 Depth=1
	s_or_b64 exec, exec, s[20:21]
	s_waitcnt vmcnt(1)
	v_mul_f32_e64 v10, v9, -s58
	v_mul_f32_e32 v9, s34, v9
	v_fmac_f32_e32 v10, s34, v8
	v_fmac_f32_e32 v9, s58, v8
	s_mov_b64 s[20:21], 0
	v_mov_b32_e32 v14, v13
	s_branch .LBB213_96
.LBB213_95:                             ;   in Loop: Header=BB213_96 Depth=2
	s_or_b64 exec, exec, s[22:23]
	s_xor_b64 s[22:23], s[24:25], -1
	s_and_b64 s[22:23], exec, s[22:23]
	s_or_b64 s[20:21], s[22:23], s[20:21]
	s_andn2_b64 exec, exec, s[20:21]
	s_cbranch_execz .LBB213_106
.LBB213_96:                             ;   Parent Loop BB213_82 Depth=1
                                        ; =>  This Inner Loop Header: Depth=2
	v_lshl_add_u32 v8, v14, 2, 0
	ds_read_b32 v15, v8
                                        ; implicit-def: $sgpr24_sgpr25
	s_waitcnt lgkmcnt(0)
	v_cmp_ne_u32_e32 vcc, v15, v12
	s_and_saveexec_b64 s[22:23], vcc
	s_xor_b64 s[22:23], exec, s[22:23]
	s_cbranch_execz .LBB213_104
; %bb.97:                               ;   in Loop: Header=BB213_96 Depth=2
	v_cmp_ne_u32_e32 vcc, s33, v15
                                        ; implicit-def: $sgpr24_sgpr25
	s_and_saveexec_b64 s[26:27], vcc
	s_xor_b64 s[26:27], exec, s[26:27]
; %bb.98:                               ;   in Loop: Header=BB213_96 Depth=2
	v_add_u32_e32 v8, 1, v14
	v_and_b32_e32 v14, 0x1ff, v8
	s_mov_b64 s[24:25], -1
                                        ; implicit-def: $vgpr8
; %bb.99:                               ;   in Loop: Header=BB213_96 Depth=2
	s_andn2_saveexec_b64 s[26:27], s[26:27]
	s_cbranch_execz .LBB213_103
; %bb.100:                              ;   in Loop: Header=BB213_96 Depth=2
	v_mov_b32_e32 v15, s33
	ds_cmpst_rtn_b32 v15, v8, v15, v12
	s_mov_b64 s[30:31], -1
	s_waitcnt lgkmcnt(0)
	v_cmp_eq_u32_e32 vcc, s33, v15
	s_and_saveexec_b64 s[28:29], vcc
	s_cbranch_execz .LBB213_102
; %bb.101:                              ;   in Loop: Header=BB213_96 Depth=2
	v_mad_u64_u32 v[16:17], s[30:31], v14, 28, v[8:9]
	ds_add_f32 v16, v10 offset:2056
	ds_add_f32 v16, v9 offset:2060
	s_xor_b64 s[30:31], exec, -1
.LBB213_102:                            ;   in Loop: Header=BB213_96 Depth=2
	s_or_b64 exec, exec, s[28:29]
	s_andn2_b64 s[24:25], s[24:25], exec
	s_and_b64 s[28:29], s[30:31], exec
	s_or_b64 s[24:25], s[24:25], s[28:29]
.LBB213_103:                            ;   in Loop: Header=BB213_96 Depth=2
	s_or_b64 exec, exec, s[26:27]
	s_and_b64 s[24:25], s[24:25], exec
                                        ; implicit-def: $vgpr8
.LBB213_104:                            ;   in Loop: Header=BB213_96 Depth=2
	s_andn2_saveexec_b64 s[22:23], s[22:23]
	s_cbranch_execz .LBB213_95
; %bb.105:                              ;   in Loop: Header=BB213_96 Depth=2
	v_mad_u64_u32 v[16:17], s[26:27], v14, 28, v[8:9]
	ds_add_f32 v16, v10 offset:2056
	ds_add_f32 v16, v9 offset:2060
	s_andn2_b64 s[24:25], s[24:25], exec
	s_branch .LBB213_95
.LBB213_106:                            ;   in Loop: Header=BB213_82 Depth=1
	s_or_b64 exec, exec, s[20:21]
	s_waitcnt vmcnt(0)
	v_mul_f32_e64 v8, v7, -s58
	v_mul_f32_e32 v7, s34, v7
	v_fmac_f32_e32 v8, s34, v6
	v_fmac_f32_e32 v7, s58, v6
	s_mov_b64 s[20:21], 0
	v_mov_b32_e32 v9, v13
	s_branch .LBB213_108
.LBB213_107:                            ;   in Loop: Header=BB213_108 Depth=2
	s_or_b64 exec, exec, s[22:23]
	s_xor_b64 s[22:23], s[24:25], -1
	s_and_b64 s[22:23], exec, s[22:23]
	s_or_b64 s[20:21], s[22:23], s[20:21]
	s_andn2_b64 exec, exec, s[20:21]
	s_cbranch_execz .LBB213_118
.LBB213_108:                            ;   Parent Loop BB213_82 Depth=1
                                        ; =>  This Inner Loop Header: Depth=2
	v_lshl_add_u32 v6, v9, 2, 0
	ds_read_b32 v10, v6
                                        ; implicit-def: $sgpr24_sgpr25
	s_waitcnt lgkmcnt(0)
	v_cmp_ne_u32_e32 vcc, v10, v12
	s_and_saveexec_b64 s[22:23], vcc
	s_xor_b64 s[22:23], exec, s[22:23]
	s_cbranch_execz .LBB213_116
; %bb.109:                              ;   in Loop: Header=BB213_108 Depth=2
	v_cmp_ne_u32_e32 vcc, s33, v10
                                        ; implicit-def: $sgpr24_sgpr25
	s_and_saveexec_b64 s[26:27], vcc
	s_xor_b64 s[26:27], exec, s[26:27]
; %bb.110:                              ;   in Loop: Header=BB213_108 Depth=2
	v_add_u32_e32 v6, 1, v9
	v_and_b32_e32 v9, 0x1ff, v6
	s_mov_b64 s[24:25], -1
                                        ; implicit-def: $vgpr6
; %bb.111:                              ;   in Loop: Header=BB213_108 Depth=2
	s_andn2_saveexec_b64 s[26:27], s[26:27]
	s_cbranch_execz .LBB213_115
; %bb.112:                              ;   in Loop: Header=BB213_108 Depth=2
	v_mov_b32_e32 v10, s33
	ds_cmpst_rtn_b32 v10, v6, v10, v12
	s_mov_b64 s[30:31], -1
	s_waitcnt lgkmcnt(0)
	v_cmp_eq_u32_e32 vcc, s33, v10
	s_and_saveexec_b64 s[28:29], vcc
	s_cbranch_execz .LBB213_114
; %bb.113:                              ;   in Loop: Header=BB213_108 Depth=2
	v_mad_u64_u32 v[14:15], s[30:31], v9, 28, v[6:7]
	ds_add_f32 v14, v8 offset:2064
	ds_add_f32 v14, v7 offset:2068
	s_xor_b64 s[30:31], exec, -1
.LBB213_114:                            ;   in Loop: Header=BB213_108 Depth=2
	s_or_b64 exec, exec, s[28:29]
	s_andn2_b64 s[24:25], s[24:25], exec
	s_and_b64 s[28:29], s[30:31], exec
	s_or_b64 s[24:25], s[24:25], s[28:29]
.LBB213_115:                            ;   in Loop: Header=BB213_108 Depth=2
	s_or_b64 exec, exec, s[26:27]
	s_and_b64 s[24:25], s[24:25], exec
                                        ; implicit-def: $vgpr6
.LBB213_116:                            ;   in Loop: Header=BB213_108 Depth=2
	s_andn2_saveexec_b64 s[22:23], s[22:23]
	s_cbranch_execz .LBB213_107
; %bb.117:                              ;   in Loop: Header=BB213_108 Depth=2
	v_mad_u64_u32 v[14:15], s[26:27], v9, 28, v[6:7]
	ds_add_f32 v14, v8 offset:2064
	ds_add_f32 v14, v7 offset:2068
	s_andn2_b64 s[24:25], s[24:25], exec
	s_branch .LBB213_107
.LBB213_118:                            ;   in Loop: Header=BB213_82 Depth=1
	s_or_b64 exec, exec, s[20:21]
	v_mul_f32_e64 v6, v5, -s58
	v_mul_f32_e32 v5, s34, v5
	v_fmac_f32_e32 v6, s34, v4
	v_fmac_f32_e32 v5, s58, v4
	s_mov_b64 s[20:21], 0
	s_branch .LBB213_120
.LBB213_119:                            ;   in Loop: Header=BB213_120 Depth=2
	s_or_b64 exec, exec, s[22:23]
	s_xor_b64 s[22:23], s[24:25], -1
	s_and_b64 s[22:23], exec, s[22:23]
	s_or_b64 s[20:21], s[22:23], s[20:21]
	s_andn2_b64 exec, exec, s[20:21]
	s_cbranch_execz .LBB213_81
.LBB213_120:                            ;   Parent Loop BB213_82 Depth=1
                                        ; =>  This Inner Loop Header: Depth=2
	v_lshl_add_u32 v4, v13, 2, 0
	ds_read_b32 v7, v4
                                        ; implicit-def: $sgpr24_sgpr25
	s_waitcnt lgkmcnt(0)
	v_cmp_ne_u32_e32 vcc, v7, v12
	s_and_saveexec_b64 s[22:23], vcc
	s_xor_b64 s[22:23], exec, s[22:23]
	s_cbranch_execz .LBB213_128
; %bb.121:                              ;   in Loop: Header=BB213_120 Depth=2
	v_cmp_ne_u32_e32 vcc, s33, v7
                                        ; implicit-def: $sgpr24_sgpr25
	s_and_saveexec_b64 s[26:27], vcc
	s_xor_b64 s[26:27], exec, s[26:27]
; %bb.122:                              ;   in Loop: Header=BB213_120 Depth=2
	v_add_u32_e32 v4, 1, v13
	v_and_b32_e32 v13, 0x1ff, v4
	s_mov_b64 s[24:25], -1
                                        ; implicit-def: $vgpr4
; %bb.123:                              ;   in Loop: Header=BB213_120 Depth=2
	s_andn2_saveexec_b64 s[26:27], s[26:27]
	s_cbranch_execz .LBB213_127
; %bb.124:                              ;   in Loop: Header=BB213_120 Depth=2
	v_mov_b32_e32 v7, s33
	ds_cmpst_rtn_b32 v7, v4, v7, v12
	s_mov_b64 s[30:31], -1
	s_waitcnt lgkmcnt(0)
	v_cmp_eq_u32_e32 vcc, s33, v7
	s_and_saveexec_b64 s[28:29], vcc
	s_cbranch_execz .LBB213_126
; %bb.125:                              ;   in Loop: Header=BB213_120 Depth=2
	v_mad_u64_u32 v[8:9], s[30:31], v13, 28, v[4:5]
	ds_add_f32 v8, v6 offset:2072
	ds_add_f32 v8, v5 offset:2076
	s_xor_b64 s[30:31], exec, -1
.LBB213_126:                            ;   in Loop: Header=BB213_120 Depth=2
	s_or_b64 exec, exec, s[28:29]
	s_andn2_b64 s[24:25], s[24:25], exec
	s_and_b64 s[28:29], s[30:31], exec
	s_or_b64 s[24:25], s[24:25], s[28:29]
.LBB213_127:                            ;   in Loop: Header=BB213_120 Depth=2
	s_or_b64 exec, exec, s[26:27]
	s_and_b64 s[24:25], s[24:25], exec
                                        ; implicit-def: $vgpr4
.LBB213_128:                            ;   in Loop: Header=BB213_120 Depth=2
	s_andn2_saveexec_b64 s[22:23], s[22:23]
	s_cbranch_execz .LBB213_119
; %bb.129:                              ;   in Loop: Header=BB213_120 Depth=2
	v_mad_u64_u32 v[8:9], s[26:27], v13, 28, v[4:5]
	ds_add_f32 v8, v6 offset:2072
	ds_add_f32 v8, v5 offset:2076
	s_andn2_b64 s[24:25], s[24:25], exec
	s_branch .LBB213_119
.LBB213_130:
	s_or_b64 exec, exec, s[16:17]
.LBB213_131:
	s_waitcnt lgkmcnt(0)
	s_barrier
	s_and_saveexec_b64 s[4:5], s[0:1]
	s_cbranch_execz .LBB213_138
; %bb.132:
	s_lshl_b64 s[0:1], s[6:7], 3
	s_add_u32 s0, s12, s0
	s_addc_u32 s1, s13, s1
	s_load_dwordx2 s[4:5], s[0:1], 0x0
	s_mov_b64 s[0:1], 0
	s_movk_i32 s11, 0xff
	s_waitcnt lgkmcnt(0)
	s_sub_u32 s4, s4, s38
	s_subb_u32 s5, s5, 0
	s_cmp_eq_u32 s59, 0
	s_cselect_b32 s8, 1, 2
	s_cselect_b32 s9, 2, 1
	s_add_i32 s10, 0, 0x800
	s_branch .LBB213_134
.LBB213_133:                            ;   in Loop: Header=BB213_134 Depth=1
	s_or_b64 exec, exec, s[6:7]
	v_add_u32_e32 v1, 0x100, v0
	v_cmp_lt_u32_e32 vcc, s11, v0
	s_or_b64 s[0:1], vcc, s[0:1]
	v_mov_b32_e32 v0, v1
	s_andn2_b64 exec, exec, s[0:1]
	s_cbranch_execz .LBB213_138
.LBB213_134:                            ; =>This Loop Header: Depth=1
                                        ;     Child Loop BB213_136 Depth 2
	v_lshl_add_u32 v1, v0, 2, 0
	ds_read_b32 v1, v1
	s_waitcnt lgkmcnt(0)
	v_cmp_gt_i32_e32 vcc, s33, v1
	s_and_saveexec_b64 s[6:7], vcc
	s_cbranch_execz .LBB213_133
; %bb.135:                              ;   in Loop: Header=BB213_134 Depth=1
	s_mov_b32 s12, 0
	v_pk_mov_b32 v[2:3], s[4:5], s[4:5] op_sel:[0,1]
.LBB213_136:                            ;   Parent Loop BB213_134 Depth=1
                                        ; =>  This Inner Loop Header: Depth=2
	s_add_i32 s13, s12, 0
	v_mov_b32_e32 v18, s13
	ds_read2_b32 v[4:5], v18 offset1:1
	ds_read2_b32 v[6:7], v18 offset0:2 offset1:3
	ds_read2_b32 v[8:9], v18 offset0:4 offset1:5
	;; [unrolled: 1-line block ×7, first 2 shown]
	s_waitcnt lgkmcnt(7)
	v_cmp_gt_i32_e32 vcc, v1, v4
	v_cndmask_b32_e64 v4, 0, 1, vcc
	v_cmp_gt_i32_e32 vcc, v1, v5
	v_cndmask_b32_e64 v5, 0, 1, vcc
	s_waitcnt lgkmcnt(6)
	v_cmp_gt_i32_e32 vcc, v1, v6
	v_cndmask_b32_e64 v6, 0, 1, vcc
	v_cmp_gt_i32_e32 vcc, v1, v7
	v_cndmask_b32_e64 v7, 0, 1, vcc
	;; [unrolled: 5-line block ×8, first 2 shown]
	v_add_co_u32_e32 v2, vcc, v2, v4
	v_addc_co_u32_e32 v3, vcc, 0, v3, vcc
	v_add_co_u32_e32 v2, vcc, v2, v5
	v_addc_co_u32_e32 v3, vcc, 0, v3, vcc
	;; [unrolled: 2-line block ×15, first 2 shown]
	s_add_i32 s12, s12, 64
	v_add_co_u32_e32 v2, vcc, v2, v19
	s_cmpk_lg_i32 s12, 0x800
	v_addc_co_u32_e32 v3, vcc, 0, v3, vcc
	s_cbranch_scc1 .LBB213_136
; %bb.137:                              ;   in Loop: Header=BB213_134 Depth=1
	v_lshlrev_b64 v[4:5], 2, v[2:3]
	v_mov_b32_e32 v6, s15
	v_add_co_u32_e32 v4, vcc, s14, v4
	v_add_u32_e32 v1, s38, v1
	v_addc_co_u32_e32 v5, vcc, v6, v5, vcc
	global_store_dword v[4:5], v1, off
	v_lshlrev_b32_e32 v1, 2, v0
	v_or_b32_e32 v4, s8, v1
	v_or_b32_e32 v1, s9, v1
	v_lshl_add_u32 v8, v0, 5, s10
	v_lshl_add_u32 v4, v4, 3, s10
	v_lshl_add_u32 v1, v1, 3, s10
	v_lshlrev_b64 v[10:11], 5, v[2:3]
	ds_read2_b32 v[2:3], v8 offset1:1
	ds_read2_b32 v[6:7], v1 offset1:1
	;; [unrolled: 1-line block ×3, first 2 shown]
	ds_read2_b32 v[8:9], v8 offset0:6 offset1:7
	v_mov_b32_e32 v12, s3
	v_add_co_u32_e32 v10, vcc, s2, v10
	v_addc_co_u32_e32 v11, vcc, v12, v11, vcc
	s_waitcnt lgkmcnt(1)
	global_store_dwordx4 v[10:11], v[2:5], off
	s_waitcnt lgkmcnt(0)
	global_store_dwordx4 v[10:11], v[6:9], off offset:16
	s_branch .LBB213_133
.LBB213_138:
	s_endpgm
	.section	.rodata,"a",@progbits
	.p2align	6, 0x0
	.amdhsa_kernel _ZN9rocsparseL30bsrgemm_fill_block_per_row_2x2ILj256ELj16ELj512ELj137Eli21rocsparse_complex_numIfEEEv20rocsparse_direction_T4_S4_PKS4_S6_NS_24const_host_device_scalarIT5_EEPKT3_S6_PKS8_SC_S6_SE_S9_SC_S6_SE_SC_PS4_PS8_21rocsparse_index_base_SH_SH_SH_bbb
		.amdhsa_group_segment_fixed_size 0
		.amdhsa_private_segment_fixed_size 0
		.amdhsa_kernarg_size 164
		.amdhsa_user_sgpr_count 6
		.amdhsa_user_sgpr_private_segment_buffer 1
		.amdhsa_user_sgpr_dispatch_ptr 0
		.amdhsa_user_sgpr_queue_ptr 0
		.amdhsa_user_sgpr_kernarg_segment_ptr 1
		.amdhsa_user_sgpr_dispatch_id 0
		.amdhsa_user_sgpr_flat_scratch_init 0
		.amdhsa_user_sgpr_kernarg_preload_length 0
		.amdhsa_user_sgpr_kernarg_preload_offset 0
		.amdhsa_user_sgpr_private_segment_size 0
		.amdhsa_uses_dynamic_stack 0
		.amdhsa_system_sgpr_private_segment_wavefront_offset 0
		.amdhsa_system_sgpr_workgroup_id_x 1
		.amdhsa_system_sgpr_workgroup_id_y 0
		.amdhsa_system_sgpr_workgroup_id_z 0
		.amdhsa_system_sgpr_workgroup_info 0
		.amdhsa_system_vgpr_workitem_id 0
		.amdhsa_next_free_vgpr 36
		.amdhsa_next_free_sgpr 64
		.amdhsa_accum_offset 36
		.amdhsa_reserve_vcc 1
		.amdhsa_reserve_flat_scratch 0
		.amdhsa_float_round_mode_32 0
		.amdhsa_float_round_mode_16_64 0
		.amdhsa_float_denorm_mode_32 3
		.amdhsa_float_denorm_mode_16_64 3
		.amdhsa_dx10_clamp 1
		.amdhsa_ieee_mode 1
		.amdhsa_fp16_overflow 0
		.amdhsa_tg_split 0
		.amdhsa_exception_fp_ieee_invalid_op 0
		.amdhsa_exception_fp_denorm_src 0
		.amdhsa_exception_fp_ieee_div_zero 0
		.amdhsa_exception_fp_ieee_overflow 0
		.amdhsa_exception_fp_ieee_underflow 0
		.amdhsa_exception_fp_ieee_inexact 0
		.amdhsa_exception_int_div_zero 0
	.end_amdhsa_kernel
	.section	.text._ZN9rocsparseL30bsrgemm_fill_block_per_row_2x2ILj256ELj16ELj512ELj137Eli21rocsparse_complex_numIfEEEv20rocsparse_direction_T4_S4_PKS4_S6_NS_24const_host_device_scalarIT5_EEPKT3_S6_PKS8_SC_S6_SE_S9_SC_S6_SE_SC_PS4_PS8_21rocsparse_index_base_SH_SH_SH_bbb,"axG",@progbits,_ZN9rocsparseL30bsrgemm_fill_block_per_row_2x2ILj256ELj16ELj512ELj137Eli21rocsparse_complex_numIfEEEv20rocsparse_direction_T4_S4_PKS4_S6_NS_24const_host_device_scalarIT5_EEPKT3_S6_PKS8_SC_S6_SE_S9_SC_S6_SE_SC_PS4_PS8_21rocsparse_index_base_SH_SH_SH_bbb,comdat
.Lfunc_end213:
	.size	_ZN9rocsparseL30bsrgemm_fill_block_per_row_2x2ILj256ELj16ELj512ELj137Eli21rocsparse_complex_numIfEEEv20rocsparse_direction_T4_S4_PKS4_S6_NS_24const_host_device_scalarIT5_EEPKT3_S6_PKS8_SC_S6_SE_S9_SC_S6_SE_SC_PS4_PS8_21rocsparse_index_base_SH_SH_SH_bbb, .Lfunc_end213-_ZN9rocsparseL30bsrgemm_fill_block_per_row_2x2ILj256ELj16ELj512ELj137Eli21rocsparse_complex_numIfEEEv20rocsparse_direction_T4_S4_PKS4_S6_NS_24const_host_device_scalarIT5_EEPKT3_S6_PKS8_SC_S6_SE_S9_SC_S6_SE_SC_PS4_PS8_21rocsparse_index_base_SH_SH_SH_bbb
                                        ; -- End function
	.section	.AMDGPU.csdata,"",@progbits
; Kernel info:
; codeLenInByte = 4388
; NumSgprs: 68
; NumVgprs: 36
; NumAgprs: 0
; TotalNumVgprs: 36
; ScratchSize: 0
; MemoryBound: 0
; FloatMode: 240
; IeeeMode: 1
; LDSByteSize: 0 bytes/workgroup (compile time only)
; SGPRBlocks: 8
; VGPRBlocks: 4
; NumSGPRsForWavesPerEU: 68
; NumVGPRsForWavesPerEU: 36
; AccumOffset: 36
; Occupancy: 8
; WaveLimiterHint : 1
; COMPUTE_PGM_RSRC2:SCRATCH_EN: 0
; COMPUTE_PGM_RSRC2:USER_SGPR: 6
; COMPUTE_PGM_RSRC2:TRAP_HANDLER: 0
; COMPUTE_PGM_RSRC2:TGID_X_EN: 1
; COMPUTE_PGM_RSRC2:TGID_Y_EN: 0
; COMPUTE_PGM_RSRC2:TGID_Z_EN: 0
; COMPUTE_PGM_RSRC2:TIDIG_COMP_CNT: 0
; COMPUTE_PGM_RSRC3_GFX90A:ACCUM_OFFSET: 8
; COMPUTE_PGM_RSRC3_GFX90A:TG_SPLIT: 0
	.section	.text._ZN9rocsparseL38bsrgemm_block_per_row_atomic_multipassILj256ELj256ELj2Eli21rocsparse_complex_numIfEEEv20rocsparse_direction_T3_S4_PKS4_S6_NS_24const_host_device_scalarIT4_EEPKT2_S6_PKS8_SC_S6_SE_S9_SC_S6_SE_SC_PS4_PS8_PSA_21rocsparse_index_base_SI_SI_SI_bbb,"axG",@progbits,_ZN9rocsparseL38bsrgemm_block_per_row_atomic_multipassILj256ELj256ELj2Eli21rocsparse_complex_numIfEEEv20rocsparse_direction_T3_S4_PKS4_S6_NS_24const_host_device_scalarIT4_EEPKT2_S6_PKS8_SC_S6_SE_S9_SC_S6_SE_SC_PS4_PS8_PSA_21rocsparse_index_base_SI_SI_SI_bbb,comdat
	.globl	_ZN9rocsparseL38bsrgemm_block_per_row_atomic_multipassILj256ELj256ELj2Eli21rocsparse_complex_numIfEEEv20rocsparse_direction_T3_S4_PKS4_S6_NS_24const_host_device_scalarIT4_EEPKT2_S6_PKS8_SC_S6_SE_S9_SC_S6_SE_SC_PS4_PS8_PSA_21rocsparse_index_base_SI_SI_SI_bbb ; -- Begin function _ZN9rocsparseL38bsrgemm_block_per_row_atomic_multipassILj256ELj256ELj2Eli21rocsparse_complex_numIfEEEv20rocsparse_direction_T3_S4_PKS4_S6_NS_24const_host_device_scalarIT4_EEPKT2_S6_PKS8_SC_S6_SE_S9_SC_S6_SE_SC_PS4_PS8_PSA_21rocsparse_index_base_SI_SI_SI_bbb
	.p2align	8
	.type	_ZN9rocsparseL38bsrgemm_block_per_row_atomic_multipassILj256ELj256ELj2Eli21rocsparse_complex_numIfEEEv20rocsparse_direction_T3_S4_PKS4_S6_NS_24const_host_device_scalarIT4_EEPKT2_S6_PKS8_SC_S6_SE_S9_SC_S6_SE_SC_PS4_PS8_PSA_21rocsparse_index_base_SI_SI_SI_bbb,@function
_ZN9rocsparseL38bsrgemm_block_per_row_atomic_multipassILj256ELj256ELj2Eli21rocsparse_complex_numIfEEEv20rocsparse_direction_T3_S4_PKS4_S6_NS_24const_host_device_scalarIT4_EEPKT2_S6_PKS8_SC_S6_SE_S9_SC_S6_SE_SC_PS4_PS8_PSA_21rocsparse_index_base_SI_SI_SI_bbb: ; @_ZN9rocsparseL38bsrgemm_block_per_row_atomic_multipassILj256ELj256ELj2Eli21rocsparse_complex_numIfEEEv20rocsparse_direction_T3_S4_PKS4_S6_NS_24const_host_device_scalarIT4_EEPKT2_S6_PKS8_SC_S6_SE_S9_SC_S6_SE_SC_PS4_PS8_PSA_21rocsparse_index_base_SI_SI_SI_bbb
; %bb.0:
	s_load_dwordx8 s[36:43], s[4:5], 0x88
	s_load_dword s2, s[4:5], 0xa8
	s_load_dwordx8 s[8:15], s[4:5], 0x68
                                        ; implicit-def: $vgpr63 : SGPR spill to VGPR lane
	s_mov_b32 s35, 0
	s_mov_b32 s33, 0
	s_waitcnt lgkmcnt(0)
	s_bitcmp1_b32 s2, 0
	v_writelane_b32 v63, s8, 0
	v_writelane_b32 v63, s9, 1
	;; [unrolled: 1-line block ×8, first 2 shown]
	s_load_dwordx8 s[52:59], s[4:5], 0x48
	s_load_dwordx4 s[8:11], s[4:5], 0x10
	s_load_dwordx8 s[60:67], s[4:5], 0x28
	s_cselect_b64 s[12:13], -1, 0
	s_bitcmp1_b32 s2, 16
	s_cselect_b64 s[0:1], -1, 0
	s_xor_b64 s[0:1], s[0:1], -1
	v_cndmask_b32_e64 v1, 0, 1, s[0:1]
	s_bitcmp0_b32 s2, 0
	v_cmp_ne_u32_e64 s[0:1], 1, v1
	s_cbranch_scc1 .LBB214_5
; %bb.1:
	s_load_dwordx2 s[34:35], s[4:5], 0x20
	s_and_b64 vcc, exec, s[0:1]
	s_waitcnt lgkmcnt(0)
	s_mov_b32 s33, s34
	s_cbranch_vccnz .LBB214_3
; %bb.2:
	s_load_dword s33, s[34:35], 0x0
.LBB214_3:
	s_and_b64 vcc, exec, s[0:1]
	s_cbranch_vccnz .LBB214_5
; %bb.4:
	s_load_dword s35, s[34:35], 0x4
.LBB214_5:
	s_bitcmp1_b32 s2, 8
	s_cselect_b64 s[72:73], -1, 0
	s_bfe_u32 s2, s2, 0x10008
	s_mov_b32 s94, 0
	s_cmp_eq_u32 s2, 0
	s_mov_b32 s34, 0
	s_cbranch_scc1 .LBB214_11
; %bb.6:
	s_and_b64 vcc, exec, s[0:1]
	s_waitcnt lgkmcnt(0)
	s_mov_b32 s34, s56
	s_cbranch_vccnz .LBB214_8
; %bb.7:
	s_load_dword s34, s[56:57], 0x0
.LBB214_8:
	s_and_b64 vcc, exec, s[0:1]
	s_cbranch_vccnz .LBB214_10
; %bb.9:
	s_load_dword s57, s[56:57], 0x4
.LBB214_10:
	s_waitcnt lgkmcnt(0)
	s_mov_b32 s94, s57
.LBB214_11:
	s_mov_b64 s[0:1], 0
	s_waitcnt lgkmcnt(0)
	s_cmp_eq_u64 s[10:11], 0
	v_writelane_b32 v63, s0, 8
	v_writelane_b32 v63, s1, 9
	s_cbranch_scc1 .LBB214_13
; %bb.12:
	s_load_dword s0, s[8:9], 0x0
	s_mov_b32 s1, 0
	s_waitcnt lgkmcnt(0)
	s_add_i32 s0, s0, s6
	s_lshl_b64 s[0:1], s[0:1], 2
	s_add_u32 s0, s10, s0
	s_addc_u32 s1, s11, s1
	s_load_dword s6, s[0:1], 0x0
.LBB214_13:
	v_cndmask_b32_e64 v1, 0, 1, s[12:13]
	v_cmp_ne_u32_e64 s[0:1], 1, v1
	s_andn2_b64 vcc, exec, s[12:13]
	s_cbranch_vccz .LBB214_16
; %bb.14:
	s_and_b64 vcc, exec, s[0:1]
	s_mov_b64 s[74:75], 0
	s_cbranch_vccz .LBB214_17
.LBB214_15:
	s_load_dwordx4 s[68:71], s[4:5], 0x0
	s_waitcnt lgkmcnt(0)
	s_cmp_lt_i32 s69, 1
	s_cbranch_scc0 .LBB214_18
	s_branch .LBB214_105
.LBB214_16:
	s_waitcnt lgkmcnt(0)
	s_ashr_i32 s7, s6, 31
	s_lshl_b64 s[2:3], s[6:7], 3
	s_add_u32 s2, s60, s2
	s_addc_u32 s3, s61, s3
	s_load_dwordx2 s[2:3], s[2:3], 0x0
	s_waitcnt lgkmcnt(0)
	s_sub_u32 s2, s2, s40
	s_subb_u32 s3, s3, 0
	v_writelane_b32 v63, s2, 8
	v_writelane_b32 v63, s3, 9
	s_and_b64 vcc, exec, s[0:1]
	s_mov_b64 s[74:75], 0
	s_cbranch_vccnz .LBB214_15
.LBB214_17:
	s_waitcnt lgkmcnt(0)
	s_ashr_i32 s7, s6, 31
	s_lshl_b64 s[0:1], s[6:7], 3
	s_add_u32 s0, s60, s0
	s_addc_u32 s1, s61, s1
	s_load_dwordx2 s[0:1], s[0:1], 0x8
	s_waitcnt lgkmcnt(0)
	s_sub_u32 s74, s0, s40
	s_subb_u32 s75, s1, 0
	s_load_dwordx4 s[68:71], s[4:5], 0x0
	s_waitcnt lgkmcnt(0)
	s_cmp_lt_i32 s69, 1
	s_cbranch_scc1 .LBB214_105
.LBB214_18:
	v_readlane_b32 s4, v63, 8
	v_pk_mov_b32 v[4:5], s[74:75], s[74:75] op_sel:[0,1]
	v_readlane_b32 s5, v63, 9
	v_bfe_u32 v3, v0, 1, 1
	v_cmp_lt_i64_e32 vcc, s[4:5], v[4:5]
	v_mov_b32_e32 v4, 0
	s_ashr_i32 s7, s6, 31
	v_readlane_b32 s76, v63, 0
	v_and_b32_e32 v7, 1, v0
	v_mul_lo_u32 v8, v3, s70
	v_mov_b32_e32 v9, v4
	s_lshl_b64 s[10:11], s[6:7], 3
	v_readlane_b32 s80, v63, 4
	v_max_i32_e32 v5, v7, v3
	v_lshlrev_b64 v[8:9], 3, v[8:9]
	v_readlane_b32 s81, v63, 5
	s_add_u32 s0, s80, s10
	v_cmp_gt_i32_e64 s[4:5], s70, v5
	v_cmp_le_i32_e64 s[6:7], s70, v5
	v_mov_b32_e32 v5, s65
	v_add_co_u32_e64 v6, s[8:9], s64, v8
	s_addc_u32 s1, s81, s11
	v_addc_co_u32_e64 v5, s[8:9], v5, v9, s[8:9]
	v_lshlrev_b32_e32 v12, 3, v7
	s_load_dwordx2 s[0:1], s[0:1], 0x0
	v_add_co_u32_e64 v34, s[8:9], v6, v12
	v_mul_lo_u32 v10, v7, s70
	v_mov_b32_e32 v11, v4
	v_addc_co_u32_e64 v35, s[8:9], 0, v5, s[8:9]
	v_lshlrev_b64 v[10:11], 3, v[10:11]
	v_mov_b32_e32 v5, s37
	v_add_co_u32_e64 v6, s[8:9], s36, v10
	v_lshlrev_b32_e32 v3, 3, v3
	v_addc_co_u32_e64 v13, s[8:9], v5, v11, s[8:9]
	v_add_co_u32_e64 v6, s[8:9], v6, v3
	s_waitcnt lgkmcnt(0)
	s_sub_u32 s30, s0, s42
	v_addc_co_u32_e64 v13, s[8:9], 0, v13, s[8:9]
	s_subb_u32 s31, s1, 0
	v_add_co_u32_e64 v14, s[8:9], s36, v8
	s_cmp_eq_u32 s68, 0
	v_addc_co_u32_e64 v5, s[8:9], v5, v9, s[8:9]
	v_add_co_u32_e64 v14, s[8:9], v14, v12
	s_cselect_b64 s[28:29], -1, 0
	s_cmp_lg_u32 s68, 0
	v_addc_co_u32_e64 v5, s[8:9], 0, v5, s[8:9]
	s_cselect_b64 s[36:37], -1, 0
	s_cmp_gt_i32 s70, 0
	s_cselect_b64 s[60:61], -1, 0
	s_add_u32 s8, s58, s10
	s_addc_u32 s9, s59, s11
	v_readlane_b32 s77, v63, 1
	v_readlane_b32 s78, v63, 2
	;; [unrolled: 1-line block ×5, first 2 shown]
	v_writelane_b32 v63, s8, 10
	v_lshrrev_b32_e32 v2, 2, v0
	v_writelane_b32 v63, s9, 11
	s_mov_b32 s8, s43
	v_writelane_b32 v63, s8, 12
	v_subrev_co_u32_e64 v37, s[8:9], s43, v2
	v_subb_co_u32_e64 v38, s[8:9], 0, 0, s[8:9]
	v_mov_b32_e32 v15, s79
	v_add_co_u32_e64 v16, s[8:9], s78, v10
	v_addc_co_u32_e64 v17, s[8:9], v15, v11, s[8:9]
	v_add_co_u32_e64 v16, s[8:9], v16, v3
	v_addc_co_u32_e64 v17, s[8:9], 0, v17, s[8:9]
	;; [unrolled: 2-line block ×3, first 2 shown]
	v_add_co_u32_e64 v8, s[8:9], v8, v12
	v_and_b32_e32 v1, 3, v0
	v_addc_co_u32_e64 v9, s[8:9], 0, v9, s[8:9]
	v_cmp_eq_u32_e64 s[8:9], 3, v1
	v_lshlrev_b32_e32 v1, 2, v0
	s_movk_i32 s50, 0x2000
	v_or_b32_e32 v39, 0x2800, v1
	v_add_u32_e32 v41, 0x27f8, v1
	v_add_u32_e32 v42, 0x27f0, v1
	;; [unrolled: 1-line block ×7, first 2 shown]
	v_cndmask_b32_e64 v1, v13, v5, s[28:29]
	v_cndmask_b32_e64 v13, v16, v8, s[28:29]
	v_lshlrev_b32_e32 v8, 5, v2
	s_and_b64 s[46:47], s[12:13], vcc
	v_or3_b32 v49, v8, v3, s50
	v_mov_b32_e32 v3, s55
	v_add_co_u32_e32 v8, vcc, s54, v10
	v_cndmask_b32_e64 v5, v17, v9, s[28:29]
	v_addc_co_u32_e32 v9, vcc, v11, v3, vcc
	v_add_co_u32_e32 v8, vcc, 4, v8
	v_addc_co_u32_e32 v9, vcc, 0, v9, vcc
	v_add_co_u32_e32 v10, vcc, s54, v12
	;; [unrolled: 2-line block ×3, first 2 shown]
	v_addc_co_u32_e32 v11, vcc, 0, v3, vcc
	s_movk_i32 s0, 0x100
	v_lshlrev_b32_e32 v32, 3, v0
	s_movk_i32 s26, 0x7f
	s_add_u32 s68, s66, 8
	v_add_co_u32_e32 v12, vcc, 4, v13
	s_mov_b32 s49, 0
	v_cmp_gt_u32_e64 s[0:1], s0, v0
	v_cmp_eq_u32_e64 s[2:3], 0, v0
	v_and_b32_e32 v36, 2, v0
	v_add_co_u32_e64 v15, s[10:11], -1, v0
	v_cmp_ne_u32_e64 s[12:13], 0, v0
	v_cmp_lt_u32_e64 s[14:15], 1, v0
	v_cmp_lt_u32_e64 s[16:17], 3, v0
	;; [unrolled: 1-line block ×7, first 2 shown]
	s_addc_u32 s45, s67, 0
	v_or_b32_e32 v48, 0xffffff00, v0
	v_addc_co_u32_e32 v13, vcc, 0, v5, vcc
	v_and_b32_e32 v3, 0x7f0, v32
	v_and_b32_e32 v0, 0xfc, v0
	s_mul_i32 s48, s70, s70
	v_mov_b32_e32 v18, 0x2800
	s_add_u32 s56, s82, -4
	s_mov_b32 s71, s49
	v_add_co_u32_e32 v50, vcc, 64, v37
	v_or_b32_e32 v52, 0x2000, v3
	v_or3_b32 v3, v0, v36, v7
	v_or_b32_e32 v33, 0x2000, v32
	s_mov_b32 s95, s41
	s_mov_b32 s44, s49
	v_lshl_add_u32 v40, v15, 2, v18
	v_cndmask_b32_e64 v6, v6, v14, s[28:29]
	s_addc_u32 s57, s83, -1
	s_lshl_b64 s[50:51], s[48:49], 3
	v_addc_co_u32_e32 v51, vcc, 0, v38, vcc
	s_lshl_b64 s[54:55], s[70:71], 3
	v_pk_mov_b32 v[14:15], s[30:31], s[30:31] op_sel:[0,1]
	s_lshl_b64 s[64:65], s[48:49], 9
	v_lshlrev_b32_e32 v53, 3, v3
	v_or_b32_e32 v54, 0x2800, v0
	v_mov_b32_e32 v0, 0x100
	s_movk_i32 s71, 0x2ff
	v_mov_b32_e32 v55, 1
	s_movk_i32 s58, 0xbf
	v_mov_b32_e32 v5, v4
	s_branch .LBB214_20
.LBB214_19:                             ;   in Loop: Header=BB214_20 Depth=1
	s_or_b64 exec, exec, s[28:29]
	s_barrier
	ds_read_b32 v3, v4 offset:11264
	v_ashrrev_i32_e32 v0, 31, v16
	v_add_co_u32_e32 v14, vcc, v14, v16
	v_addc_co_u32_e32 v15, vcc, v15, v0, vcc
	s_waitcnt lgkmcnt(0)
	v_cmp_le_i32_e32 vcc, s69, v3
	v_readfirstlane_b32 s49, v3
	v_add_u32_e32 v0, 0x100, v3
	s_barrier
	s_cbranch_vccnz .LBB214_105
.LBB214_20:                             ; =>This Loop Header: Depth=1
                                        ;     Child Loop BB214_23 Depth 2
                                        ;     Child Loop BB214_29 Depth 2
                                        ;       Child Loop BB214_43 Depth 3
                                        ;         Child Loop BB214_52 Depth 4
                                        ;         Child Loop BB214_57 Depth 4
                                        ;     Child Loop BB214_68 Depth 2
                                        ;     Child Loop BB214_77 Depth 2
	;; [unrolled: 1-line block ×3, first 2 shown]
	s_and_saveexec_b64 s[28:29], s[0:1]
	s_cbranch_execz .LBB214_22
; %bb.21:                               ;   in Loop: Header=BB214_20 Depth=1
	ds_write_b32 v39, v4
.LBB214_22:                             ;   in Loop: Header=BB214_20 Depth=1
	s_or_b64 exec, exec, s[28:29]
	s_mov_b64 s[28:29], 0
	v_mov_b32_e32 v3, v32
	v_mov_b32_e32 v16, v48
.LBB214_23:                             ;   Parent Loop BB214_20 Depth=1
                                        ; =>  This Inner Loop Header: Depth=2
	v_add_u32_e32 v16, 0x100, v16
	v_cmp_lt_u32_e32 vcc, s71, v16
	ds_write_b64 v3, v[4:5]
	s_or_b64 s[28:29], vcc, s[28:29]
	v_add_u32_e32 v3, 0x800, v3
	s_andn2_b64 exec, exec, s[28:29]
	s_cbranch_execnz .LBB214_23
; %bb.24:                               ;   in Loop: Header=BB214_20 Depth=1
	s_or_b64 exec, exec, s[28:29]
	s_and_saveexec_b64 s[28:29], s[2:3]
	s_cbranch_execz .LBB214_26
; %bb.25:                               ;   in Loop: Header=BB214_20 Depth=1
	v_mov_b32_e32 v3, s69
	ds_write_b32 v4, v3 offset:11264
.LBB214_26:                             ;   in Loop: Header=BB214_20 Depth=1
	s_or_b64 exec, exec, s[28:29]
	s_andn2_b64 vcc, exec, s[46:47]
	v_mov_b32_e32 v3, s69
	s_waitcnt lgkmcnt(0)
	s_barrier
	s_cbranch_vccnz .LBB214_63
; %bb.27:                               ;   in Loop: Header=BB214_20 Depth=1
	s_cmp_lg_u32 s49, 0
	v_readlane_b32 s78, v63, 8
	s_cselect_b64 s[76:77], -1, 0
	v_mov_b32_e32 v3, s69
	v_readlane_b32 s79, v63, 9
	s_branch .LBB214_29
.LBB214_28:                             ;   in Loop: Header=BB214_29 Depth=2
	s_or_b64 exec, exec, s[30:31]
	s_add_u32 s78, s78, 64
	s_addc_u32 s79, s79, 0
	v_pk_mov_b32 v[16:17], s[74:75], s[74:75] op_sel:[0,1]
	v_cmp_lt_i64_e32 vcc, s[78:79], v[16:17]
	s_cbranch_vccz .LBB214_63
.LBB214_29:                             ;   Parent Loop BB214_20 Depth=1
                                        ; =>  This Loop Header: Depth=2
                                        ;       Child Loop BB214_43 Depth 3
                                        ;         Child Loop BB214_52 Depth 4
                                        ;         Child Loop BB214_57 Depth 4
	v_mov_b32_e32 v17, s79
	v_add_co_u32_e32 v16, vcc, s78, v2
	v_addc_co_u32_e32 v17, vcc, 0, v17, vcc
	v_cmp_gt_i64_e64 s[28:29], s[74:75], v[16:17]
	s_barrier
	s_and_saveexec_b64 s[30:31], s[28:29]
	s_cbranch_execz .LBB214_34
; %bb.30:                               ;   in Loop: Header=BB214_29 Depth=2
	s_and_saveexec_b64 s[80:81], s[6:7]
	s_xor_b64 s[80:81], exec, s[80:81]
	s_cbranch_execz .LBB214_32
; %bb.31:                               ;   in Loop: Header=BB214_29 Depth=2
	ds_write_b64 v33, v[4:5]
.LBB214_32:                             ;   in Loop: Header=BB214_29 Depth=2
	s_andn2_saveexec_b64 s[80:81], s[80:81]
	s_cbranch_execz .LBB214_34
; %bb.33:                               ;   in Loop: Header=BB214_29 Depth=2
	v_mad_u64_u32 v[18:19], s[80:81], v16, s48, 0
	v_mov_b32_e32 v20, v19
	v_mad_u64_u32 v[20:21], s[80:81], v17, s48, v[20:21]
	v_mov_b32_e32 v19, v20
	v_lshlrev_b64 v[18:19], 3, v[18:19]
	v_add_co_u32_e32 v18, vcc, v34, v18
	v_addc_co_u32_e32 v19, vcc, v35, v19, vcc
	global_load_dwordx2 v[18:19], v[18:19], off
	s_waitcnt vmcnt(0)
	ds_write_b64 v33, v[18:19]
.LBB214_34:                             ;   in Loop: Header=BB214_29 Depth=2
	s_or_b64 exec, exec, s[30:31]
	v_pk_mov_b32 v[18:19], 0, 0
	s_waitcnt lgkmcnt(0)
	s_barrier
	s_and_saveexec_b64 s[80:81], s[28:29]
	s_cbranch_execz .LBB214_60
; %bb.35:                               ;   in Loop: Header=BB214_29 Depth=2
	v_lshlrev_b64 v[18:19], 2, v[16:17]
	v_mov_b32_e32 v20, s63
	v_add_co_u32_e32 v18, vcc, s62, v18
	v_addc_co_u32_e32 v19, vcc, v20, v19, vcc
	global_load_dword v18, v[18:19], off
	s_and_b64 vcc, exec, s[76:77]
	s_waitcnt vmcnt(0)
	v_subrev_u32_e32 v20, s40, v18
	v_ashrrev_i32_e32 v21, 31, v20
	s_cbranch_vccz .LBB214_62
; %bb.36:                               ;   in Loop: Header=BB214_29 Depth=2
	v_lshlrev_b64 v[18:19], 3, v[16:17]
	v_mov_b32_e32 v22, s39
	v_add_co_u32_e32 v18, vcc, s38, v18
	v_addc_co_u32_e32 v19, vcc, v22, v19, vcc
	global_load_dwordx2 v[18:19], v[18:19], off
	s_cbranch_execnz .LBB214_38
.LBB214_37:                             ;   in Loop: Header=BB214_29 Depth=2
	s_waitcnt vmcnt(0)
	v_lshlrev_b64 v[18:19], 3, v[20:21]
	v_mov_b32_e32 v22, s67
	v_add_co_u32_e32 v18, vcc, s66, v18
	v_addc_co_u32_e32 v19, vcc, v22, v19, vcc
	global_load_dwordx2 v[18:19], v[18:19], off
	v_mov_b32_e32 v22, s44
	s_waitcnt vmcnt(0)
	v_subrev_co_u32_e32 v18, vcc, s95, v18
	v_subb_co_u32_e32 v19, vcc, v19, v22, vcc
.LBB214_38:                             ;   in Loop: Header=BB214_29 Depth=2
	v_lshlrev_b64 v[20:21], 3, v[20:21]
	v_mov_b32_e32 v22, s45
	v_add_co_u32_e32 v20, vcc, s68, v20
	v_addc_co_u32_e32 v21, vcc, v22, v21, vcc
	global_load_dwordx2 v[20:21], v[20:21], off
	v_mov_b32_e32 v22, s44
	s_waitcnt vmcnt(0)
	v_subrev_co_u32_e32 v20, vcc, s95, v20
	v_subb_co_u32_e32 v21, vcc, v21, v22, vcc
	v_cmp_lt_i64_e32 vcc, v[18:19], v[20:21]
	s_and_saveexec_b64 s[82:83], vcc
	s_cbranch_execz .LBB214_59
; %bb.39:                               ;   in Loop: Header=BB214_29 Depth=2
	v_mad_u64_u32 v[22:23], s[30:31], s50, v18, v[8:9]
	v_mul_lo_u32 v26, s50, v19
	v_mul_lo_u32 v27, s51, v18
	v_mad_u64_u32 v[24:25], s[30:31], s50, v18, v[10:11]
	v_add3_u32 v23, v27, v23, v26
	v_add3_u32 v25, v27, v25, v26
	s_mov_b64 s[84:85], 0
	v_pk_mov_b32 v[26:27], v[18:19], v[18:19] op_sel:[0,1]
	s_branch .LBB214_43
.LBB214_40:                             ;   in Loop: Header=BB214_43 Depth=3
	v_or3_b32 v30, v56, v36, v7
	v_mul_f32_e64 v31, v29, -s35
	v_lshlrev_b32_e32 v30, 3, v30
	v_fmac_f32_e32 v31, s33, v28
	v_mul_f32_e32 v29, s33, v29
	v_fmac_f32_e32 v29, s35, v28
	ds_add_f32 v30, v31
	ds_add_f32 v30, v29 offset:4
.LBB214_41:                             ;   in Loop: Header=BB214_43 Depth=3
	s_or_b64 exec, exec, s[90:91]
	s_or_b64 s[86:87], s[86:87], exec
.LBB214_42:                             ;   in Loop: Header=BB214_43 Depth=3
	s_or_b64 exec, exec, s[88:89]
	v_add_co_u32_e32 v26, vcc, 1, v26
	v_addc_co_u32_e32 v27, vcc, 0, v27, vcc
	v_cmp_ge_i64_e32 vcc, v[26:27], v[20:21]
	s_xor_b64 s[30:31], s[86:87], -1
	s_or_b64 s[30:31], s[30:31], vcc
	v_mov_b32_e32 v28, s51
	v_add_co_u32_e32 v22, vcc, s50, v22
	v_addc_co_u32_e32 v23, vcc, v23, v28, vcc
	s_and_b64 s[30:31], exec, s[30:31]
	v_add_co_u32_e32 v24, vcc, s50, v24
	s_or_b64 s[84:85], s[30:31], s[84:85]
	v_addc_co_u32_e32 v25, vcc, v25, v28, vcc
	s_andn2_b64 exec, exec, s[84:85]
	s_cbranch_execz .LBB214_58
.LBB214_43:                             ;   Parent Loop BB214_20 Depth=1
                                        ;     Parent Loop BB214_29 Depth=2
                                        ; =>    This Loop Header: Depth=3
                                        ;         Child Loop BB214_52 Depth 4
                                        ;         Child Loop BB214_57 Depth 4
	v_lshlrev_b64 v[28:29], 2, v[26:27]
	v_mov_b32_e32 v30, s53
	v_add_co_u32_e32 v28, vcc, s52, v28
	v_addc_co_u32_e32 v29, vcc, v30, v29, vcc
	global_load_dword v28, v[28:29], off
                                        ; implicit-def: $sgpr86_sgpr87
	s_waitcnt vmcnt(0)
	v_subrev_u32_e32 v28, s41, v28
	v_cmp_gt_i32_e64 s[30:31], s49, v28
	v_cmp_ge_i32_e32 vcc, v28, v0
	s_or_b64 s[30:31], s[30:31], vcc
	s_and_saveexec_b64 s[88:89], s[30:31]
	s_xor_b64 s[30:31], exec, s[88:89]
	s_cbranch_execz .LBB214_47
; %bb.44:                               ;   in Loop: Header=BB214_43 Depth=3
	s_mov_b64 s[86:87], -1
	s_and_saveexec_b64 s[88:89], vcc
; %bb.45:                               ;   in Loop: Header=BB214_43 Depth=3
	v_min_i32_e32 v3, v28, v3
	s_xor_b64 s[86:87], exec, -1
	v_pk_mov_b32 v[18:19], v[26:27], v[26:27] op_sel:[0,1]
; %bb.46:                               ;   in Loop: Header=BB214_43 Depth=3
	s_or_b64 exec, exec, s[88:89]
	s_and_b64 s[86:87], s[86:87], exec
                                        ; implicit-def: $vgpr28
.LBB214_47:                             ;   in Loop: Header=BB214_43 Depth=3
	s_andn2_saveexec_b64 s[88:89], s[30:31]
	s_cbranch_execz .LBB214_42
; %bb.48:                               ;   in Loop: Header=BB214_43 Depth=3
	v_subrev_u32_e32 v28, s49, v28
	v_lshlrev_b32_e32 v56, 2, v28
	ds_write_b32 v56, v55 offset:10240
	s_and_saveexec_b64 s[90:91], s[4:5]
	s_cbranch_execz .LBB214_41
; %bb.49:                               ;   in Loop: Header=BB214_43 Depth=3
	v_cndmask_b32_e64 v28, 0, 1, s[60:61]
	s_andn2_b64 vcc, exec, s[36:37]
	v_cmp_ne_u32_e64 s[30:31], 1, v28
	s_cbranch_vccnz .LBB214_54
; %bb.50:                               ;   in Loop: Header=BB214_43 Depth=3
	v_mov_b32_e32 v29, 0
	s_and_b64 vcc, exec, s[30:31]
	v_mov_b32_e32 v28, v29
	s_cbranch_vccnz .LBB214_53
; %bb.51:                               ;   in Loop: Header=BB214_43 Depth=3
	v_mov_b32_e32 v28, 0
	v_pk_mov_b32 v[30:31], v[22:23], v[22:23] op_sel:[0,1]
	s_mov_b32 s59, s70
	v_mov_b32_e32 v57, v49
	v_mov_b32_e32 v29, v28
.LBB214_52:                             ;   Parent Loop BB214_20 Depth=1
                                        ;     Parent Loop BB214_29 Depth=2
                                        ;       Parent Loop BB214_43 Depth=3
                                        ; =>      This Inner Loop Header: Depth=4
	global_load_dwordx2 v[58:59], v[30:31], off offset:-4
	ds_read_b64 v[60:61], v57
	s_add_i32 s59, s59, -1
	v_add_co_u32_e32 v30, vcc, 8, v30
	v_add_u32_e32 v57, 16, v57
	v_addc_co_u32_e32 v31, vcc, 0, v31, vcc
	s_cmp_lg_u32 s59, 0
	s_waitcnt vmcnt(0) lgkmcnt(0)
	v_pk_fma_f32 v[28:29], v[60:61], v[58:59], v[28:29] op_sel_hi:[1,0,1]
	v_pk_fma_f32 v[28:29], v[60:61], v[58:59], v[28:29] op_sel:[1,1,0] op_sel_hi:[0,1,1] neg_lo:[1,0,0]
	s_cbranch_scc1 .LBB214_52
.LBB214_53:                             ;   in Loop: Header=BB214_43 Depth=3
	s_cbranch_execnz .LBB214_40
	s_branch .LBB214_55
.LBB214_54:                             ;   in Loop: Header=BB214_43 Depth=3
                                        ; implicit-def: $vgpr29
.LBB214_55:                             ;   in Loop: Header=BB214_43 Depth=3
	v_mov_b32_e32 v29, 0
	s_and_b64 vcc, exec, s[30:31]
	v_mov_b32_e32 v28, v29
	s_cbranch_vccnz .LBB214_40
; %bb.56:                               ;   in Loop: Header=BB214_43 Depth=3
	v_mov_b32_e32 v28, 0
	v_mov_b32_e32 v57, v52
	v_pk_mov_b32 v[30:31], v[24:25], v[24:25] op_sel:[0,1]
	s_mov_b32 s30, s70
	v_mov_b32_e32 v29, v28
.LBB214_57:                             ;   Parent Loop BB214_20 Depth=1
                                        ;     Parent Loop BB214_29 Depth=2
                                        ;       Parent Loop BB214_43 Depth=3
                                        ; =>      This Inner Loop Header: Depth=4
	global_load_dwordx2 v[58:59], v[30:31], off offset:-4
	ds_read_b64 v[60:61], v57
	s_add_i32 s30, s30, -1
	v_mov_b32_e32 v62, s55
	v_add_co_u32_e32 v30, vcc, s54, v30
	v_add_u32_e32 v57, 8, v57
	v_addc_co_u32_e32 v31, vcc, v31, v62, vcc
	s_cmp_eq_u32 s30, 0
	s_waitcnt vmcnt(0) lgkmcnt(0)
	v_pk_fma_f32 v[28:29], v[60:61], v[58:59], v[28:29] op_sel_hi:[1,0,1]
	v_pk_fma_f32 v[28:29], v[60:61], v[58:59], v[28:29] op_sel:[1,1,0] op_sel_hi:[0,1,1] neg_lo:[1,0,0]
	s_cbranch_scc0 .LBB214_57
	s_branch .LBB214_40
.LBB214_58:                             ;   in Loop: Header=BB214_29 Depth=2
	s_or_b64 exec, exec, s[84:85]
.LBB214_59:                             ;   in Loop: Header=BB214_29 Depth=2
	s_or_b64 exec, exec, s[82:83]
.LBB214_60:                             ;   in Loop: Header=BB214_29 Depth=2
	s_or_b64 exec, exec, s[80:81]
	s_waitcnt lgkmcnt(0)
	s_barrier
	s_and_saveexec_b64 s[30:31], s[28:29]
	s_cbranch_execz .LBB214_28
; %bb.61:                               ;   in Loop: Header=BB214_29 Depth=2
	v_lshlrev_b64 v[16:17], 3, v[16:17]
	v_mov_b32_e32 v20, s39
	v_add_co_u32_e32 v16, vcc, s38, v16
	v_addc_co_u32_e32 v17, vcc, v20, v17, vcc
	global_store_dwordx2 v[16:17], v[18:19], off
	s_branch .LBB214_28
.LBB214_62:                             ;   in Loop: Header=BB214_29 Depth=2
                                        ; implicit-def: $vgpr18_vgpr19
	s_branch .LBB214_37
.LBB214_63:                             ;   in Loop: Header=BB214_20 Depth=1
	s_andn2_b64 vcc, exec, s[72:73]
	s_cbranch_vccnz .LBB214_75
; %bb.64:                               ;   in Loop: Header=BB214_20 Depth=1
	v_readlane_b32 s28, v63, 10
	v_readlane_b32 s29, v63, 11
	s_load_dwordx4 s[28:31], s[28:29], 0x0
	v_readlane_b32 s59, v63, 12
	s_waitcnt lgkmcnt(0)
	s_sub_u32 s76, s30, s59
	v_mov_b32_e32 v16, s29
	v_add_co_u32_e32 v20, vcc, s28, v37
	s_subb_u32 s77, s31, 0
	v_addc_co_u32_e32 v21, vcc, v16, v38, vcc
	v_cmp_gt_i64_e32 vcc, s[76:77], v[20:21]
	s_and_saveexec_b64 s[78:79], vcc
	s_cbranch_execz .LBB214_74
; %bb.65:                               ;   in Loop: Header=BB214_20 Depth=1
	v_readlane_b32 s80, v63, 0
	v_lshlrev_b64 v[16:17], 2, v[20:21]
	v_readlane_b32 s81, v63, 1
	v_mov_b32_e32 v18, s81
	v_add_co_u32_e32 v16, vcc, s80, v16
	v_addc_co_u32_e32 v17, vcc, v18, v17, vcc
	v_mad_u64_u32 v[18:19], s[30:31], s50, v20, v[12:13]
	v_mul_lo_u32 v21, s50, v21
	v_mul_lo_u32 v20, s51, v20
	v_add3_u32 v19, v20, v19, v21
	v_mov_b32_e32 v21, s29
	v_add_co_u32_e32 v20, vcc, s28, v50
	v_addc_co_u32_e32 v21, vcc, v51, v21, vcc
	s_mov_b64 s[80:81], 0
	v_readlane_b32 s82, v63, 2
	v_readlane_b32 s83, v63, 3
	v_readlane_b32 s84, v63, 4
	v_readlane_b32 s85, v63, 5
	v_readlane_b32 s86, v63, 6
	v_readlane_b32 s87, v63, 7
	s_branch .LBB214_68
.LBB214_66:                             ;   in Loop: Header=BB214_68 Depth=2
	s_or_b64 exec, exec, s[82:83]
	s_or_b64 s[28:29], s[28:29], exec
.LBB214_67:                             ;   in Loop: Header=BB214_68 Depth=2
	s_or_b64 exec, exec, s[30:31]
	v_cmp_le_i64_e32 vcc, s[76:77], v[20:21]
	s_xor_b64 s[28:29], s[28:29], -1
	s_or_b64 s[28:29], s[28:29], vcc
	v_add_co_u32_e32 v16, vcc, 0x100, v16
	v_addc_co_u32_e32 v17, vcc, 0, v17, vcc
	v_mov_b32_e32 v22, s65
	v_add_co_u32_e32 v18, vcc, s64, v18
	v_addc_co_u32_e32 v19, vcc, v19, v22, vcc
	s_and_b64 s[28:29], exec, s[28:29]
	v_add_co_u32_e32 v20, vcc, 64, v20
	s_or_b64 s[80:81], s[28:29], s[80:81]
	v_addc_co_u32_e32 v21, vcc, 0, v21, vcc
	s_andn2_b64 exec, exec, s[80:81]
	s_cbranch_execz .LBB214_73
.LBB214_68:                             ;   Parent Loop BB214_20 Depth=1
                                        ; =>  This Inner Loop Header: Depth=2
	global_load_dword v22, v[16:17], off
	s_waitcnt vmcnt(0)
	v_subrev_u32_e32 v22, s43, v22
	v_cmp_gt_i32_e64 s[28:29], s49, v22
	v_cmp_ge_i32_e64 s[30:31], v22, v0
	v_cmp_lt_i32_e32 vcc, v22, v0
	s_or_b64 s[30:31], s[28:29], s[30:31]
                                        ; implicit-def: $sgpr28_sgpr29
	s_and_saveexec_b64 s[82:83], s[30:31]
	s_xor_b64 s[30:31], exec, s[82:83]
; %bb.69:                               ;   in Loop: Header=BB214_68 Depth=2
	v_min_i32_e32 v22, v22, v3
	v_cndmask_b32_e32 v3, v22, v3, vcc
	s_and_b64 s[28:29], vcc, exec
                                        ; implicit-def: $vgpr22
; %bb.70:                               ;   in Loop: Header=BB214_68 Depth=2
	s_andn2_saveexec_b64 s[30:31], s[30:31]
	s_cbranch_execz .LBB214_67
; %bb.71:                               ;   in Loop: Header=BB214_68 Depth=2
	v_subrev_u32_e32 v22, s49, v22
	v_lshlrev_b32_e32 v22, 2, v22
	ds_write_b32 v22, v55 offset:10240
	s_and_saveexec_b64 s[82:83], s[4:5]
	s_cbranch_execz .LBB214_66
; %bb.72:                               ;   in Loop: Header=BB214_68 Depth=2
	global_load_dwordx2 v[24:25], v[18:19], off offset:-4
	v_or3_b32 v22, v22, v36, v7
	v_lshlrev_b32_e32 v22, 3, v22
	s_waitcnt vmcnt(0)
	v_mul_f32_e64 v23, v25, -s94
	v_mul_f32_e32 v25, s34, v25
	v_fmac_f32_e32 v23, s34, v24
	v_fmac_f32_e32 v25, s94, v24
	ds_add_f32 v22, v23
	ds_add_f32 v22, v25 offset:4
	s_branch .LBB214_66
.LBB214_73:                             ;   in Loop: Header=BB214_20 Depth=1
	s_or_b64 exec, exec, s[80:81]
.LBB214_74:                             ;   in Loop: Header=BB214_20 Depth=1
	s_or_b64 exec, exec, s[78:79]
.LBB214_75:                             ;   in Loop: Header=BB214_20 Depth=1
	s_and_saveexec_b64 s[28:29], s[8:9]
	s_cbranch_execz .LBB214_80
; %bb.76:                               ;   in Loop: Header=BB214_20 Depth=1
	s_mov_b64 s[30:31], exec
	s_brev_b32 s59, -2
.LBB214_77:                             ;   Parent Loop BB214_20 Depth=1
                                        ; =>  This Inner Loop Header: Depth=2
	s_ff1_i32_b64 s76, s[30:31]
	v_readlane_b32 s78, v3, s76
	s_lshl_b64 s[76:77], 1, s76
	s_min_i32 s59, s59, s78
	s_andn2_b64 s[30:31], s[30:31], s[76:77]
	s_cmp_lg_u64 s[30:31], 0
	s_cbranch_scc1 .LBB214_77
; %bb.78:                               ;   in Loop: Header=BB214_20 Depth=1
	v_mbcnt_lo_u32_b32 v0, exec_lo, 0
	v_mbcnt_hi_u32_b32 v0, exec_hi, v0
	v_cmp_eq_u32_e32 vcc, 0, v0
	s_and_saveexec_b64 s[30:31], vcc
	s_xor_b64 s[30:31], exec, s[30:31]
	s_cbranch_execz .LBB214_80
; %bb.79:                               ;   in Loop: Header=BB214_20 Depth=1
	v_mov_b32_e32 v0, s59
	ds_min_i32 v4, v0 offset:11264
.LBB214_80:                             ;   in Loop: Header=BB214_20 Depth=1
	s_or_b64 exec, exec, s[28:29]
	s_waitcnt lgkmcnt(0)
	s_barrier
	ds_read_b32 v0, v39
	s_waitcnt lgkmcnt(0)
	s_barrier
	s_and_saveexec_b64 s[28:29], s[12:13]
	s_cbranch_execz .LBB214_82
; %bb.81:                               ;   in Loop: Header=BB214_20 Depth=1
	ds_read_b32 v3, v40
	s_waitcnt lgkmcnt(0)
	v_add_u32_e32 v0, v3, v0
.LBB214_82:                             ;   in Loop: Header=BB214_20 Depth=1
	s_or_b64 exec, exec, s[28:29]
	s_barrier
	ds_write_b32 v39, v0
	s_waitcnt lgkmcnt(0)
	s_barrier
	s_and_saveexec_b64 s[28:29], s[14:15]
	s_cbranch_execz .LBB214_84
; %bb.83:                               ;   in Loop: Header=BB214_20 Depth=1
	ds_read_b32 v3, v41
	s_waitcnt lgkmcnt(0)
	v_add_u32_e32 v0, v3, v0
.LBB214_84:                             ;   in Loop: Header=BB214_20 Depth=1
	s_or_b64 exec, exec, s[28:29]
	s_barrier
	ds_write_b32 v39, v0
	;; [unrolled: 12-line block ×8, first 2 shown]
	s_waitcnt lgkmcnt(0)
	s_barrier
	ds_read_b32 v16, v4 offset:11260
	v_mov_b32_e32 v3, 0
	s_and_saveexec_b64 s[28:29], s[10:11]
	s_cbranch_execz .LBB214_98
; %bb.97:                               ;   in Loop: Header=BB214_20 Depth=1
	ds_read_b32 v3, v40
.LBB214_98:                             ;   in Loop: Header=BB214_20 Depth=1
	s_or_b64 exec, exec, s[28:29]
	s_waitcnt lgkmcnt(0)
	v_cmp_eq_u32_e32 vcc, v0, v3
	s_and_b64 s[30:31], s[10:11], vcc
	s_barrier
	s_and_saveexec_b64 s[28:29], s[30:31]
	s_cbranch_execz .LBB214_100
; %bb.99:                               ;   in Loop: Header=BB214_20 Depth=1
	ds_write_b32 v39, v4
.LBB214_100:                            ;   in Loop: Header=BB214_20 Depth=1
	s_or_b64 exec, exec, s[28:29]
	v_add_co_u32_e32 v17, vcc, -1, v14
	v_addc_co_u32_e32 v18, vcc, -1, v15, vcc
	s_add_i32 s49, s42, s49
	s_mov_b64 s[28:29], 0
	v_mov_b32_e32 v19, v54
	v_mov_b32_e32 v20, v53
	;; [unrolled: 1-line block ×3, first 2 shown]
	s_waitcnt lgkmcnt(0)
	s_barrier
	s_branch .LBB214_102
.LBB214_101:                            ;   in Loop: Header=BB214_102 Depth=2
	s_or_b64 exec, exec, s[30:31]
	v_add_u32_e32 v0, 64, v21
	v_cmp_lt_u32_e32 vcc, s58, v21
	v_add_u32_e32 v20, 0x800, v20
	v_add_u32_e32 v19, 0x100, v19
	s_or_b64 s[28:29], vcc, s[28:29]
	v_mov_b32_e32 v21, v0
	s_andn2_b64 exec, exec, s[28:29]
	s_cbranch_execz .LBB214_19
.LBB214_102:                            ;   Parent Loop BB214_20 Depth=1
                                        ; =>  This Inner Loop Header: Depth=2
	ds_read_b32 v0, v19
	s_waitcnt lgkmcnt(0)
	v_cmp_ne_u32_e32 vcc, 0, v0
	s_and_saveexec_b64 s[30:31], vcc
	s_cbranch_execz .LBB214_101
; %bb.103:                              ;   in Loop: Header=BB214_102 Depth=2
	v_ashrrev_i32_e32 v3, 31, v0
	v_add_co_u32_e32 v22, vcc, v14, v0
	v_addc_co_u32_e32 v23, vcc, v15, v3, vcc
	v_lshlrev_b64 v[22:23], 2, v[22:23]
	v_mov_b32_e32 v25, s57
	v_add_co_u32_e32 v22, vcc, s56, v22
	v_add_u32_e32 v24, s49, v21
	v_addc_co_u32_e32 v23, vcc, v25, v23, vcc
	global_store_dword v[22:23], v24, off
	s_and_b64 exec, exec, s[4:5]
	s_cbranch_execz .LBB214_101
; %bb.104:                              ;   in Loop: Header=BB214_102 Depth=2
	v_add_co_u32_e32 v0, vcc, v17, v0
	v_mad_u64_u32 v[22:23], s[76:77], v0, s48, 0
	v_addc_co_u32_e32 v3, vcc, v18, v3, vcc
	v_mov_b32_e32 v0, v23
	v_mad_u64_u32 v[24:25], s[76:77], v3, s48, v[0:1]
	v_mov_b32_e32 v23, v24
	ds_read_b64 v[24:25], v20
	v_lshlrev_b64 v[22:23], 3, v[22:23]
	v_add_co_u32_e32 v22, vcc, v6, v22
	v_addc_co_u32_e32 v23, vcc, v1, v23, vcc
	s_waitcnt lgkmcnt(0)
	global_store_dwordx2 v[22:23], v[24:25], off
	s_branch .LBB214_101
.LBB214_105:
	s_endpgm
	.section	.rodata,"a",@progbits
	.p2align	6, 0x0
	.amdhsa_kernel _ZN9rocsparseL38bsrgemm_block_per_row_atomic_multipassILj256ELj256ELj2Eli21rocsparse_complex_numIfEEEv20rocsparse_direction_T3_S4_PKS4_S6_NS_24const_host_device_scalarIT4_EEPKT2_S6_PKS8_SC_S6_SE_S9_SC_S6_SE_SC_PS4_PS8_PSA_21rocsparse_index_base_SI_SI_SI_bbb
		.amdhsa_group_segment_fixed_size 11268
		.amdhsa_private_segment_fixed_size 0
		.amdhsa_kernarg_size 172
		.amdhsa_user_sgpr_count 6
		.amdhsa_user_sgpr_private_segment_buffer 1
		.amdhsa_user_sgpr_dispatch_ptr 0
		.amdhsa_user_sgpr_queue_ptr 0
		.amdhsa_user_sgpr_kernarg_segment_ptr 1
		.amdhsa_user_sgpr_dispatch_id 0
		.amdhsa_user_sgpr_flat_scratch_init 0
		.amdhsa_user_sgpr_kernarg_preload_length 0
		.amdhsa_user_sgpr_kernarg_preload_offset 0
		.amdhsa_user_sgpr_private_segment_size 0
		.amdhsa_uses_dynamic_stack 0
		.amdhsa_system_sgpr_private_segment_wavefront_offset 0
		.amdhsa_system_sgpr_workgroup_id_x 1
		.amdhsa_system_sgpr_workgroup_id_y 0
		.amdhsa_system_sgpr_workgroup_id_z 0
		.amdhsa_system_sgpr_workgroup_info 0
		.amdhsa_system_vgpr_workitem_id 0
		.amdhsa_next_free_vgpr 64
		.amdhsa_next_free_sgpr 96
		.amdhsa_accum_offset 64
		.amdhsa_reserve_vcc 1
		.amdhsa_reserve_flat_scratch 0
		.amdhsa_float_round_mode_32 0
		.amdhsa_float_round_mode_16_64 0
		.amdhsa_float_denorm_mode_32 3
		.amdhsa_float_denorm_mode_16_64 3
		.amdhsa_dx10_clamp 1
		.amdhsa_ieee_mode 1
		.amdhsa_fp16_overflow 0
		.amdhsa_tg_split 0
		.amdhsa_exception_fp_ieee_invalid_op 0
		.amdhsa_exception_fp_denorm_src 0
		.amdhsa_exception_fp_ieee_div_zero 0
		.amdhsa_exception_fp_ieee_overflow 0
		.amdhsa_exception_fp_ieee_underflow 0
		.amdhsa_exception_fp_ieee_inexact 0
		.amdhsa_exception_int_div_zero 0
	.end_amdhsa_kernel
	.section	.text._ZN9rocsparseL38bsrgemm_block_per_row_atomic_multipassILj256ELj256ELj2Eli21rocsparse_complex_numIfEEEv20rocsparse_direction_T3_S4_PKS4_S6_NS_24const_host_device_scalarIT4_EEPKT2_S6_PKS8_SC_S6_SE_S9_SC_S6_SE_SC_PS4_PS8_PSA_21rocsparse_index_base_SI_SI_SI_bbb,"axG",@progbits,_ZN9rocsparseL38bsrgemm_block_per_row_atomic_multipassILj256ELj256ELj2Eli21rocsparse_complex_numIfEEEv20rocsparse_direction_T3_S4_PKS4_S6_NS_24const_host_device_scalarIT4_EEPKT2_S6_PKS8_SC_S6_SE_S9_SC_S6_SE_SC_PS4_PS8_PSA_21rocsparse_index_base_SI_SI_SI_bbb,comdat
.Lfunc_end214:
	.size	_ZN9rocsparseL38bsrgemm_block_per_row_atomic_multipassILj256ELj256ELj2Eli21rocsparse_complex_numIfEEEv20rocsparse_direction_T3_S4_PKS4_S6_NS_24const_host_device_scalarIT4_EEPKT2_S6_PKS8_SC_S6_SE_S9_SC_S6_SE_SC_PS4_PS8_PSA_21rocsparse_index_base_SI_SI_SI_bbb, .Lfunc_end214-_ZN9rocsparseL38bsrgemm_block_per_row_atomic_multipassILj256ELj256ELj2Eli21rocsparse_complex_numIfEEEv20rocsparse_direction_T3_S4_PKS4_S6_NS_24const_host_device_scalarIT4_EEPKT2_S6_PKS8_SC_S6_SE_S9_SC_S6_SE_SC_PS4_PS8_PSA_21rocsparse_index_base_SI_SI_SI_bbb
                                        ; -- End function
	.section	.AMDGPU.csdata,"",@progbits
; Kernel info:
; codeLenInByte = 3904
; NumSgprs: 100
; NumVgprs: 64
; NumAgprs: 0
; TotalNumVgprs: 64
; ScratchSize: 0
; MemoryBound: 0
; FloatMode: 240
; IeeeMode: 1
; LDSByteSize: 11268 bytes/workgroup (compile time only)
; SGPRBlocks: 12
; VGPRBlocks: 7
; NumSGPRsForWavesPerEU: 100
; NumVGPRsForWavesPerEU: 64
; AccumOffset: 64
; Occupancy: 5
; WaveLimiterHint : 1
; COMPUTE_PGM_RSRC2:SCRATCH_EN: 0
; COMPUTE_PGM_RSRC2:USER_SGPR: 6
; COMPUTE_PGM_RSRC2:TRAP_HANDLER: 0
; COMPUTE_PGM_RSRC2:TGID_X_EN: 1
; COMPUTE_PGM_RSRC2:TGID_Y_EN: 0
; COMPUTE_PGM_RSRC2:TGID_Z_EN: 0
; COMPUTE_PGM_RSRC2:TIDIG_COMP_CNT: 0
; COMPUTE_PGM_RSRC3_GFX90A:ACCUM_OFFSET: 15
; COMPUTE_PGM_RSRC3_GFX90A:TG_SPLIT: 0
	.section	.text._ZN9rocsparseL23bsrgemm_fill_wf_per_rowILj256ELj64ELj8ELj137ELj4Eli21rocsparse_complex_numIfEEEv20rocsparse_direction_T5_S4_S4_PKS4_S6_NS_24const_host_device_scalarIT6_EEPKT4_S6_PKS8_SC_S6_SE_S9_SC_S6_SE_SC_PS4_PS8_21rocsparse_index_base_SH_SH_SH_bbb,"axG",@progbits,_ZN9rocsparseL23bsrgemm_fill_wf_per_rowILj256ELj64ELj8ELj137ELj4Eli21rocsparse_complex_numIfEEEv20rocsparse_direction_T5_S4_S4_PKS4_S6_NS_24const_host_device_scalarIT6_EEPKT4_S6_PKS8_SC_S6_SE_S9_SC_S6_SE_SC_PS4_PS8_21rocsparse_index_base_SH_SH_SH_bbb,comdat
	.globl	_ZN9rocsparseL23bsrgemm_fill_wf_per_rowILj256ELj64ELj8ELj137ELj4Eli21rocsparse_complex_numIfEEEv20rocsparse_direction_T5_S4_S4_PKS4_S6_NS_24const_host_device_scalarIT6_EEPKT4_S6_PKS8_SC_S6_SE_S9_SC_S6_SE_SC_PS4_PS8_21rocsparse_index_base_SH_SH_SH_bbb ; -- Begin function _ZN9rocsparseL23bsrgemm_fill_wf_per_rowILj256ELj64ELj8ELj137ELj4Eli21rocsparse_complex_numIfEEEv20rocsparse_direction_T5_S4_S4_PKS4_S6_NS_24const_host_device_scalarIT6_EEPKT4_S6_PKS8_SC_S6_SE_S9_SC_S6_SE_SC_PS4_PS8_21rocsparse_index_base_SH_SH_SH_bbb
	.p2align	8
	.type	_ZN9rocsparseL23bsrgemm_fill_wf_per_rowILj256ELj64ELj8ELj137ELj4Eli21rocsparse_complex_numIfEEEv20rocsparse_direction_T5_S4_S4_PKS4_S6_NS_24const_host_device_scalarIT6_EEPKT4_S6_PKS8_SC_S6_SE_S9_SC_S6_SE_SC_PS4_PS8_21rocsparse_index_base_SH_SH_SH_bbb,@function
_ZN9rocsparseL23bsrgemm_fill_wf_per_rowILj256ELj64ELj8ELj137ELj4Eli21rocsparse_complex_numIfEEEv20rocsparse_direction_T5_S4_S4_PKS4_S6_NS_24const_host_device_scalarIT6_EEPKT4_S6_PKS8_SC_S6_SE_S9_SC_S6_SE_SC_PS4_PS8_21rocsparse_index_base_SH_SH_SH_bbb: ; @_ZN9rocsparseL23bsrgemm_fill_wf_per_rowILj256ELj64ELj8ELj137ELj4Eli21rocsparse_complex_numIfEEEv20rocsparse_direction_T5_S4_S4_PKS4_S6_NS_24const_host_device_scalarIT6_EEPKT4_S6_PKS8_SC_S6_SE_S9_SC_S6_SE_SC_PS4_PS8_21rocsparse_index_base_SH_SH_SH_bbb
; %bb.0:
	s_load_dwordx8 s[8:15], s[4:5], 0x68
	s_load_dwordx8 s[16:23], s[4:5], 0x48
	s_load_dword s7, s[4:5], 0xa0
	s_load_dwordx4 s[44:47], s[4:5], 0x10
	s_load_dwordx8 s[24:31], s[4:5], 0x28
	s_load_dwordx2 s[34:35], s[4:5], 0x88
	s_load_dwordx4 s[36:39], s[4:5], 0x90
	s_waitcnt lgkmcnt(0)
	s_bitcmp1_b32 s7, 0
	s_cselect_b64 s[2:3], -1, 0
	s_bitcmp1_b32 s7, 16
	s_cselect_b64 s[0:1], -1, 0
	s_xor_b64 s[0:1], s[0:1], -1
	v_cndmask_b32_e64 v1, 0, 1, s[0:1]
	s_mov_b32 s49, 0
	s_bitcmp0_b32 s7, 0
	v_cmp_ne_u32_e64 s[0:1], 1, v1
	s_mov_b32 s68, 0
	s_cbranch_scc1 .LBB215_5
; %bb.1:
	s_load_dwordx2 s[48:49], s[4:5], 0x20
	s_and_b64 vcc, exec, s[0:1]
	s_waitcnt lgkmcnt(0)
	s_mov_b32 s68, s48
	s_cbranch_vccnz .LBB215_3
; %bb.2:
	s_load_dword s68, s[48:49], 0x0
.LBB215_3:
	s_and_b64 vcc, exec, s[0:1]
	s_cbranch_vccnz .LBB215_5
; %bb.4:
	s_load_dword s49, s[48:49], 0x4
.LBB215_5:
	s_bitcmp1_b32 s7, 8
	s_cselect_b64 s[50:51], -1, 0
	s_bfe_u32 s7, s7, 0x10008
	s_mov_b32 s48, 0
	s_cmp_eq_u32 s7, 0
	s_mov_b32 s33, 0
	s_cbranch_scc1 .LBB215_11
; %bb.6:
	s_and_b64 vcc, exec, s[0:1]
	s_mov_b32 s33, s20
	s_cbranch_vccnz .LBB215_8
; %bb.7:
	s_load_dword s33, s[20:21], 0x0
.LBB215_8:
	s_and_b64 vcc, exec, s[0:1]
	s_cbranch_vccnz .LBB215_10
; %bb.9:
	s_load_dword s21, s[20:21], 0x4
.LBB215_10:
	s_waitcnt lgkmcnt(0)
	s_mov_b32 s48, s21
.LBB215_11:
	s_load_dwordx4 s[40:43], s[4:5], 0x0
	v_and_b32_e32 v1, 63, v0
	v_lshrrev_b32_e32 v31, 6, v0
	v_mov_b32_e32 v2, 0x1000
	v_lshl_or_b32 v30, v31, 5, v2
	v_cmp_gt_u32_e32 vcc, 8, v1
	s_and_saveexec_b64 s[0:1], vcc
	s_cbranch_execz .LBB215_13
; %bb.12:
	v_lshl_add_u32 v2, v1, 2, v30
	s_waitcnt lgkmcnt(0)
	v_mov_b32_e32 v3, s42
	ds_write_b32 v2, v3
.LBB215_13:
	s_or_b64 exec, exec, s[0:1]
	v_lshlrev_b32_e32 v32, 10, v31
	v_mov_b32_e32 v2, 0
	v_or_b32_e32 v4, 0xffffffc0, v1
	v_lshl_or_b32 v5, v1, 3, v32
	s_mov_b64 s[0:1], 0
	v_mov_b32_e32 v3, v2
.LBB215_14:                             ; =>This Inner Loop Header: Depth=1
	v_add_co_u32_e32 v4, vcc, 64, v4
	s_xor_b64 s[4:5], vcc, -1
	s_and_b64 s[4:5], exec, s[4:5]
	ds_write_b64 v5, v[2:3]
	s_or_b64 s[0:1], s[4:5], s[0:1]
	v_add_u32_e32 v5, 0x200, v5
	s_andn2_b64 exec, exec, s[0:1]
	s_cbranch_execnz .LBB215_14
; %bb.15:
	s_or_b64 exec, exec, s[0:1]
	v_lshl_or_b32 v2, s6, 2, v31
	s_waitcnt lgkmcnt(0)
	v_cmp_gt_i32_e32 vcc, s41, v2
	s_barrier
	s_and_saveexec_b64 s[0:1], vcc
	s_cbranch_execz .LBB215_71
; %bb.16:
	s_cmp_eq_u64 s[46:47], 0
	s_cbranch_scc1 .LBB215_18
; %bb.17:
	s_load_dword s0, s[44:45], 0x0
	v_mov_b32_e32 v4, s47
	s_waitcnt lgkmcnt(0)
	v_add_u32_e32 v2, s0, v2
	v_ashrrev_i32_e32 v3, 31, v2
	v_lshlrev_b64 v[2:3], 2, v[2:3]
	v_add_co_u32_e32 v2, vcc, s46, v2
	v_addc_co_u32_e32 v3, vcc, v4, v3, vcc
	global_load_dword v2, v[2:3], off
.LBB215_18:
	s_waitcnt vmcnt(0)
	v_ashrrev_i32_e32 v3, 31, v2
	v_lshrrev_b32_e32 v33, 4, v1
	v_and_b32_e32 v34, 3, v0
	v_bfe_u32 v35, v0, 2, 2
	s_andn2_b64 vcc, exec, s[2:3]
	s_mul_i32 s4, s43, s43
	v_lshlrev_b64 v[6:7], 3, v[2:3]
	s_cbranch_vccnz .LBB215_48
; %bb.19:
	v_mov_b32_e32 v1, s25
	v_add_co_u32_e32 v2, vcc, s24, v6
	v_addc_co_u32_e32 v3, vcc, v1, v7, vcc
	global_load_dwordx4 v[2:5], v[2:3], off
	v_subrev_co_u32_e32 v1, vcc, s36, v33
	v_subb_co_u32_e64 v11, s[0:1], 0, 0, vcc
	s_mov_b32 s41, 0
	s_waitcnt vmcnt(0)
	v_subrev_co_u32_e32 v8, vcc, s36, v4
	v_subbrev_co_u32_e32 v9, vcc, 0, v5, vcc
	v_add_co_u32_e32 v10, vcc, v2, v1
	v_addc_co_u32_e32 v11, vcc, v3, v11, vcc
	v_cmp_lt_i64_e32 vcc, v[10:11], v[8:9]
	s_and_saveexec_b64 s[6:7], vcc
	s_cbranch_execz .LBB215_47
; %bb.20:
	v_mul_lo_u32 v2, v34, s43
	v_mov_b32_e32 v3, 0
	v_mov_b32_e32 v5, v3
	v_lshlrev_b64 v[2:3], 3, v[2:3]
	v_mov_b32_e32 v16, s19
	v_add_co_u32_e32 v2, vcc, s18, v2
	v_addc_co_u32_e32 v3, vcc, v3, v16, vcc
	v_add_co_u32_e32 v12, vcc, 4, v2
	v_addc_co_u32_e32 v13, vcc, 0, v3, vcc
	v_mad_u64_u32 v[2:3], s[2:3], v10, s4, 0
	v_mov_b32_e32 v14, v3
	v_mad_u64_u32 v[14:15], s[2:3], v11, s4, v[14:15]
	v_mov_b32_e32 v3, v14
	v_lshlrev_b64 v[2:3], 3, v[2:3]
	v_lshlrev_b32_e32 v14, 3, v35
	v_add_co_u32_e32 v14, vcc, v2, v14
	v_addc_co_u32_e32 v15, vcc, 0, v3, vcc
	v_mov_b32_e32 v19, s29
	v_add_co_u32_e32 v14, vcc, s28, v14
	v_addc_co_u32_e32 v15, vcc, v19, v15, vcc
	v_lshlrev_b32_e32 v17, 3, v34
	v_add_co_u32_e32 v17, vcc, s18, v17
	v_addc_co_u32_e32 v18, vcc, 0, v16, vcc
	v_mul_lo_u32 v4, v35, s43
	v_add_co_u32_e32 v16, vcc, 4, v17
	v_addc_co_u32_e32 v17, vcc, 0, v18, vcc
	v_lshlrev_b64 v[4:5], 3, v[4:5]
	v_add_co_u32_e32 v2, vcc, v2, v4
	s_cmp_lg_u32 s40, 0
	v_addc_co_u32_e32 v3, vcc, v3, v5, vcc
	v_max_i32_e32 v1, v34, v35
	s_cselect_b64 s[20:21], -1, 0
	s_cmp_gt_i32 s43, 0
	s_mov_b32 s5, s41
	s_mov_b32 s2, s43
	;; [unrolled: 1-line block ×3, first 2 shown]
	v_add_co_u32_e32 v18, vcc, s28, v2
	s_mov_b32 s69, s37
	v_cmp_gt_i32_e64 s[0:1], s43, v1
	s_cselect_b64 s[24:25], -1, 0
	v_and_b32_e32 v1, 15, v0
	s_lshl_b64 s[44:45], s[4:5], 3
	s_lshl_b64 s[46:47], s[4:5], 5
	;; [unrolled: 1-line block ×3, first 2 shown]
	v_addc_co_u32_e32 v19, vcc, v19, v3, vcc
	s_mov_b64 s[18:19], 0
	v_mov_b32_e32 v36, s27
	v_mov_b32_e32 v37, s31
	s_branch .LBB215_22
.LBB215_21:                             ;   in Loop: Header=BB215_22 Depth=1
	s_or_b64 exec, exec, s[28:29]
	v_add_co_u32_e32 v10, vcc, 4, v10
	v_addc_co_u32_e32 v11, vcc, 0, v11, vcc
	v_mov_b32_e32 v2, s47
	v_add_co_u32_e32 v14, vcc, s46, v14
	v_addc_co_u32_e32 v15, vcc, v15, v2, vcc
	v_cmp_ge_i64_e32 vcc, v[10:11], v[8:9]
	s_or_b64 s[18:19], vcc, s[18:19]
	v_add_co_u32_e32 v18, vcc, s46, v18
	v_addc_co_u32_e32 v19, vcc, v19, v2, vcc
	s_andn2_b64 exec, exec, s[18:19]
	s_cbranch_execz .LBB215_47
.LBB215_22:                             ; =>This Loop Header: Depth=1
                                        ;     Child Loop BB215_25 Depth 2
                                        ;       Child Loop BB215_29 Depth 3
                                        ;       Child Loop BB215_34 Depth 3
	;; [unrolled: 1-line block ×3, first 2 shown]
	v_lshlrev_b64 v[2:3], 2, v[10:11]
	v_add_co_u32_e32 v2, vcc, s26, v2
	v_addc_co_u32_e32 v3, vcc, v36, v3, vcc
	global_load_dword v2, v[2:3], off
	s_waitcnt vmcnt(0)
	v_subrev_u32_e32 v2, s36, v2
	v_ashrrev_i32_e32 v3, 31, v2
	v_lshlrev_b64 v[2:3], 3, v[2:3]
	v_add_co_u32_e32 v2, vcc, s30, v2
	v_addc_co_u32_e32 v3, vcc, v37, v3, vcc
	global_load_dwordx4 v[2:5], v[2:3], off
	s_waitcnt vmcnt(0)
	v_cmp_lt_i64_e32 vcc, v[2:3], v[4:5]
	s_and_saveexec_b64 s[28:29], vcc
	s_cbranch_execz .LBB215_21
; %bb.23:                               ;   in Loop: Header=BB215_22 Depth=1
	v_mov_b32_e32 v20, s41
	v_subrev_co_u32_e32 v4, vcc, s69, v4
	v_subb_co_u32_e32 v5, vcc, v5, v20, vcc
	v_subrev_co_u32_e32 v2, vcc, s69, v2
	v_subb_co_u32_e32 v3, vcc, v3, v20, vcc
	v_mad_u64_u32 v[20:21], s[2:3], s44, v2, v[12:13]
	v_mul_lo_u32 v24, s44, v3
	v_mul_lo_u32 v25, s45, v2
	v_mad_u64_u32 v[22:23], s[2:3], s44, v2, v[16:17]
	v_add3_u32 v21, v25, v21, v24
	v_add3_u32 v23, v25, v23, v24
	s_mov_b64 s[54:55], 0
	s_branch .LBB215_25
.LBB215_24:                             ;   in Loop: Header=BB215_25 Depth=2
	s_or_b64 exec, exec, s[56:57]
	v_add_co_u32_e32 v2, vcc, 1, v2
	v_addc_co_u32_e32 v3, vcc, 0, v3, vcc
	v_mov_b32_e32 v24, s45
	v_add_co_u32_e32 v20, vcc, s44, v20
	v_addc_co_u32_e32 v21, vcc, v21, v24, vcc
	v_cmp_ge_i64_e32 vcc, v[2:3], v[4:5]
	s_or_b64 s[54:55], vcc, s[54:55]
	v_add_co_u32_e32 v22, vcc, s44, v22
	v_addc_co_u32_e32 v23, vcc, v23, v24, vcc
	s_andn2_b64 exec, exec, s[54:55]
	s_cbranch_execz .LBB215_21
.LBB215_25:                             ;   Parent Loop BB215_22 Depth=1
                                        ; =>  This Loop Header: Depth=2
                                        ;       Child Loop BB215_29 Depth 3
                                        ;       Child Loop BB215_34 Depth 3
	;; [unrolled: 1-line block ×3, first 2 shown]
	s_and_saveexec_b64 s[56:57], s[0:1]
	s_cbranch_execz .LBB215_24
; %bb.26:                               ;   in Loop: Header=BB215_25 Depth=2
	v_lshlrev_b64 v[24:25], 2, v[2:3]
	v_mov_b32_e32 v26, s17
	v_add_co_u32_e32 v24, vcc, s16, v24
	v_addc_co_u32_e32 v25, vcc, v26, v25, vcc
	global_load_dword v38, v[24:25], off
	v_cndmask_b32_e64 v24, 0, 1, s[24:25]
	s_andn2_b64 vcc, exec, s[20:21]
	v_cmp_ne_u32_e64 s[2:3], 1, v24
	s_cbranch_vccnz .LBB215_31
; %bb.27:                               ;   in Loop: Header=BB215_25 Depth=2
	v_mov_b32_e32 v25, 0
	s_and_b64 vcc, exec, s[2:3]
	v_mov_b32_e32 v24, v25
	s_cbranch_vccnz .LBB215_30
; %bb.28:                               ;   in Loop: Header=BB215_25 Depth=2
	v_mov_b32_e32 v24, 0
	v_pk_mov_b32 v[26:27], v[14:15], v[14:15] op_sel:[0,1]
	v_pk_mov_b32 v[28:29], v[20:21], v[20:21] op_sel:[0,1]
	s_mov_b32 s5, s43
	v_mov_b32_e32 v25, v24
.LBB215_29:                             ;   Parent Loop BB215_22 Depth=1
                                        ;     Parent Loop BB215_25 Depth=2
                                        ; =>    This Inner Loop Header: Depth=3
	global_load_dwordx2 v[40:41], v[28:29], off offset:-4
	global_load_dwordx2 v[42:43], v[26:27], off
	v_add_co_u32_e32 v28, vcc, 8, v28
	v_addc_co_u32_e32 v29, vcc, 0, v29, vcc
	s_add_i32 s5, s5, -1
	v_mov_b32_e32 v39, s53
	v_add_co_u32_e32 v26, vcc, s52, v26
	v_addc_co_u32_e32 v27, vcc, v27, v39, vcc
	s_cmp_lg_u32 s5, 0
	s_waitcnt vmcnt(0)
	v_pk_fma_f32 v[24:25], v[42:43], v[40:41], v[24:25] op_sel_hi:[1,0,1]
	v_pk_fma_f32 v[24:25], v[42:43], v[40:41], v[24:25] op_sel:[1,1,0] op_sel_hi:[0,1,1] neg_lo:[1,0,0]
	s_cbranch_scc1 .LBB215_29
.LBB215_30:                             ;   in Loop: Header=BB215_25 Depth=2
	s_cbranch_execz .LBB215_32
	s_branch .LBB215_35
.LBB215_31:                             ;   in Loop: Header=BB215_25 Depth=2
                                        ; implicit-def: $vgpr25
.LBB215_32:                             ;   in Loop: Header=BB215_25 Depth=2
	v_mov_b32_e32 v25, 0
	s_and_b64 vcc, exec, s[2:3]
	v_mov_b32_e32 v24, v25
	s_cbranch_vccnz .LBB215_35
; %bb.33:                               ;   in Loop: Header=BB215_25 Depth=2
	v_mov_b32_e32 v24, 0
	v_pk_mov_b32 v[26:27], v[18:19], v[18:19] op_sel:[0,1]
	v_pk_mov_b32 v[28:29], v[22:23], v[22:23] op_sel:[0,1]
	s_mov_b32 s2, s43
	v_mov_b32_e32 v25, v24
.LBB215_34:                             ;   Parent Loop BB215_22 Depth=1
                                        ;     Parent Loop BB215_25 Depth=2
                                        ; =>    This Inner Loop Header: Depth=3
	global_load_dwordx2 v[40:41], v[28:29], off offset:-4
	global_load_dwordx2 v[42:43], v[26:27], off
	v_add_co_u32_e32 v26, vcc, 8, v26
	v_addc_co_u32_e32 v27, vcc, 0, v27, vcc
	s_add_i32 s2, s2, -1
	v_mov_b32_e32 v39, s53
	v_add_co_u32_e32 v28, vcc, s52, v28
	v_addc_co_u32_e32 v29, vcc, v29, v39, vcc
	s_cmp_eq_u32 s2, 0
	s_waitcnt vmcnt(0)
	v_pk_fma_f32 v[24:25], v[42:43], v[40:41], v[24:25] op_sel_hi:[1,0,1]
	v_pk_fma_f32 v[24:25], v[42:43], v[40:41], v[24:25] op_sel:[1,1,0] op_sel_hi:[0,1,1] neg_lo:[1,0,0]
	s_cbranch_scc0 .LBB215_34
.LBB215_35:                             ;   in Loop: Header=BB215_25 Depth=2
	s_waitcnt vmcnt(0)
	v_subrev_u32_e32 v26, s37, v38
	v_mul_f32_e64 v27, v25, -s49
	v_mul_f32_e32 v25, s68, v25
	v_fmac_f32_e32 v27, s68, v24
	v_fmac_f32_e32 v25, s49, v24
	v_and_b32_e32 v24, 7, v26
	s_mov_b64 s[2:3], 0
	s_branch .LBB215_37
.LBB215_36:                             ;   in Loop: Header=BB215_37 Depth=3
	s_or_b64 exec, exec, s[58:59]
	s_xor_b64 s[58:59], s[60:61], -1
	s_and_b64 s[58:59], exec, s[58:59]
	s_or_b64 s[2:3], s[58:59], s[2:3]
	s_andn2_b64 exec, exec, s[2:3]
	s_cbranch_execz .LBB215_24
.LBB215_37:                             ;   Parent Loop BB215_22 Depth=1
                                        ;     Parent Loop BB215_25 Depth=2
                                        ; =>    This Inner Loop Header: Depth=3
	v_lshl_add_u32 v28, v24, 2, v30
	ds_read_b32 v29, v28
                                        ; implicit-def: $sgpr60_sgpr61
	s_waitcnt lgkmcnt(0)
	v_cmp_ne_u32_e32 vcc, v29, v26
	s_and_saveexec_b64 s[58:59], vcc
	s_xor_b64 s[58:59], exec, s[58:59]
	s_cbranch_execz .LBB215_45
; %bb.38:                               ;   in Loop: Header=BB215_37 Depth=3
	v_cmp_ne_u32_e32 vcc, s42, v29
                                        ; implicit-def: $sgpr60_sgpr61
	s_and_saveexec_b64 s[62:63], vcc
	s_xor_b64 s[62:63], exec, s[62:63]
; %bb.39:                               ;   in Loop: Header=BB215_37 Depth=3
	v_add_u32_e32 v24, 1, v24
	v_and_b32_e32 v24, 7, v24
	s_mov_b64 s[60:61], -1
                                        ; implicit-def: $vgpr28
; %bb.40:                               ;   in Loop: Header=BB215_37 Depth=3
	s_andn2_saveexec_b64 s[62:63], s[62:63]
	s_cbranch_execz .LBB215_44
; %bb.41:                               ;   in Loop: Header=BB215_37 Depth=3
	v_mov_b32_e32 v29, s42
	ds_cmpst_rtn_b32 v28, v28, v29, v26
	s_mov_b64 s[66:67], -1
	s_waitcnt lgkmcnt(0)
	v_cmp_eq_u32_e32 vcc, s42, v28
	s_and_saveexec_b64 s[64:65], vcc
	s_cbranch_execz .LBB215_43
; %bb.42:                               ;   in Loop: Header=BB215_37 Depth=3
	v_lshlrev_b32_e32 v28, 3, v1
	v_lshl_or_b32 v28, v24, 7, v28
	v_add_u32_e32 v28, v32, v28
	ds_add_f32 v28, v27
	ds_add_f32 v28, v25 offset:4
	s_xor_b64 s[66:67], exec, -1
.LBB215_43:                             ;   in Loop: Header=BB215_37 Depth=3
	s_or_b64 exec, exec, s[64:65]
	s_andn2_b64 s[60:61], s[60:61], exec
	s_and_b64 s[64:65], s[66:67], exec
	s_or_b64 s[60:61], s[60:61], s[64:65]
.LBB215_44:                             ;   in Loop: Header=BB215_37 Depth=3
	s_or_b64 exec, exec, s[62:63]
	s_and_b64 s[60:61], s[60:61], exec
.LBB215_45:                             ;   in Loop: Header=BB215_37 Depth=3
	s_andn2_saveexec_b64 s[58:59], s[58:59]
	s_cbranch_execz .LBB215_36
; %bb.46:                               ;   in Loop: Header=BB215_37 Depth=3
	v_lshlrev_b32_e32 v28, 3, v1
	v_lshl_or_b32 v28, v24, 7, v28
	v_add_u32_e32 v28, v32, v28
	ds_add_f32 v28, v27
	ds_add_f32 v28, v25 offset:4
	s_andn2_b64 s[60:61], s[60:61], exec
	s_branch .LBB215_36
.LBB215_47:
	s_or_b64 exec, exec, s[6:7]
.LBB215_48:
	s_andn2_b64 vcc, exec, s[50:51]
	s_waitcnt lgkmcnt(0)
	s_barrier
	s_cbranch_vccnz .LBB215_66
; %bb.49:
	v_mov_b32_e32 v1, s23
	v_add_co_u32_e32 v2, vcc, s22, v6
	v_addc_co_u32_e32 v3, vcc, v1, v7, vcc
	global_load_dwordx4 v[8:11], v[2:3], off
	v_subrev_co_u32_e32 v1, vcc, s39, v33
	v_subb_co_u32_e64 v5, s[0:1], 0, 0, vcc
	s_waitcnt vmcnt(0)
	v_subrev_co_u32_e32 v2, vcc, s39, v10
	v_subbrev_co_u32_e32 v3, vcc, 0, v11, vcc
	v_add_co_u32_e32 v4, vcc, v8, v1
	v_addc_co_u32_e32 v5, vcc, v9, v5, vcc
	v_cmp_lt_i64_e32 vcc, v[4:5], v[2:3]
	s_and_saveexec_b64 s[2:3], vcc
	s_cbranch_execz .LBB215_65
; %bb.50:
	v_mul_lo_u32 v8, v34, s43
	v_mov_b32_e32 v9, 0
	v_max_i32_e32 v1, v34, v35
	v_lshlrev_b64 v[10:11], 3, v[8:9]
	v_cmp_gt_i32_e32 vcc, s43, v1
	v_mov_b32_e32 v1, s11
	v_add_co_u32_e64 v8, s[0:1], s10, v10
	v_addc_co_u32_e64 v10, s[0:1], v1, v11, s[0:1]
	v_lshlrev_b32_e32 v11, 3, v35
	v_add_co_u32_e64 v11, s[0:1], v8, v11
	v_mul_lo_u32 v8, v35, s43
	v_addc_co_u32_e64 v10, s[0:1], 0, v10, s[0:1]
	v_lshlrev_b64 v[8:9], 3, v[8:9]
	v_add_co_u32_e64 v8, s[0:1], s10, v8
	v_addc_co_u32_e64 v1, s[0:1], v1, v9, s[0:1]
	v_lshlrev_b32_e32 v9, 3, v34
	v_add_co_u32_e64 v8, s[0:1], v8, v9
	s_cmp_eq_u32 s40, 0
	v_addc_co_u32_e64 v1, s[0:1], 0, v1, s[0:1]
	v_and_b32_e32 v9, 15, v0
	s_cselect_b64 s[0:1], -1, 0
	v_cndmask_b32_e64 v1, v10, v1, s[0:1]
	v_cndmask_b32_e64 v0, v11, v8, s[0:1]
	s_mov_b64 s[6:7], 0
	v_lshlrev_b32_e32 v8, 3, v9
	s_branch .LBB215_52
.LBB215_51:                             ;   in Loop: Header=BB215_52 Depth=1
	s_or_b64 exec, exec, s[10:11]
	v_add_co_u32_e64 v4, s[0:1], 4, v4
	v_addc_co_u32_e64 v5, s[0:1], 0, v5, s[0:1]
	v_cmp_ge_i64_e64 s[0:1], v[4:5], v[2:3]
	s_or_b64 s[6:7], s[0:1], s[6:7]
	s_andn2_b64 exec, exec, s[6:7]
	s_cbranch_execz .LBB215_65
.LBB215_52:                             ; =>This Loop Header: Depth=1
                                        ;     Child Loop BB215_55 Depth 2
	s_and_saveexec_b64 s[10:11], vcc
	s_cbranch_execz .LBB215_51
; %bb.53:                               ;   in Loop: Header=BB215_52 Depth=1
	v_lshlrev_b64 v[10:11], 2, v[4:5]
	v_mov_b32_e32 v9, s9
	v_add_co_u32_e64 v10, s[0:1], s8, v10
	v_addc_co_u32_e64 v11, s[0:1], v9, v11, s[0:1]
	global_load_dword v9, v[10:11], off
	v_mad_u64_u32 v[10:11], s[0:1], v4, s4, 0
	v_mov_b32_e32 v12, v11
	v_mad_u64_u32 v[12:13], s[0:1], v5, s4, v[12:13]
	v_mov_b32_e32 v11, v12
	v_lshlrev_b64 v[10:11], 3, v[10:11]
	v_add_co_u32_e64 v10, s[0:1], v0, v10
	v_addc_co_u32_e64 v11, s[0:1], v1, v11, s[0:1]
	global_load_dwordx2 v[14:15], v[10:11], off
	s_mov_b64 s[16:17], 0
	s_waitcnt vmcnt(1)
	v_subrev_u32_e32 v9, s39, v9
	v_and_b32_e32 v11, 7, v9
	s_waitcnt vmcnt(0)
	v_mul_f32_e64 v10, v15, -s48
	v_mul_f32_e32 v12, s33, v15
	v_fmac_f32_e32 v10, s33, v14
	v_fmac_f32_e32 v12, s48, v14
	s_branch .LBB215_55
.LBB215_54:                             ;   in Loop: Header=BB215_55 Depth=2
	s_or_b64 exec, exec, s[0:1]
	s_xor_b64 s[0:1], s[20:21], -1
	s_and_b64 s[0:1], exec, s[0:1]
	s_or_b64 s[16:17], s[0:1], s[16:17]
	s_andn2_b64 exec, exec, s[16:17]
	s_cbranch_execz .LBB215_51
.LBB215_55:                             ;   Parent Loop BB215_52 Depth=1
                                        ; =>  This Inner Loop Header: Depth=2
	v_lshl_add_u32 v13, v11, 2, v30
	ds_read_b32 v14, v13
                                        ; implicit-def: $sgpr20_sgpr21
	s_waitcnt lgkmcnt(0)
	v_cmp_ne_u32_e64 s[0:1], v14, v9
	s_and_saveexec_b64 s[18:19], s[0:1]
	s_xor_b64 s[18:19], exec, s[18:19]
	s_cbranch_execz .LBB215_63
; %bb.56:                               ;   in Loop: Header=BB215_55 Depth=2
	v_cmp_ne_u32_e64 s[0:1], s42, v14
                                        ; implicit-def: $sgpr20_sgpr21
	s_and_saveexec_b64 s[22:23], s[0:1]
	s_xor_b64 s[0:1], exec, s[22:23]
; %bb.57:                               ;   in Loop: Header=BB215_55 Depth=2
	v_add_u32_e32 v11, 1, v11
	v_and_b32_e32 v11, 7, v11
	s_mov_b64 s[20:21], -1
                                        ; implicit-def: $vgpr13
; %bb.58:                               ;   in Loop: Header=BB215_55 Depth=2
	s_andn2_saveexec_b64 s[22:23], s[0:1]
	s_cbranch_execz .LBB215_62
; %bb.59:                               ;   in Loop: Header=BB215_55 Depth=2
	v_mov_b32_e32 v14, s42
	ds_cmpst_rtn_b32 v13, v13, v14, v9
	s_mov_b64 s[26:27], -1
	s_waitcnt lgkmcnt(0)
	v_cmp_eq_u32_e64 s[0:1], s42, v13
	s_and_saveexec_b64 s[24:25], s[0:1]
	s_cbranch_execz .LBB215_61
; %bb.60:                               ;   in Loop: Header=BB215_55 Depth=2
	v_lshl_or_b32 v13, v11, 7, v8
	v_add_u32_e32 v13, v32, v13
	ds_add_f32 v13, v10
	ds_add_f32 v13, v12 offset:4
	s_xor_b64 s[26:27], exec, -1
.LBB215_61:                             ;   in Loop: Header=BB215_55 Depth=2
	s_or_b64 exec, exec, s[24:25]
	s_andn2_b64 s[0:1], s[20:21], exec
	s_and_b64 s[20:21], s[26:27], exec
	s_or_b64 s[20:21], s[0:1], s[20:21]
.LBB215_62:                             ;   in Loop: Header=BB215_55 Depth=2
	s_or_b64 exec, exec, s[22:23]
	s_and_b64 s[20:21], s[20:21], exec
.LBB215_63:                             ;   in Loop: Header=BB215_55 Depth=2
	s_andn2_saveexec_b64 s[0:1], s[18:19]
	s_cbranch_execz .LBB215_54
; %bb.64:                               ;   in Loop: Header=BB215_55 Depth=2
	v_lshl_or_b32 v13, v11, 7, v8
	v_add_u32_e32 v13, v32, v13
	ds_add_f32 v13, v10
	ds_add_f32 v13, v12 offset:4
	s_andn2_b64 s[20:21], s[20:21], exec
	s_branch .LBB215_54
.LBB215_65:
	s_or_b64 exec, exec, s[2:3]
.LBB215_66:
	v_mov_b32_e32 v1, s13
	v_add_co_u32_e32 v0, vcc, s12, v6
	v_addc_co_u32_e32 v1, vcc, v1, v7, vcc
	s_waitcnt lgkmcnt(0)
	s_barrier
	global_load_dwordx2 v[0:1], v[0:1], off
	v_mul_lo_u32 v4, v35, s43
	v_mov_b32_e32 v5, 0
	v_max_i32_e32 v3, v34, v35
	s_cmp_eq_u32 s40, 0
	v_lshlrev_b32_e32 v8, 5, v31
	v_lshlrev_b32_e32 v9, 2, v33
	s_movk_i32 s2, 0x1000
	v_lshlrev_b64 v[4:5], 3, v[4:5]
	v_mov_b32_e32 v6, s35
	v_cmp_gt_i32_e32 vcc, s43, v3
	s_cselect_b64 s[0:1], -1, 0
	v_or3_b32 v3, v8, v9, s2
	v_add_co_u32_e64 v4, s[2:3], s34, v4
	v_lshlrev_b32_e32 v7, 3, v34
	v_addc_co_u32_e64 v5, s[2:3], v6, v5, s[2:3]
	v_cndmask_b32_e64 v6, v35, v34, s[0:1]
	v_cndmask_b32_e64 v10, v34, v35, s[0:1]
	v_add_co_u32_e64 v4, s[0:1], v4, v7
	v_lshlrev_b32_e32 v6, 3, v6
	v_addc_co_u32_e64 v5, s[0:1], 0, v5, s[0:1]
	v_lshl_or_b32 v6, v33, 7, v6
	v_lshl_or_b32 v6, v10, 5, v6
	v_or_b32_e32 v2, -4, v33
	v_add_u32_e32 v6, v32, v6
	s_mov_b64 s[2:3], 0
	s_waitcnt vmcnt(0)
	v_subrev_co_u32_e64 v7, s[0:1], s38, v0
	v_subbrev_co_u32_e64 v8, s[0:1], 0, v1, s[0:1]
	s_branch .LBB215_68
.LBB215_67:                             ;   in Loop: Header=BB215_68 Depth=1
	s_or_b64 exec, exec, s[6:7]
	v_add_co_u32_e64 v2, s[0:1], 4, v2
	s_xor_b64 s[0:1], s[0:1], -1
	s_and_b64 s[0:1], exec, s[0:1]
	v_add_u32_e32 v6, 0x200, v6
	s_or_b64 s[2:3], s[0:1], s[2:3]
	v_add_u32_e32 v3, 16, v3
	s_andn2_b64 exec, exec, s[2:3]
	s_cbranch_execz .LBB215_71
.LBB215_68:                             ; =>This Inner Loop Header: Depth=1
	ds_read_b32 v9, v3
	s_waitcnt lgkmcnt(0)
	v_cmp_gt_i32_e64 s[0:1], s42, v9
	s_and_saveexec_b64 s[6:7], s[0:1]
	s_cbranch_execz .LBB215_67
; %bb.69:                               ;   in Loop: Header=BB215_68 Depth=1
	ds_read_b128 v[10:13], v30
	ds_read_b128 v[14:17], v30 offset:16
	s_waitcnt lgkmcnt(1)
	v_cmp_gt_i32_e64 s[0:1], v9, v10
	v_cndmask_b32_e64 v0, 0, 1, s[0:1]
	v_add_co_u32_e64 v0, s[0:1], v7, v0
	v_addc_co_u32_e64 v1, s[0:1], 0, v8, s[0:1]
	v_cmp_gt_i32_e64 s[0:1], v9, v11
	v_cndmask_b32_e64 v10, 0, 1, s[0:1]
	v_add_co_u32_e64 v0, s[0:1], v0, v10
	v_addc_co_u32_e64 v1, s[0:1], 0, v1, s[0:1]
	;; [unrolled: 4-line block ×4, first 2 shown]
	s_waitcnt lgkmcnt(0)
	v_cmp_gt_i32_e64 s[0:1], v9, v14
	v_cndmask_b32_e64 v10, 0, 1, s[0:1]
	v_add_co_u32_e64 v0, s[0:1], v0, v10
	v_addc_co_u32_e64 v1, s[0:1], 0, v1, s[0:1]
	v_cmp_gt_i32_e64 s[0:1], v9, v15
	v_cndmask_b32_e64 v10, 0, 1, s[0:1]
	v_add_co_u32_e64 v0, s[0:1], v0, v10
	v_addc_co_u32_e64 v1, s[0:1], 0, v1, s[0:1]
	v_cmp_gt_i32_e64 s[0:1], v9, v16
	v_cndmask_b32_e64 v10, 0, 1, s[0:1]
	v_add_co_u32_e64 v0, s[0:1], v0, v10
	v_addc_co_u32_e64 v1, s[0:1], 0, v1, s[0:1]
	v_cmp_gt_i32_e64 s[0:1], v9, v17
	v_cndmask_b32_e64 v10, 0, 1, s[0:1]
	v_add_co_u32_e64 v0, s[0:1], v0, v10
	v_addc_co_u32_e64 v1, s[0:1], 0, v1, s[0:1]
	v_lshlrev_b64 v[10:11], 2, v[0:1]
	v_mov_b32_e32 v12, s15
	v_add_co_u32_e64 v10, s[0:1], s14, v10
	v_add_u32_e32 v9, s38, v9
	v_addc_co_u32_e64 v11, s[0:1], v12, v11, s[0:1]
	global_store_dword v[10:11], v9, off
	s_and_b64 exec, exec, vcc
	s_cbranch_execz .LBB215_67
; %bb.70:                               ;   in Loop: Header=BB215_68 Depth=1
	v_mad_u64_u32 v[10:11], s[0:1], v0, s4, 0
	v_mov_b32_e32 v0, v11
	v_mad_u64_u32 v[0:1], s[0:1], v1, s4, v[0:1]
	v_mov_b32_e32 v11, v0
	v_lshlrev_b64 v[0:1], 3, v[10:11]
	ds_read_b64 v[10:11], v6
	v_add_co_u32_e64 v0, s[0:1], v4, v0
	v_addc_co_u32_e64 v1, s[0:1], v5, v1, s[0:1]
	s_waitcnt lgkmcnt(0)
	global_store_dwordx2 v[0:1], v[10:11], off
	s_branch .LBB215_67
.LBB215_71:
	s_endpgm
	.section	.rodata,"a",@progbits
	.p2align	6, 0x0
	.amdhsa_kernel _ZN9rocsparseL23bsrgemm_fill_wf_per_rowILj256ELj64ELj8ELj137ELj4Eli21rocsparse_complex_numIfEEEv20rocsparse_direction_T5_S4_S4_PKS4_S6_NS_24const_host_device_scalarIT6_EEPKT4_S6_PKS8_SC_S6_SE_S9_SC_S6_SE_SC_PS4_PS8_21rocsparse_index_base_SH_SH_SH_bbb
		.amdhsa_group_segment_fixed_size 4224
		.amdhsa_private_segment_fixed_size 0
		.amdhsa_kernarg_size 164
		.amdhsa_user_sgpr_count 6
		.amdhsa_user_sgpr_private_segment_buffer 1
		.amdhsa_user_sgpr_dispatch_ptr 0
		.amdhsa_user_sgpr_queue_ptr 0
		.amdhsa_user_sgpr_kernarg_segment_ptr 1
		.amdhsa_user_sgpr_dispatch_id 0
		.amdhsa_user_sgpr_flat_scratch_init 0
		.amdhsa_user_sgpr_kernarg_preload_length 0
		.amdhsa_user_sgpr_kernarg_preload_offset 0
		.amdhsa_user_sgpr_private_segment_size 0
		.amdhsa_uses_dynamic_stack 0
		.amdhsa_system_sgpr_private_segment_wavefront_offset 0
		.amdhsa_system_sgpr_workgroup_id_x 1
		.amdhsa_system_sgpr_workgroup_id_y 0
		.amdhsa_system_sgpr_workgroup_id_z 0
		.amdhsa_system_sgpr_workgroup_info 0
		.amdhsa_system_vgpr_workitem_id 0
		.amdhsa_next_free_vgpr 44
		.amdhsa_next_free_sgpr 70
		.amdhsa_accum_offset 44
		.amdhsa_reserve_vcc 1
		.amdhsa_reserve_flat_scratch 0
		.amdhsa_float_round_mode_32 0
		.amdhsa_float_round_mode_16_64 0
		.amdhsa_float_denorm_mode_32 3
		.amdhsa_float_denorm_mode_16_64 3
		.amdhsa_dx10_clamp 1
		.amdhsa_ieee_mode 1
		.amdhsa_fp16_overflow 0
		.amdhsa_tg_split 0
		.amdhsa_exception_fp_ieee_invalid_op 0
		.amdhsa_exception_fp_denorm_src 0
		.amdhsa_exception_fp_ieee_div_zero 0
		.amdhsa_exception_fp_ieee_overflow 0
		.amdhsa_exception_fp_ieee_underflow 0
		.amdhsa_exception_fp_ieee_inexact 0
		.amdhsa_exception_int_div_zero 0
	.end_amdhsa_kernel
	.section	.text._ZN9rocsparseL23bsrgemm_fill_wf_per_rowILj256ELj64ELj8ELj137ELj4Eli21rocsparse_complex_numIfEEEv20rocsparse_direction_T5_S4_S4_PKS4_S6_NS_24const_host_device_scalarIT6_EEPKT4_S6_PKS8_SC_S6_SE_S9_SC_S6_SE_SC_PS4_PS8_21rocsparse_index_base_SH_SH_SH_bbb,"axG",@progbits,_ZN9rocsparseL23bsrgemm_fill_wf_per_rowILj256ELj64ELj8ELj137ELj4Eli21rocsparse_complex_numIfEEEv20rocsparse_direction_T5_S4_S4_PKS4_S6_NS_24const_host_device_scalarIT6_EEPKT4_S6_PKS8_SC_S6_SE_S9_SC_S6_SE_SC_PS4_PS8_21rocsparse_index_base_SH_SH_SH_bbb,comdat
.Lfunc_end215:
	.size	_ZN9rocsparseL23bsrgemm_fill_wf_per_rowILj256ELj64ELj8ELj137ELj4Eli21rocsparse_complex_numIfEEEv20rocsparse_direction_T5_S4_S4_PKS4_S6_NS_24const_host_device_scalarIT6_EEPKT4_S6_PKS8_SC_S6_SE_S9_SC_S6_SE_SC_PS4_PS8_21rocsparse_index_base_SH_SH_SH_bbb, .Lfunc_end215-_ZN9rocsparseL23bsrgemm_fill_wf_per_rowILj256ELj64ELj8ELj137ELj4Eli21rocsparse_complex_numIfEEEv20rocsparse_direction_T5_S4_S4_PKS4_S6_NS_24const_host_device_scalarIT6_EEPKT4_S6_PKS8_SC_S6_SE_S9_SC_S6_SE_SC_PS4_PS8_21rocsparse_index_base_SH_SH_SH_bbb
                                        ; -- End function
	.section	.AMDGPU.csdata,"",@progbits
; Kernel info:
; codeLenInByte = 2960
; NumSgprs: 74
; NumVgprs: 44
; NumAgprs: 0
; TotalNumVgprs: 44
; ScratchSize: 0
; MemoryBound: 0
; FloatMode: 240
; IeeeMode: 1
; LDSByteSize: 4224 bytes/workgroup (compile time only)
; SGPRBlocks: 9
; VGPRBlocks: 5
; NumSGPRsForWavesPerEU: 74
; NumVGPRsForWavesPerEU: 44
; AccumOffset: 44
; Occupancy: 8
; WaveLimiterHint : 1
; COMPUTE_PGM_RSRC2:SCRATCH_EN: 0
; COMPUTE_PGM_RSRC2:USER_SGPR: 6
; COMPUTE_PGM_RSRC2:TRAP_HANDLER: 0
; COMPUTE_PGM_RSRC2:TGID_X_EN: 1
; COMPUTE_PGM_RSRC2:TGID_Y_EN: 0
; COMPUTE_PGM_RSRC2:TGID_Z_EN: 0
; COMPUTE_PGM_RSRC2:TIDIG_COMP_CNT: 0
; COMPUTE_PGM_RSRC3_GFX90A:ACCUM_OFFSET: 10
; COMPUTE_PGM_RSRC3_GFX90A:TG_SPLIT: 0
	.section	.text._ZN9rocsparseL23bsrgemm_fill_wf_per_rowILj256ELj64ELj16ELj137ELj4Eli21rocsparse_complex_numIfEEEv20rocsparse_direction_T5_S4_S4_PKS4_S6_NS_24const_host_device_scalarIT6_EEPKT4_S6_PKS8_SC_S6_SE_S9_SC_S6_SE_SC_PS4_PS8_21rocsparse_index_base_SH_SH_SH_bbb,"axG",@progbits,_ZN9rocsparseL23bsrgemm_fill_wf_per_rowILj256ELj64ELj16ELj137ELj4Eli21rocsparse_complex_numIfEEEv20rocsparse_direction_T5_S4_S4_PKS4_S6_NS_24const_host_device_scalarIT6_EEPKT4_S6_PKS8_SC_S6_SE_S9_SC_S6_SE_SC_PS4_PS8_21rocsparse_index_base_SH_SH_SH_bbb,comdat
	.globl	_ZN9rocsparseL23bsrgemm_fill_wf_per_rowILj256ELj64ELj16ELj137ELj4Eli21rocsparse_complex_numIfEEEv20rocsparse_direction_T5_S4_S4_PKS4_S6_NS_24const_host_device_scalarIT6_EEPKT4_S6_PKS8_SC_S6_SE_S9_SC_S6_SE_SC_PS4_PS8_21rocsparse_index_base_SH_SH_SH_bbb ; -- Begin function _ZN9rocsparseL23bsrgemm_fill_wf_per_rowILj256ELj64ELj16ELj137ELj4Eli21rocsparse_complex_numIfEEEv20rocsparse_direction_T5_S4_S4_PKS4_S6_NS_24const_host_device_scalarIT6_EEPKT4_S6_PKS8_SC_S6_SE_S9_SC_S6_SE_SC_PS4_PS8_21rocsparse_index_base_SH_SH_SH_bbb
	.p2align	8
	.type	_ZN9rocsparseL23bsrgemm_fill_wf_per_rowILj256ELj64ELj16ELj137ELj4Eli21rocsparse_complex_numIfEEEv20rocsparse_direction_T5_S4_S4_PKS4_S6_NS_24const_host_device_scalarIT6_EEPKT4_S6_PKS8_SC_S6_SE_S9_SC_S6_SE_SC_PS4_PS8_21rocsparse_index_base_SH_SH_SH_bbb,@function
_ZN9rocsparseL23bsrgemm_fill_wf_per_rowILj256ELj64ELj16ELj137ELj4Eli21rocsparse_complex_numIfEEEv20rocsparse_direction_T5_S4_S4_PKS4_S6_NS_24const_host_device_scalarIT6_EEPKT4_S6_PKS8_SC_S6_SE_S9_SC_S6_SE_SC_PS4_PS8_21rocsparse_index_base_SH_SH_SH_bbb: ; @_ZN9rocsparseL23bsrgemm_fill_wf_per_rowILj256ELj64ELj16ELj137ELj4Eli21rocsparse_complex_numIfEEEv20rocsparse_direction_T5_S4_S4_PKS4_S6_NS_24const_host_device_scalarIT6_EEPKT4_S6_PKS8_SC_S6_SE_S9_SC_S6_SE_SC_PS4_PS8_21rocsparse_index_base_SH_SH_SH_bbb
; %bb.0:
	s_load_dwordx8 s[8:15], s[4:5], 0x68
	s_load_dwordx8 s[16:23], s[4:5], 0x48
	s_load_dword s7, s[4:5], 0xa0
	s_load_dwordx4 s[44:47], s[4:5], 0x10
	s_load_dwordx8 s[24:31], s[4:5], 0x28
	s_load_dwordx2 s[34:35], s[4:5], 0x88
	s_load_dwordx4 s[36:39], s[4:5], 0x90
	s_waitcnt lgkmcnt(0)
	s_bitcmp1_b32 s7, 0
	s_cselect_b64 s[2:3], -1, 0
	s_bitcmp1_b32 s7, 16
	s_cselect_b64 s[0:1], -1, 0
	s_xor_b64 s[0:1], s[0:1], -1
	v_cndmask_b32_e64 v1, 0, 1, s[0:1]
	s_mov_b32 s49, 0
	s_bitcmp0_b32 s7, 0
	v_cmp_ne_u32_e64 s[0:1], 1, v1
	s_mov_b32 s68, 0
	s_cbranch_scc1 .LBB216_5
; %bb.1:
	s_load_dwordx2 s[48:49], s[4:5], 0x20
	s_and_b64 vcc, exec, s[0:1]
	s_waitcnt lgkmcnt(0)
	s_mov_b32 s68, s48
	s_cbranch_vccnz .LBB216_3
; %bb.2:
	s_load_dword s68, s[48:49], 0x0
.LBB216_3:
	s_and_b64 vcc, exec, s[0:1]
	s_cbranch_vccnz .LBB216_5
; %bb.4:
	s_load_dword s49, s[48:49], 0x4
.LBB216_5:
	s_bitcmp1_b32 s7, 8
	s_cselect_b64 s[50:51], -1, 0
	s_bfe_u32 s7, s7, 0x10008
	s_mov_b32 s48, 0
	s_cmp_eq_u32 s7, 0
	s_mov_b32 s33, 0
	s_cbranch_scc1 .LBB216_11
; %bb.6:
	s_and_b64 vcc, exec, s[0:1]
	s_mov_b32 s33, s20
	s_cbranch_vccnz .LBB216_8
; %bb.7:
	s_load_dword s33, s[20:21], 0x0
.LBB216_8:
	s_and_b64 vcc, exec, s[0:1]
	s_cbranch_vccnz .LBB216_10
; %bb.9:
	s_load_dword s21, s[20:21], 0x4
.LBB216_10:
	s_waitcnt lgkmcnt(0)
	s_mov_b32 s48, s21
.LBB216_11:
	s_load_dwordx4 s[40:43], s[4:5], 0x0
	v_and_b32_e32 v1, 63, v0
	v_and_b32_e32 v2, 0xc0, v0
	v_lshrrev_b32_e32 v31, 6, v0
	v_or_b32_e32 v30, 0x2000, v2
	v_cmp_gt_u32_e32 vcc, 16, v1
	s_and_saveexec_b64 s[0:1], vcc
	s_cbranch_execz .LBB216_13
; %bb.12:
	v_lshl_add_u32 v2, v1, 2, v30
	s_waitcnt lgkmcnt(0)
	v_mov_b32_e32 v3, s42
	ds_write_b32 v2, v3
.LBB216_13:
	s_or_b64 exec, exec, s[0:1]
	v_lshlrev_b32_e32 v32, 11, v31
	v_mov_b32_e32 v2, 0
	v_or_b32_e32 v4, 0xffffffc0, v1
	v_lshl_or_b32 v5, v1, 3, v32
	s_mov_b64 s[0:1], 0
	v_mov_b32_e32 v3, v2
	s_movk_i32 s4, 0xbf
.LBB216_14:                             ; =>This Inner Loop Header: Depth=1
	v_add_u32_e32 v4, 64, v4
	v_cmp_lt_u32_e32 vcc, s4, v4
	ds_write_b64 v5, v[2:3]
	s_or_b64 s[0:1], vcc, s[0:1]
	v_add_u32_e32 v5, 0x200, v5
	s_andn2_b64 exec, exec, s[0:1]
	s_cbranch_execnz .LBB216_14
; %bb.15:
	s_or_b64 exec, exec, s[0:1]
	v_lshl_or_b32 v2, s6, 2, v31
	s_waitcnt lgkmcnt(0)
	v_cmp_gt_i32_e32 vcc, s41, v2
	s_barrier
	s_and_saveexec_b64 s[0:1], vcc
	s_cbranch_execz .LBB216_71
; %bb.16:
	s_cmp_eq_u64 s[46:47], 0
	s_cbranch_scc1 .LBB216_18
; %bb.17:
	s_load_dword s0, s[44:45], 0x0
	v_mov_b32_e32 v4, s47
	s_waitcnt lgkmcnt(0)
	v_add_u32_e32 v2, s0, v2
	v_ashrrev_i32_e32 v3, 31, v2
	v_lshlrev_b64 v[2:3], 2, v[2:3]
	v_add_co_u32_e32 v2, vcc, s46, v2
	v_addc_co_u32_e32 v3, vcc, v4, v3, vcc
	global_load_dword v2, v[2:3], off
.LBB216_18:
	s_waitcnt vmcnt(0)
	v_ashrrev_i32_e32 v3, 31, v2
	v_lshrrev_b32_e32 v33, 4, v1
	v_and_b32_e32 v34, 3, v0
	v_bfe_u32 v35, v0, 2, 2
	s_andn2_b64 vcc, exec, s[2:3]
	s_mul_i32 s4, s43, s43
	v_lshlrev_b64 v[6:7], 3, v[2:3]
	s_cbranch_vccnz .LBB216_48
; %bb.19:
	v_mov_b32_e32 v1, s25
	v_add_co_u32_e32 v2, vcc, s24, v6
	v_addc_co_u32_e32 v3, vcc, v1, v7, vcc
	global_load_dwordx4 v[2:5], v[2:3], off
	v_subrev_co_u32_e32 v1, vcc, s36, v33
	v_subb_co_u32_e64 v11, s[0:1], 0, 0, vcc
	s_mov_b32 s41, 0
	s_waitcnt vmcnt(0)
	v_subrev_co_u32_e32 v8, vcc, s36, v4
	v_subbrev_co_u32_e32 v9, vcc, 0, v5, vcc
	v_add_co_u32_e32 v10, vcc, v2, v1
	v_addc_co_u32_e32 v11, vcc, v3, v11, vcc
	v_cmp_lt_i64_e32 vcc, v[10:11], v[8:9]
	s_and_saveexec_b64 s[6:7], vcc
	s_cbranch_execz .LBB216_47
; %bb.20:
	v_mul_lo_u32 v2, v34, s43
	v_mov_b32_e32 v3, 0
	v_mov_b32_e32 v5, v3
	v_lshlrev_b64 v[2:3], 3, v[2:3]
	v_mov_b32_e32 v16, s19
	v_add_co_u32_e32 v2, vcc, s18, v2
	v_addc_co_u32_e32 v3, vcc, v3, v16, vcc
	v_add_co_u32_e32 v12, vcc, 4, v2
	v_addc_co_u32_e32 v13, vcc, 0, v3, vcc
	v_mad_u64_u32 v[2:3], s[2:3], v10, s4, 0
	v_mov_b32_e32 v14, v3
	v_mad_u64_u32 v[14:15], s[2:3], v11, s4, v[14:15]
	v_mov_b32_e32 v3, v14
	v_lshlrev_b64 v[2:3], 3, v[2:3]
	v_lshlrev_b32_e32 v14, 3, v35
	v_add_co_u32_e32 v14, vcc, v2, v14
	v_addc_co_u32_e32 v15, vcc, 0, v3, vcc
	v_mov_b32_e32 v19, s29
	v_add_co_u32_e32 v14, vcc, s28, v14
	v_addc_co_u32_e32 v15, vcc, v19, v15, vcc
	v_lshlrev_b32_e32 v17, 3, v34
	v_add_co_u32_e32 v17, vcc, s18, v17
	v_addc_co_u32_e32 v18, vcc, 0, v16, vcc
	v_mul_lo_u32 v4, v35, s43
	v_add_co_u32_e32 v16, vcc, 4, v17
	v_addc_co_u32_e32 v17, vcc, 0, v18, vcc
	v_lshlrev_b64 v[4:5], 3, v[4:5]
	v_add_co_u32_e32 v2, vcc, v2, v4
	s_cmp_lg_u32 s40, 0
	v_addc_co_u32_e32 v3, vcc, v3, v5, vcc
	v_max_i32_e32 v1, v34, v35
	s_cselect_b64 s[20:21], -1, 0
	s_cmp_gt_i32 s43, 0
	s_mov_b32 s5, s41
	s_mov_b32 s2, s43
	;; [unrolled: 1-line block ×3, first 2 shown]
	v_add_co_u32_e32 v18, vcc, s28, v2
	s_mov_b32 s69, s37
	v_cmp_gt_i32_e64 s[0:1], s43, v1
	s_cselect_b64 s[24:25], -1, 0
	v_and_b32_e32 v1, 15, v0
	s_lshl_b64 s[44:45], s[4:5], 3
	s_lshl_b64 s[46:47], s[4:5], 5
	;; [unrolled: 1-line block ×3, first 2 shown]
	v_addc_co_u32_e32 v19, vcc, v19, v3, vcc
	s_mov_b64 s[18:19], 0
	v_mov_b32_e32 v36, s27
	v_mov_b32_e32 v37, s31
	s_branch .LBB216_22
.LBB216_21:                             ;   in Loop: Header=BB216_22 Depth=1
	s_or_b64 exec, exec, s[28:29]
	v_add_co_u32_e32 v10, vcc, 4, v10
	v_addc_co_u32_e32 v11, vcc, 0, v11, vcc
	v_mov_b32_e32 v2, s47
	v_add_co_u32_e32 v14, vcc, s46, v14
	v_addc_co_u32_e32 v15, vcc, v15, v2, vcc
	v_cmp_ge_i64_e32 vcc, v[10:11], v[8:9]
	s_or_b64 s[18:19], vcc, s[18:19]
	v_add_co_u32_e32 v18, vcc, s46, v18
	v_addc_co_u32_e32 v19, vcc, v19, v2, vcc
	s_andn2_b64 exec, exec, s[18:19]
	s_cbranch_execz .LBB216_47
.LBB216_22:                             ; =>This Loop Header: Depth=1
                                        ;     Child Loop BB216_25 Depth 2
                                        ;       Child Loop BB216_29 Depth 3
                                        ;       Child Loop BB216_34 Depth 3
	;; [unrolled: 1-line block ×3, first 2 shown]
	v_lshlrev_b64 v[2:3], 2, v[10:11]
	v_add_co_u32_e32 v2, vcc, s26, v2
	v_addc_co_u32_e32 v3, vcc, v36, v3, vcc
	global_load_dword v2, v[2:3], off
	s_waitcnt vmcnt(0)
	v_subrev_u32_e32 v2, s36, v2
	v_ashrrev_i32_e32 v3, 31, v2
	v_lshlrev_b64 v[2:3], 3, v[2:3]
	v_add_co_u32_e32 v2, vcc, s30, v2
	v_addc_co_u32_e32 v3, vcc, v37, v3, vcc
	global_load_dwordx4 v[2:5], v[2:3], off
	s_waitcnt vmcnt(0)
	v_cmp_lt_i64_e32 vcc, v[2:3], v[4:5]
	s_and_saveexec_b64 s[28:29], vcc
	s_cbranch_execz .LBB216_21
; %bb.23:                               ;   in Loop: Header=BB216_22 Depth=1
	v_mov_b32_e32 v20, s41
	v_subrev_co_u32_e32 v4, vcc, s69, v4
	v_subb_co_u32_e32 v5, vcc, v5, v20, vcc
	v_subrev_co_u32_e32 v2, vcc, s69, v2
	v_subb_co_u32_e32 v3, vcc, v3, v20, vcc
	v_mad_u64_u32 v[20:21], s[2:3], s44, v2, v[12:13]
	v_mul_lo_u32 v24, s44, v3
	v_mul_lo_u32 v25, s45, v2
	v_mad_u64_u32 v[22:23], s[2:3], s44, v2, v[16:17]
	v_add3_u32 v21, v25, v21, v24
	v_add3_u32 v23, v25, v23, v24
	s_mov_b64 s[54:55], 0
	s_branch .LBB216_25
.LBB216_24:                             ;   in Loop: Header=BB216_25 Depth=2
	s_or_b64 exec, exec, s[56:57]
	v_add_co_u32_e32 v2, vcc, 1, v2
	v_addc_co_u32_e32 v3, vcc, 0, v3, vcc
	v_mov_b32_e32 v24, s45
	v_add_co_u32_e32 v20, vcc, s44, v20
	v_addc_co_u32_e32 v21, vcc, v21, v24, vcc
	v_cmp_ge_i64_e32 vcc, v[2:3], v[4:5]
	s_or_b64 s[54:55], vcc, s[54:55]
	v_add_co_u32_e32 v22, vcc, s44, v22
	v_addc_co_u32_e32 v23, vcc, v23, v24, vcc
	s_andn2_b64 exec, exec, s[54:55]
	s_cbranch_execz .LBB216_21
.LBB216_25:                             ;   Parent Loop BB216_22 Depth=1
                                        ; =>  This Loop Header: Depth=2
                                        ;       Child Loop BB216_29 Depth 3
                                        ;       Child Loop BB216_34 Depth 3
	;; [unrolled: 1-line block ×3, first 2 shown]
	s_and_saveexec_b64 s[56:57], s[0:1]
	s_cbranch_execz .LBB216_24
; %bb.26:                               ;   in Loop: Header=BB216_25 Depth=2
	v_lshlrev_b64 v[24:25], 2, v[2:3]
	v_mov_b32_e32 v26, s17
	v_add_co_u32_e32 v24, vcc, s16, v24
	v_addc_co_u32_e32 v25, vcc, v26, v25, vcc
	global_load_dword v38, v[24:25], off
	v_cndmask_b32_e64 v24, 0, 1, s[24:25]
	s_andn2_b64 vcc, exec, s[20:21]
	v_cmp_ne_u32_e64 s[2:3], 1, v24
	s_cbranch_vccnz .LBB216_31
; %bb.27:                               ;   in Loop: Header=BB216_25 Depth=2
	v_mov_b32_e32 v25, 0
	s_and_b64 vcc, exec, s[2:3]
	v_mov_b32_e32 v24, v25
	s_cbranch_vccnz .LBB216_30
; %bb.28:                               ;   in Loop: Header=BB216_25 Depth=2
	v_mov_b32_e32 v24, 0
	v_pk_mov_b32 v[26:27], v[14:15], v[14:15] op_sel:[0,1]
	v_pk_mov_b32 v[28:29], v[20:21], v[20:21] op_sel:[0,1]
	s_mov_b32 s5, s43
	v_mov_b32_e32 v25, v24
.LBB216_29:                             ;   Parent Loop BB216_22 Depth=1
                                        ;     Parent Loop BB216_25 Depth=2
                                        ; =>    This Inner Loop Header: Depth=3
	global_load_dwordx2 v[40:41], v[28:29], off offset:-4
	global_load_dwordx2 v[42:43], v[26:27], off
	v_add_co_u32_e32 v28, vcc, 8, v28
	v_addc_co_u32_e32 v29, vcc, 0, v29, vcc
	s_add_i32 s5, s5, -1
	v_mov_b32_e32 v39, s53
	v_add_co_u32_e32 v26, vcc, s52, v26
	v_addc_co_u32_e32 v27, vcc, v27, v39, vcc
	s_cmp_lg_u32 s5, 0
	s_waitcnt vmcnt(0)
	v_pk_fma_f32 v[24:25], v[42:43], v[40:41], v[24:25] op_sel_hi:[1,0,1]
	v_pk_fma_f32 v[24:25], v[42:43], v[40:41], v[24:25] op_sel:[1,1,0] op_sel_hi:[0,1,1] neg_lo:[1,0,0]
	s_cbranch_scc1 .LBB216_29
.LBB216_30:                             ;   in Loop: Header=BB216_25 Depth=2
	s_cbranch_execz .LBB216_32
	s_branch .LBB216_35
.LBB216_31:                             ;   in Loop: Header=BB216_25 Depth=2
                                        ; implicit-def: $vgpr25
.LBB216_32:                             ;   in Loop: Header=BB216_25 Depth=2
	v_mov_b32_e32 v25, 0
	s_and_b64 vcc, exec, s[2:3]
	v_mov_b32_e32 v24, v25
	s_cbranch_vccnz .LBB216_35
; %bb.33:                               ;   in Loop: Header=BB216_25 Depth=2
	v_mov_b32_e32 v24, 0
	v_pk_mov_b32 v[26:27], v[18:19], v[18:19] op_sel:[0,1]
	v_pk_mov_b32 v[28:29], v[22:23], v[22:23] op_sel:[0,1]
	s_mov_b32 s2, s43
	v_mov_b32_e32 v25, v24
.LBB216_34:                             ;   Parent Loop BB216_22 Depth=1
                                        ;     Parent Loop BB216_25 Depth=2
                                        ; =>    This Inner Loop Header: Depth=3
	global_load_dwordx2 v[40:41], v[28:29], off offset:-4
	global_load_dwordx2 v[42:43], v[26:27], off
	v_add_co_u32_e32 v26, vcc, 8, v26
	v_addc_co_u32_e32 v27, vcc, 0, v27, vcc
	s_add_i32 s2, s2, -1
	v_mov_b32_e32 v39, s53
	v_add_co_u32_e32 v28, vcc, s52, v28
	v_addc_co_u32_e32 v29, vcc, v29, v39, vcc
	s_cmp_eq_u32 s2, 0
	s_waitcnt vmcnt(0)
	v_pk_fma_f32 v[24:25], v[42:43], v[40:41], v[24:25] op_sel_hi:[1,0,1]
	v_pk_fma_f32 v[24:25], v[42:43], v[40:41], v[24:25] op_sel:[1,1,0] op_sel_hi:[0,1,1] neg_lo:[1,0,0]
	s_cbranch_scc0 .LBB216_34
.LBB216_35:                             ;   in Loop: Header=BB216_25 Depth=2
	s_waitcnt vmcnt(0)
	v_subrev_u32_e32 v26, s37, v38
	v_mul_f32_e64 v27, v25, -s49
	v_mul_f32_e32 v25, s68, v25
	v_fmac_f32_e32 v27, s68, v24
	v_fmac_f32_e32 v25, s49, v24
	v_lshl_add_u32 v24, v26, 3, v26
	v_and_b32_e32 v24, 15, v24
	s_mov_b64 s[2:3], 0
	s_branch .LBB216_37
.LBB216_36:                             ;   in Loop: Header=BB216_37 Depth=3
	s_or_b64 exec, exec, s[58:59]
	s_xor_b64 s[58:59], s[60:61], -1
	s_and_b64 s[58:59], exec, s[58:59]
	s_or_b64 s[2:3], s[58:59], s[2:3]
	s_andn2_b64 exec, exec, s[2:3]
	s_cbranch_execz .LBB216_24
.LBB216_37:                             ;   Parent Loop BB216_22 Depth=1
                                        ;     Parent Loop BB216_25 Depth=2
                                        ; =>    This Inner Loop Header: Depth=3
	v_lshl_add_u32 v28, v24, 2, v30
	ds_read_b32 v29, v28
                                        ; implicit-def: $sgpr60_sgpr61
	s_waitcnt lgkmcnt(0)
	v_cmp_ne_u32_e32 vcc, v29, v26
	s_and_saveexec_b64 s[58:59], vcc
	s_xor_b64 s[58:59], exec, s[58:59]
	s_cbranch_execz .LBB216_45
; %bb.38:                               ;   in Loop: Header=BB216_37 Depth=3
	v_cmp_ne_u32_e32 vcc, s42, v29
                                        ; implicit-def: $sgpr60_sgpr61
	s_and_saveexec_b64 s[62:63], vcc
	s_xor_b64 s[62:63], exec, s[62:63]
; %bb.39:                               ;   in Loop: Header=BB216_37 Depth=3
	v_add_u32_e32 v24, 1, v24
	v_and_b32_e32 v24, 15, v24
	s_mov_b64 s[60:61], -1
                                        ; implicit-def: $vgpr28
; %bb.40:                               ;   in Loop: Header=BB216_37 Depth=3
	s_andn2_saveexec_b64 s[62:63], s[62:63]
	s_cbranch_execz .LBB216_44
; %bb.41:                               ;   in Loop: Header=BB216_37 Depth=3
	v_mov_b32_e32 v29, s42
	ds_cmpst_rtn_b32 v28, v28, v29, v26
	s_mov_b64 s[66:67], -1
	s_waitcnt lgkmcnt(0)
	v_cmp_eq_u32_e32 vcc, s42, v28
	s_and_saveexec_b64 s[64:65], vcc
	s_cbranch_execz .LBB216_43
; %bb.42:                               ;   in Loop: Header=BB216_37 Depth=3
	v_lshlrev_b32_e32 v28, 3, v1
	v_lshl_or_b32 v28, v24, 7, v28
	v_add_u32_e32 v28, v32, v28
	ds_add_f32 v28, v27
	ds_add_f32 v28, v25 offset:4
	s_xor_b64 s[66:67], exec, -1
.LBB216_43:                             ;   in Loop: Header=BB216_37 Depth=3
	s_or_b64 exec, exec, s[64:65]
	s_andn2_b64 s[60:61], s[60:61], exec
	s_and_b64 s[64:65], s[66:67], exec
	s_or_b64 s[60:61], s[60:61], s[64:65]
.LBB216_44:                             ;   in Loop: Header=BB216_37 Depth=3
	s_or_b64 exec, exec, s[62:63]
	s_and_b64 s[60:61], s[60:61], exec
.LBB216_45:                             ;   in Loop: Header=BB216_37 Depth=3
	s_andn2_saveexec_b64 s[58:59], s[58:59]
	s_cbranch_execz .LBB216_36
; %bb.46:                               ;   in Loop: Header=BB216_37 Depth=3
	v_lshlrev_b32_e32 v28, 3, v1
	v_lshl_or_b32 v28, v24, 7, v28
	v_add_u32_e32 v28, v32, v28
	ds_add_f32 v28, v27
	ds_add_f32 v28, v25 offset:4
	s_andn2_b64 s[60:61], s[60:61], exec
	s_branch .LBB216_36
.LBB216_47:
	s_or_b64 exec, exec, s[6:7]
.LBB216_48:
	s_andn2_b64 vcc, exec, s[50:51]
	s_waitcnt lgkmcnt(0)
	s_barrier
	s_cbranch_vccnz .LBB216_66
; %bb.49:
	v_mov_b32_e32 v1, s23
	v_add_co_u32_e32 v2, vcc, s22, v6
	v_addc_co_u32_e32 v3, vcc, v1, v7, vcc
	global_load_dwordx4 v[8:11], v[2:3], off
	v_subrev_co_u32_e32 v1, vcc, s39, v33
	v_subb_co_u32_e64 v5, s[0:1], 0, 0, vcc
	s_waitcnt vmcnt(0)
	v_subrev_co_u32_e32 v2, vcc, s39, v10
	v_subbrev_co_u32_e32 v3, vcc, 0, v11, vcc
	v_add_co_u32_e32 v4, vcc, v8, v1
	v_addc_co_u32_e32 v5, vcc, v9, v5, vcc
	v_cmp_lt_i64_e32 vcc, v[4:5], v[2:3]
	s_and_saveexec_b64 s[2:3], vcc
	s_cbranch_execz .LBB216_65
; %bb.50:
	v_mul_lo_u32 v8, v34, s43
	v_mov_b32_e32 v9, 0
	v_max_i32_e32 v1, v34, v35
	v_lshlrev_b64 v[10:11], 3, v[8:9]
	v_cmp_gt_i32_e32 vcc, s43, v1
	v_mov_b32_e32 v1, s11
	v_add_co_u32_e64 v8, s[0:1], s10, v10
	v_addc_co_u32_e64 v10, s[0:1], v1, v11, s[0:1]
	v_lshlrev_b32_e32 v11, 3, v35
	v_add_co_u32_e64 v11, s[0:1], v8, v11
	v_mul_lo_u32 v8, v35, s43
	v_addc_co_u32_e64 v10, s[0:1], 0, v10, s[0:1]
	v_lshlrev_b64 v[8:9], 3, v[8:9]
	v_add_co_u32_e64 v8, s[0:1], s10, v8
	v_addc_co_u32_e64 v1, s[0:1], v1, v9, s[0:1]
	v_lshlrev_b32_e32 v9, 3, v34
	v_add_co_u32_e64 v8, s[0:1], v8, v9
	s_cmp_eq_u32 s40, 0
	v_addc_co_u32_e64 v1, s[0:1], 0, v1, s[0:1]
	v_and_b32_e32 v9, 15, v0
	s_cselect_b64 s[0:1], -1, 0
	v_cndmask_b32_e64 v1, v10, v1, s[0:1]
	v_cndmask_b32_e64 v0, v11, v8, s[0:1]
	s_mov_b64 s[6:7], 0
	v_lshlrev_b32_e32 v8, 3, v9
	s_branch .LBB216_52
.LBB216_51:                             ;   in Loop: Header=BB216_52 Depth=1
	s_or_b64 exec, exec, s[10:11]
	v_add_co_u32_e64 v4, s[0:1], 4, v4
	v_addc_co_u32_e64 v5, s[0:1], 0, v5, s[0:1]
	v_cmp_ge_i64_e64 s[0:1], v[4:5], v[2:3]
	s_or_b64 s[6:7], s[0:1], s[6:7]
	s_andn2_b64 exec, exec, s[6:7]
	s_cbranch_execz .LBB216_65
.LBB216_52:                             ; =>This Loop Header: Depth=1
                                        ;     Child Loop BB216_55 Depth 2
	s_and_saveexec_b64 s[10:11], vcc
	s_cbranch_execz .LBB216_51
; %bb.53:                               ;   in Loop: Header=BB216_52 Depth=1
	v_lshlrev_b64 v[10:11], 2, v[4:5]
	v_mov_b32_e32 v9, s9
	v_add_co_u32_e64 v10, s[0:1], s8, v10
	v_addc_co_u32_e64 v11, s[0:1], v9, v11, s[0:1]
	global_load_dword v9, v[10:11], off
	v_mad_u64_u32 v[10:11], s[0:1], v4, s4, 0
	v_mov_b32_e32 v12, v11
	v_mad_u64_u32 v[12:13], s[0:1], v5, s4, v[12:13]
	v_mov_b32_e32 v11, v12
	v_lshlrev_b64 v[10:11], 3, v[10:11]
	v_add_co_u32_e64 v10, s[0:1], v0, v10
	v_addc_co_u32_e64 v11, s[0:1], v1, v11, s[0:1]
	global_load_dwordx2 v[14:15], v[10:11], off
	s_mov_b64 s[16:17], 0
	s_waitcnt vmcnt(1)
	v_subrev_u32_e32 v9, s39, v9
	v_lshl_add_u32 v10, v9, 3, v9
	v_and_b32_e32 v11, 15, v10
	s_waitcnt vmcnt(0)
	v_mul_f32_e64 v10, v15, -s48
	v_mul_f32_e32 v12, s33, v15
	v_fmac_f32_e32 v10, s33, v14
	v_fmac_f32_e32 v12, s48, v14
	s_branch .LBB216_55
.LBB216_54:                             ;   in Loop: Header=BB216_55 Depth=2
	s_or_b64 exec, exec, s[0:1]
	s_xor_b64 s[0:1], s[20:21], -1
	s_and_b64 s[0:1], exec, s[0:1]
	s_or_b64 s[16:17], s[0:1], s[16:17]
	s_andn2_b64 exec, exec, s[16:17]
	s_cbranch_execz .LBB216_51
.LBB216_55:                             ;   Parent Loop BB216_52 Depth=1
                                        ; =>  This Inner Loop Header: Depth=2
	v_lshl_add_u32 v13, v11, 2, v30
	ds_read_b32 v14, v13
                                        ; implicit-def: $sgpr20_sgpr21
	s_waitcnt lgkmcnt(0)
	v_cmp_ne_u32_e64 s[0:1], v14, v9
	s_and_saveexec_b64 s[18:19], s[0:1]
	s_xor_b64 s[18:19], exec, s[18:19]
	s_cbranch_execz .LBB216_63
; %bb.56:                               ;   in Loop: Header=BB216_55 Depth=2
	v_cmp_ne_u32_e64 s[0:1], s42, v14
                                        ; implicit-def: $sgpr20_sgpr21
	s_and_saveexec_b64 s[22:23], s[0:1]
	s_xor_b64 s[0:1], exec, s[22:23]
; %bb.57:                               ;   in Loop: Header=BB216_55 Depth=2
	v_add_u32_e32 v11, 1, v11
	v_and_b32_e32 v11, 15, v11
	s_mov_b64 s[20:21], -1
                                        ; implicit-def: $vgpr13
; %bb.58:                               ;   in Loop: Header=BB216_55 Depth=2
	s_andn2_saveexec_b64 s[22:23], s[0:1]
	s_cbranch_execz .LBB216_62
; %bb.59:                               ;   in Loop: Header=BB216_55 Depth=2
	v_mov_b32_e32 v14, s42
	ds_cmpst_rtn_b32 v13, v13, v14, v9
	s_mov_b64 s[26:27], -1
	s_waitcnt lgkmcnt(0)
	v_cmp_eq_u32_e64 s[0:1], s42, v13
	s_and_saveexec_b64 s[24:25], s[0:1]
	s_cbranch_execz .LBB216_61
; %bb.60:                               ;   in Loop: Header=BB216_55 Depth=2
	v_lshl_or_b32 v13, v11, 7, v8
	v_add_u32_e32 v13, v32, v13
	ds_add_f32 v13, v10
	ds_add_f32 v13, v12 offset:4
	s_xor_b64 s[26:27], exec, -1
.LBB216_61:                             ;   in Loop: Header=BB216_55 Depth=2
	s_or_b64 exec, exec, s[24:25]
	s_andn2_b64 s[0:1], s[20:21], exec
	s_and_b64 s[20:21], s[26:27], exec
	s_or_b64 s[20:21], s[0:1], s[20:21]
.LBB216_62:                             ;   in Loop: Header=BB216_55 Depth=2
	s_or_b64 exec, exec, s[22:23]
	s_and_b64 s[20:21], s[20:21], exec
.LBB216_63:                             ;   in Loop: Header=BB216_55 Depth=2
	s_andn2_saveexec_b64 s[0:1], s[18:19]
	s_cbranch_execz .LBB216_54
; %bb.64:                               ;   in Loop: Header=BB216_55 Depth=2
	v_lshl_or_b32 v13, v11, 7, v8
	v_add_u32_e32 v13, v32, v13
	ds_add_f32 v13, v10
	ds_add_f32 v13, v12 offset:4
	s_andn2_b64 s[20:21], s[20:21], exec
	s_branch .LBB216_54
.LBB216_65:
	s_or_b64 exec, exec, s[2:3]
.LBB216_66:
	v_mov_b32_e32 v1, s13
	v_add_co_u32_e32 v0, vcc, s12, v6
	v_addc_co_u32_e32 v1, vcc, v1, v7, vcc
	s_waitcnt lgkmcnt(0)
	s_barrier
	global_load_dwordx2 v[0:1], v[0:1], off
	v_mul_lo_u32 v4, v35, s43
	v_mov_b32_e32 v5, 0
	v_max_i32_e32 v3, v34, v35
	s_cmp_eq_u32 s40, 0
	v_lshlrev_b32_e32 v8, 6, v31
	v_lshlrev_b32_e32 v9, 2, v33
	s_movk_i32 s2, 0x2000
	v_lshlrev_b64 v[4:5], 3, v[4:5]
	v_mov_b32_e32 v6, s35
	v_cmp_gt_i32_e32 vcc, s43, v3
	s_cselect_b64 s[0:1], -1, 0
	v_or3_b32 v3, v8, v9, s2
	v_add_co_u32_e64 v4, s[2:3], s34, v4
	v_lshlrev_b32_e32 v7, 3, v34
	v_addc_co_u32_e64 v5, s[2:3], v6, v5, s[2:3]
	v_cndmask_b32_e64 v6, v35, v34, s[0:1]
	v_cndmask_b32_e64 v10, v34, v35, s[0:1]
	v_add_co_u32_e64 v4, s[0:1], v4, v7
	v_lshlrev_b32_e32 v6, 3, v6
	v_addc_co_u32_e64 v5, s[0:1], 0, v5, s[0:1]
	v_lshl_or_b32 v6, v33, 7, v6
	v_lshl_or_b32 v6, v10, 5, v6
	v_or_b32_e32 v2, -4, v33
	v_add_u32_e32 v6, v32, v6
	s_mov_b64 s[2:3], 0
	s_waitcnt vmcnt(0)
	v_subrev_co_u32_e64 v7, s[0:1], s38, v0
	v_subbrev_co_u32_e64 v8, s[0:1], 0, v1, s[0:1]
	s_branch .LBB216_68
.LBB216_67:                             ;   in Loop: Header=BB216_68 Depth=1
	s_or_b64 exec, exec, s[6:7]
	v_add_u32_e32 v2, 4, v2
	v_cmp_lt_u32_e64 s[0:1], 11, v2
	v_add_u32_e32 v6, 0x200, v6
	s_or_b64 s[2:3], s[0:1], s[2:3]
	v_add_u32_e32 v3, 16, v3
	s_andn2_b64 exec, exec, s[2:3]
	s_cbranch_execz .LBB216_71
.LBB216_68:                             ; =>This Inner Loop Header: Depth=1
	ds_read_b32 v9, v3
	s_waitcnt lgkmcnt(0)
	v_cmp_gt_i32_e64 s[0:1], s42, v9
	s_and_saveexec_b64 s[6:7], s[0:1]
	s_cbranch_execz .LBB216_67
; %bb.69:                               ;   in Loop: Header=BB216_68 Depth=1
	ds_read_b128 v[10:13], v30
	ds_read_b128 v[14:17], v30 offset:16
	ds_read_b128 v[18:21], v30 offset:32
	;; [unrolled: 1-line block ×3, first 2 shown]
	s_waitcnt lgkmcnt(3)
	v_cmp_gt_i32_e64 s[0:1], v9, v10
	v_cndmask_b32_e64 v0, 0, 1, s[0:1]
	v_add_co_u32_e64 v0, s[0:1], v7, v0
	v_addc_co_u32_e64 v1, s[0:1], 0, v8, s[0:1]
	v_cmp_gt_i32_e64 s[0:1], v9, v11
	v_cndmask_b32_e64 v10, 0, 1, s[0:1]
	v_add_co_u32_e64 v0, s[0:1], v0, v10
	v_addc_co_u32_e64 v1, s[0:1], 0, v1, s[0:1]
	v_cmp_gt_i32_e64 s[0:1], v9, v12
	v_cndmask_b32_e64 v10, 0, 1, s[0:1]
	v_add_co_u32_e64 v0, s[0:1], v0, v10
	v_addc_co_u32_e64 v1, s[0:1], 0, v1, s[0:1]
	v_cmp_gt_i32_e64 s[0:1], v9, v13
	v_cndmask_b32_e64 v10, 0, 1, s[0:1]
	v_add_co_u32_e64 v0, s[0:1], v0, v10
	v_addc_co_u32_e64 v1, s[0:1], 0, v1, s[0:1]
	s_waitcnt lgkmcnt(2)
	v_cmp_gt_i32_e64 s[0:1], v9, v14
	v_cndmask_b32_e64 v10, 0, 1, s[0:1]
	v_add_co_u32_e64 v0, s[0:1], v0, v10
	v_addc_co_u32_e64 v1, s[0:1], 0, v1, s[0:1]
	v_cmp_gt_i32_e64 s[0:1], v9, v15
	v_cndmask_b32_e64 v10, 0, 1, s[0:1]
	v_add_co_u32_e64 v0, s[0:1], v0, v10
	v_addc_co_u32_e64 v1, s[0:1], 0, v1, s[0:1]
	v_cmp_gt_i32_e64 s[0:1], v9, v16
	v_cndmask_b32_e64 v10, 0, 1, s[0:1]
	v_add_co_u32_e64 v0, s[0:1], v0, v10
	v_addc_co_u32_e64 v1, s[0:1], 0, v1, s[0:1]
	v_cmp_gt_i32_e64 s[0:1], v9, v17
	v_cndmask_b32_e64 v10, 0, 1, s[0:1]
	v_add_co_u32_e64 v0, s[0:1], v0, v10
	v_addc_co_u32_e64 v1, s[0:1], 0, v1, s[0:1]
	;; [unrolled: 17-line block ×4, first 2 shown]
	v_lshlrev_b64 v[10:11], 2, v[0:1]
	v_mov_b32_e32 v12, s15
	v_add_co_u32_e64 v10, s[0:1], s14, v10
	v_add_u32_e32 v9, s38, v9
	v_addc_co_u32_e64 v11, s[0:1], v12, v11, s[0:1]
	global_store_dword v[10:11], v9, off
	s_and_b64 exec, exec, vcc
	s_cbranch_execz .LBB216_67
; %bb.70:                               ;   in Loop: Header=BB216_68 Depth=1
	v_mad_u64_u32 v[10:11], s[0:1], v0, s4, 0
	v_mov_b32_e32 v0, v11
	v_mad_u64_u32 v[0:1], s[0:1], v1, s4, v[0:1]
	v_mov_b32_e32 v11, v0
	v_lshlrev_b64 v[0:1], 3, v[10:11]
	ds_read_b64 v[10:11], v6
	v_add_co_u32_e64 v0, s[0:1], v4, v0
	v_addc_co_u32_e64 v1, s[0:1], v5, v1, s[0:1]
	s_waitcnt lgkmcnt(0)
	global_store_dwordx2 v[0:1], v[10:11], off
	s_branch .LBB216_67
.LBB216_71:
	s_endpgm
	.section	.rodata,"a",@progbits
	.p2align	6, 0x0
	.amdhsa_kernel _ZN9rocsparseL23bsrgemm_fill_wf_per_rowILj256ELj64ELj16ELj137ELj4Eli21rocsparse_complex_numIfEEEv20rocsparse_direction_T5_S4_S4_PKS4_S6_NS_24const_host_device_scalarIT6_EEPKT4_S6_PKS8_SC_S6_SE_S9_SC_S6_SE_SC_PS4_PS8_21rocsparse_index_base_SH_SH_SH_bbb
		.amdhsa_group_segment_fixed_size 8448
		.amdhsa_private_segment_fixed_size 0
		.amdhsa_kernarg_size 164
		.amdhsa_user_sgpr_count 6
		.amdhsa_user_sgpr_private_segment_buffer 1
		.amdhsa_user_sgpr_dispatch_ptr 0
		.amdhsa_user_sgpr_queue_ptr 0
		.amdhsa_user_sgpr_kernarg_segment_ptr 1
		.amdhsa_user_sgpr_dispatch_id 0
		.amdhsa_user_sgpr_flat_scratch_init 0
		.amdhsa_user_sgpr_kernarg_preload_length 0
		.amdhsa_user_sgpr_kernarg_preload_offset 0
		.amdhsa_user_sgpr_private_segment_size 0
		.amdhsa_uses_dynamic_stack 0
		.amdhsa_system_sgpr_private_segment_wavefront_offset 0
		.amdhsa_system_sgpr_workgroup_id_x 1
		.amdhsa_system_sgpr_workgroup_id_y 0
		.amdhsa_system_sgpr_workgroup_id_z 0
		.amdhsa_system_sgpr_workgroup_info 0
		.amdhsa_system_vgpr_workitem_id 0
		.amdhsa_next_free_vgpr 44
		.amdhsa_next_free_sgpr 70
		.amdhsa_accum_offset 44
		.amdhsa_reserve_vcc 1
		.amdhsa_reserve_flat_scratch 0
		.amdhsa_float_round_mode_32 0
		.amdhsa_float_round_mode_16_64 0
		.amdhsa_float_denorm_mode_32 3
		.amdhsa_float_denorm_mode_16_64 3
		.amdhsa_dx10_clamp 1
		.amdhsa_ieee_mode 1
		.amdhsa_fp16_overflow 0
		.amdhsa_tg_split 0
		.amdhsa_exception_fp_ieee_invalid_op 0
		.amdhsa_exception_fp_denorm_src 0
		.amdhsa_exception_fp_ieee_div_zero 0
		.amdhsa_exception_fp_ieee_overflow 0
		.amdhsa_exception_fp_ieee_underflow 0
		.amdhsa_exception_fp_ieee_inexact 0
		.amdhsa_exception_int_div_zero 0
	.end_amdhsa_kernel
	.section	.text._ZN9rocsparseL23bsrgemm_fill_wf_per_rowILj256ELj64ELj16ELj137ELj4Eli21rocsparse_complex_numIfEEEv20rocsparse_direction_T5_S4_S4_PKS4_S6_NS_24const_host_device_scalarIT6_EEPKT4_S6_PKS8_SC_S6_SE_S9_SC_S6_SE_SC_PS4_PS8_21rocsparse_index_base_SH_SH_SH_bbb,"axG",@progbits,_ZN9rocsparseL23bsrgemm_fill_wf_per_rowILj256ELj64ELj16ELj137ELj4Eli21rocsparse_complex_numIfEEEv20rocsparse_direction_T5_S4_S4_PKS4_S6_NS_24const_host_device_scalarIT6_EEPKT4_S6_PKS8_SC_S6_SE_S9_SC_S6_SE_SC_PS4_PS8_21rocsparse_index_base_SH_SH_SH_bbb,comdat
.Lfunc_end216:
	.size	_ZN9rocsparseL23bsrgemm_fill_wf_per_rowILj256ELj64ELj16ELj137ELj4Eli21rocsparse_complex_numIfEEEv20rocsparse_direction_T5_S4_S4_PKS4_S6_NS_24const_host_device_scalarIT6_EEPKT4_S6_PKS8_SC_S6_SE_S9_SC_S6_SE_SC_PS4_PS8_21rocsparse_index_base_SH_SH_SH_bbb, .Lfunc_end216-_ZN9rocsparseL23bsrgemm_fill_wf_per_rowILj256ELj64ELj16ELj137ELj4Eli21rocsparse_complex_numIfEEEv20rocsparse_direction_T5_S4_S4_PKS4_S6_NS_24const_host_device_scalarIT6_EEPKT4_S6_PKS8_SC_S6_SE_S9_SC_S6_SE_SC_PS4_PS8_21rocsparse_index_base_SH_SH_SH_bbb
                                        ; -- End function
	.section	.AMDGPU.csdata,"",@progbits
; Kernel info:
; codeLenInByte = 3252
; NumSgprs: 74
; NumVgprs: 44
; NumAgprs: 0
; TotalNumVgprs: 44
; ScratchSize: 0
; MemoryBound: 0
; FloatMode: 240
; IeeeMode: 1
; LDSByteSize: 8448 bytes/workgroup (compile time only)
; SGPRBlocks: 9
; VGPRBlocks: 5
; NumSGPRsForWavesPerEU: 74
; NumVGPRsForWavesPerEU: 44
; AccumOffset: 44
; Occupancy: 7
; WaveLimiterHint : 1
; COMPUTE_PGM_RSRC2:SCRATCH_EN: 0
; COMPUTE_PGM_RSRC2:USER_SGPR: 6
; COMPUTE_PGM_RSRC2:TRAP_HANDLER: 0
; COMPUTE_PGM_RSRC2:TGID_X_EN: 1
; COMPUTE_PGM_RSRC2:TGID_Y_EN: 0
; COMPUTE_PGM_RSRC2:TGID_Z_EN: 0
; COMPUTE_PGM_RSRC2:TIDIG_COMP_CNT: 0
; COMPUTE_PGM_RSRC3_GFX90A:ACCUM_OFFSET: 10
; COMPUTE_PGM_RSRC3_GFX90A:TG_SPLIT: 0
	.section	.text._ZN9rocsparseL38bsrgemm_block_per_row_atomic_multipassILj256ELj32ELj4Eli21rocsparse_complex_numIfEEEv20rocsparse_direction_T3_S4_PKS4_S6_NS_24const_host_device_scalarIT4_EEPKT2_S6_PKS8_SC_S6_SE_S9_SC_S6_SE_SC_PS4_PS8_PSA_21rocsparse_index_base_SI_SI_SI_bbb,"axG",@progbits,_ZN9rocsparseL38bsrgemm_block_per_row_atomic_multipassILj256ELj32ELj4Eli21rocsparse_complex_numIfEEEv20rocsparse_direction_T3_S4_PKS4_S6_NS_24const_host_device_scalarIT4_EEPKT2_S6_PKS8_SC_S6_SE_S9_SC_S6_SE_SC_PS4_PS8_PSA_21rocsparse_index_base_SI_SI_SI_bbb,comdat
	.globl	_ZN9rocsparseL38bsrgemm_block_per_row_atomic_multipassILj256ELj32ELj4Eli21rocsparse_complex_numIfEEEv20rocsparse_direction_T3_S4_PKS4_S6_NS_24const_host_device_scalarIT4_EEPKT2_S6_PKS8_SC_S6_SE_S9_SC_S6_SE_SC_PS4_PS8_PSA_21rocsparse_index_base_SI_SI_SI_bbb ; -- Begin function _ZN9rocsparseL38bsrgemm_block_per_row_atomic_multipassILj256ELj32ELj4Eli21rocsparse_complex_numIfEEEv20rocsparse_direction_T3_S4_PKS4_S6_NS_24const_host_device_scalarIT4_EEPKT2_S6_PKS8_SC_S6_SE_S9_SC_S6_SE_SC_PS4_PS8_PSA_21rocsparse_index_base_SI_SI_SI_bbb
	.p2align	8
	.type	_ZN9rocsparseL38bsrgemm_block_per_row_atomic_multipassILj256ELj32ELj4Eli21rocsparse_complex_numIfEEEv20rocsparse_direction_T3_S4_PKS4_S6_NS_24const_host_device_scalarIT4_EEPKT2_S6_PKS8_SC_S6_SE_S9_SC_S6_SE_SC_PS4_PS8_PSA_21rocsparse_index_base_SI_SI_SI_bbb,@function
_ZN9rocsparseL38bsrgemm_block_per_row_atomic_multipassILj256ELj32ELj4Eli21rocsparse_complex_numIfEEEv20rocsparse_direction_T3_S4_PKS4_S6_NS_24const_host_device_scalarIT4_EEPKT2_S6_PKS8_SC_S6_SE_S9_SC_S6_SE_SC_PS4_PS8_PSA_21rocsparse_index_base_SI_SI_SI_bbb: ; @_ZN9rocsparseL38bsrgemm_block_per_row_atomic_multipassILj256ELj32ELj4Eli21rocsparse_complex_numIfEEEv20rocsparse_direction_T3_S4_PKS4_S6_NS_24const_host_device_scalarIT4_EEPKT2_S6_PKS8_SC_S6_SE_S9_SC_S6_SE_SC_PS4_PS8_PSA_21rocsparse_index_base_SI_SI_SI_bbb
; %bb.0:
	s_load_dwordx8 s[36:43], s[4:5], 0x88
	s_load_dword s2, s[4:5], 0xa8
	s_load_dwordx8 s[8:15], s[4:5], 0x68
                                        ; implicit-def: $vgpr59 : SGPR spill to VGPR lane
	s_mov_b32 s35, 0
	s_mov_b32 s33, 0
	s_waitcnt lgkmcnt(0)
	s_bitcmp1_b32 s2, 0
	v_writelane_b32 v59, s8, 0
	v_writelane_b32 v59, s9, 1
	;; [unrolled: 1-line block ×8, first 2 shown]
	s_load_dwordx8 s[52:59], s[4:5], 0x48
	s_load_dwordx4 s[8:11], s[4:5], 0x10
	s_load_dwordx8 s[60:67], s[4:5], 0x28
	s_cselect_b64 s[16:17], -1, 0
	s_bitcmp1_b32 s2, 16
	s_cselect_b64 s[0:1], -1, 0
	s_xor_b64 s[0:1], s[0:1], -1
	v_cndmask_b32_e64 v1, 0, 1, s[0:1]
	s_bitcmp0_b32 s2, 0
	v_cmp_ne_u32_e64 s[0:1], 1, v1
	s_cbranch_scc1 .LBB217_5
; %bb.1:
	s_load_dwordx2 s[34:35], s[4:5], 0x20
	s_and_b64 vcc, exec, s[0:1]
	s_waitcnt lgkmcnt(0)
	s_mov_b32 s33, s34
	s_cbranch_vccnz .LBB217_3
; %bb.2:
	s_load_dword s33, s[34:35], 0x0
.LBB217_3:
	s_and_b64 vcc, exec, s[0:1]
	s_cbranch_vccnz .LBB217_5
; %bb.4:
	s_load_dword s35, s[34:35], 0x4
.LBB217_5:
	s_bitcmp1_b32 s2, 8
	s_cselect_b64 s[68:69], -1, 0
	s_bfe_u32 s2, s2, 0x10008
	s_mov_b32 s90, 0
	s_cmp_eq_u32 s2, 0
	s_mov_b32 s34, 0
	s_cbranch_scc1 .LBB217_11
; %bb.6:
	s_and_b64 vcc, exec, s[0:1]
	s_waitcnt lgkmcnt(0)
	s_mov_b32 s34, s56
	s_cbranch_vccnz .LBB217_8
; %bb.7:
	s_load_dword s34, s[56:57], 0x0
.LBB217_8:
	s_and_b64 vcc, exec, s[0:1]
	s_cbranch_vccnz .LBB217_10
; %bb.9:
	s_load_dword s57, s[56:57], 0x4
.LBB217_10:
	s_waitcnt lgkmcnt(0)
	s_mov_b32 s90, s57
.LBB217_11:
	s_waitcnt lgkmcnt(0)
	s_cmp_eq_u64 s[10:11], 0
	s_mov_b64 s[56:57], 0
	s_cbranch_scc1 .LBB217_13
; %bb.12:
	s_load_dword s0, s[8:9], 0x0
	s_mov_b32 s1, 0
	s_waitcnt lgkmcnt(0)
	s_add_i32 s0, s0, s6
	s_lshl_b64 s[0:1], s[0:1], 2
	s_add_u32 s0, s10, s0
	s_addc_u32 s1, s11, s1
	s_load_dword s6, s[0:1], 0x0
.LBB217_13:
	v_cndmask_b32_e64 v1, 0, 1, s[16:17]
	v_cmp_ne_u32_e64 s[0:1], 1, v1
	s_andn2_b64 vcc, exec, s[16:17]
	s_cbranch_vccz .LBB217_16
; %bb.14:
	s_and_b64 vcc, exec, s[0:1]
	s_mov_b64 s[70:71], 0
	s_cbranch_vccz .LBB217_17
.LBB217_15:
	s_load_dwordx4 s[28:31], s[4:5], 0x0
	s_waitcnt lgkmcnt(0)
	s_cmp_lt_i32 s29, 1
	s_cbranch_scc0 .LBB217_18
	s_branch .LBB217_101
.LBB217_16:
	s_waitcnt lgkmcnt(0)
	s_ashr_i32 s7, s6, 31
	s_lshl_b64 s[2:3], s[6:7], 3
	s_add_u32 s2, s60, s2
	s_addc_u32 s3, s61, s3
	s_load_dwordx2 s[2:3], s[2:3], 0x0
	s_waitcnt lgkmcnt(0)
	s_sub_u32 s56, s2, s40
	s_subb_u32 s57, s3, 0
	s_and_b64 vcc, exec, s[0:1]
	s_mov_b64 s[70:71], 0
	s_cbranch_vccnz .LBB217_15
.LBB217_17:
	s_waitcnt lgkmcnt(0)
	s_ashr_i32 s7, s6, 31
	s_lshl_b64 s[0:1], s[6:7], 3
	s_add_u32 s0, s60, s0
	s_addc_u32 s1, s61, s1
	s_load_dwordx2 s[0:1], s[0:1], 0x8
	s_waitcnt lgkmcnt(0)
	s_sub_u32 s70, s0, s40
	s_subb_u32 s71, s1, 0
	s_load_dwordx4 s[28:31], s[4:5], 0x0
	s_waitcnt lgkmcnt(0)
	s_cmp_lt_i32 s29, 1
	s_cbranch_scc1 .LBB217_101
.LBB217_18:
	v_pk_mov_b32 v[4:5], s[70:71], s[70:71] op_sel:[0,1]
	v_bfe_u32 v3, v0, 2, 2
	v_cmp_lt_i64_e32 vcc, s[56:57], v[4:5]
	v_mov_b32_e32 v4, 0
	v_and_b32_e32 v7, 3, v0
	v_mul_lo_u32 v8, v3, s30
	v_mov_b32_e32 v9, v4
	s_ashr_i32 s7, s6, 31
	v_readlane_b32 s44, v59, 0
	v_max_i32_e32 v5, v7, v3
	v_lshlrev_b64 v[8:9], 3, v[8:9]
	s_lshl_b64 s[12:13], s[6:7], 3
	v_readlane_b32 s48, v59, 4
	v_cmp_gt_i32_e64 s[6:7], s30, v5
	v_cmp_le_i32_e64 s[8:9], s30, v5
	v_mov_b32_e32 v5, s65
	v_add_co_u32_e64 v6, s[10:11], s64, v8
	v_readlane_b32 s49, v59, 5
	s_add_u32 s0, s48, s12
	v_addc_co_u32_e64 v5, s[10:11], v5, v9, s[10:11]
	v_lshlrev_b32_e32 v12, 3, v7
	s_addc_u32 s1, s49, s13
	v_add_co_u32_e64 v34, s[10:11], v6, v12
	v_mul_lo_u32 v10, v7, s30
	v_mov_b32_e32 v11, v4
	v_readlane_b32 s46, v59, 2
	v_readlane_b32 s47, v59, 3
	s_load_dwordx2 s[0:1], s[0:1], 0x0
	v_addc_co_u32_e64 v35, s[10:11], 0, v5, s[10:11]
	v_lshlrev_b64 v[10:11], 3, v[10:11]
	v_mov_b32_e32 v5, s47
	v_add_co_u32_e64 v6, s[10:11], s46, v10
	v_addc_co_u32_e64 v13, s[10:11], v5, v11, s[10:11]
	v_lshlrev_b32_e32 v3, 3, v3
	v_add_co_u32_e64 v6, s[10:11], v6, v3
	v_addc_co_u32_e64 v13, s[10:11], 0, v13, s[10:11]
	s_waitcnt lgkmcnt(0)
	s_sub_u32 s20, s0, s42
	v_add_co_u32_e64 v14, s[10:11], s46, v8
	s_subb_u32 s21, s1, 0
	v_addc_co_u32_e64 v5, s[10:11], v5, v9, s[10:11]
	s_cmp_eq_u32 s28, 0
	v_add_co_u32_e64 v14, s[10:11], v14, v12
	v_lshrrev_b32_e32 v2, 4, v0
	v_addc_co_u32_e64 v5, s[10:11], 0, v5, s[10:11]
	s_cselect_b64 s[18:19], -1, 0
	s_cmp_lg_u32 s28, 0
	s_cselect_b64 s[46:47], -1, 0
	s_cmp_gt_i32 s30, 0
	v_subrev_co_u32_e64 v37, s[10:11], s43, v2
	v_and_b32_e32 v1, 15, v0
	s_cselect_b64 s[60:61], -1, 0
	s_add_u32 s58, s58, s12
	v_subb_co_u32_e64 v38, s[10:11], 0, 0, s[10:11]
	v_and_b32_e32 v16, 31, v0
	s_addc_u32 s59, s59, s13
	v_cmp_eq_u32_e64 s[10:11], 15, v1
	v_add_co_u32_e64 v1, s[12:13], -1, v16
	v_mov_b32_e32 v17, 0x1800
	v_lshl_add_u32 v40, v1, 2, v17
	v_mov_b32_e32 v1, s37
	v_add_co_u32_e64 v18, s[14:15], s36, v10
	v_addc_co_u32_e64 v19, s[14:15], v1, v11, s[14:15]
	v_add_co_u32_e64 v18, s[14:15], v18, v3
	v_addc_co_u32_e64 v19, s[14:15], 0, v19, s[14:15]
	v_add_co_u32_e64 v8, s[14:15], s36, v8
	v_addc_co_u32_e64 v1, s[14:15], v1, v9, s[14:15]
	v_add_co_u32_e64 v8, s[14:15], v8, v12
	s_and_b64 s[36:37], s[16:17], vcc
	v_cndmask_b32_e64 v5, v13, v5, s[18:19]
	v_cndmask_b32_e64 v13, v6, v14, s[18:19]
	;; [unrolled: 1-line block ×3, first 2 shown]
	v_mov_b32_e32 v14, s55
	v_add_co_u32_e32 v8, vcc, s54, v10
	v_addc_co_u32_e32 v9, vcc, v11, v14, vcc
	v_add_co_u32_e32 v8, vcc, 4, v8
	v_addc_co_u32_e32 v9, vcc, 0, v9, vcc
	;; [unrolled: 2-line block ×4, first 2 shown]
	v_add_co_u32_e32 v12, vcc, 4, v13
	s_add_u32 s93, s66, 8
	v_readlane_b32 s50, v59, 6
	s_mov_b32 s49, 0
	s_movk_i32 s2, 0x200
	v_lshlrev_b32_e32 v32, 3, v0
	v_addc_co_u32_e32 v13, vcc, 0, v5, vcc
	s_addc_u32 s94, s67, 0
	v_readlane_b32 s51, v59, 7
	v_cmp_gt_u32_e64 s[0:1], 32, v0
	v_cmp_gt_u32_e64 s[2:3], s2, v0
	v_cmp_eq_u32_e64 s[4:5], 0, v0
	s_movk_i32 s22, 0x1000
	s_mul_i32 s48, s30, s30
	v_and_b32_e32 v36, 12, v0
	v_lshlrev_b32_e32 v15, 2, v16
	v_addc_co_u32_e64 v1, s[14:15], 0, v1, s[14:15]
	v_lshl_or_b32 v41, v0, 2, v17
	v_add_co_u32_e32 v43, vcc, 16, v37
	v_lshlrev_b32_e32 v5, 7, v2
	s_add_u32 s95, s50, -4
	v_or_b32_e32 v49, 0xffffff00, v0
	s_mov_b32 s31, s49
	v_and_b32_e32 v0, 0x7e0, v32
	v_or_b32_e32 v33, 0x1000, v32
	s_mov_b32 s91, s41
	s_mov_b32 s92, s49
	;; [unrolled: 1-line block ×3, first 2 shown]
	v_or_b32_e32 v39, 0x1800, v15
	v_cmp_ne_u32_e64 s[14:15], 0, v16
	v_cmp_lt_u32_e64 s[16:17], 1, v16
	v_add_u32_e32 v42, 0x17f8, v15
	v_cndmask_b32_e64 v1, v19, v1, s[18:19]
	v_addc_co_u32_e32 v44, vcc, 0, v38, vcc
	v_cmp_lt_u32_e64 s[18:19], 3, v16
	v_add_u32_e32 v45, 0x17f0, v15
	v_add_u32_e32 v46, 0x17e0, v15
	;; [unrolled: 1-line block ×3, first 2 shown]
	v_pk_mov_b32 v[14:15], s[20:21], s[20:21] op_sel:[0,1]
	v_or3_b32 v48, v5, v3, s22
	v_or_b32_e32 v50, 0x1000, v0
	v_lshl_or_b32 v51, v2, 2, v17
	v_mov_b32_e32 v0, 32
	v_mov_b32_e32 v52, 1
	s_addc_u32 s44, s51, -1
	v_cmp_lt_u32_e64 s[20:21], 7, v16
	v_cmp_lt_u32_e64 s[22:23], 15, v16
	s_lshl_b64 s[50:51], s[48:49], 3
	s_lshl_b64 s[54:55], s[30:31], 3
	s_lshl_b64 s[64:65], s[48:49], 7
	v_readlane_b32 s45, v59, 1
	s_branch .LBB217_20
.LBB217_19:                             ;   in Loop: Header=BB217_20 Depth=1
	s_or_b64 exec, exec, s[24:25]
	s_barrier
	ds_read_b32 v3, v4 offset:6272
	v_ashrrev_i32_e32 v0, 31, v5
	v_add_co_u32_e32 v14, vcc, v14, v5
	v_addc_co_u32_e32 v15, vcc, v15, v0, vcc
	s_waitcnt lgkmcnt(0)
	v_cmp_le_i32_e32 vcc, s29, v3
	v_readfirstlane_b32 s49, v3
	v_add_u32_e32 v0, 32, v3
	s_barrier
	s_cbranch_vccnz .LBB217_101
.LBB217_20:                             ; =>This Loop Header: Depth=1
                                        ;     Child Loop BB217_24 Depth 2
                                        ;     Child Loop BB217_30 Depth 2
                                        ;       Child Loop BB217_44 Depth 3
                                        ;         Child Loop BB217_53 Depth 4
                                        ;         Child Loop BB217_58 Depth 4
                                        ;     Child Loop BB217_69 Depth 2
                                        ;     Child Loop BB217_78 Depth 2
	;; [unrolled: 1-line block ×3, first 2 shown]
	s_and_saveexec_b64 s[24:25], s[0:1]
	s_cbranch_execz .LBB217_22
; %bb.21:                               ;   in Loop: Header=BB217_20 Depth=1
	ds_write_b32 v41, v4
.LBB217_22:                             ;   in Loop: Header=BB217_20 Depth=1
	s_or_b64 exec, exec, s[24:25]
	s_and_saveexec_b64 s[24:25], s[2:3]
	s_cbranch_execz .LBB217_25
; %bb.23:                               ;   in Loop: Header=BB217_20 Depth=1
	s_mov_b64 s[26:27], 0
	v_mov_b32_e32 v3, v32
	v_mov_b32_e32 v16, v49
.LBB217_24:                             ;   Parent Loop BB217_20 Depth=1
                                        ; =>  This Inner Loop Header: Depth=2
	v_add_co_u32_e32 v16, vcc, 0x100, v16
	s_xor_b64 s[72:73], vcc, -1
	v_mov_b32_e32 v5, v4
	s_and_b64 s[72:73], exec, s[72:73]
	ds_write_b64 v3, v[4:5]
	s_or_b64 s[26:27], s[72:73], s[26:27]
	v_add_u32_e32 v3, 0x800, v3
	s_andn2_b64 exec, exec, s[26:27]
	s_cbranch_execnz .LBB217_24
.LBB217_25:                             ;   in Loop: Header=BB217_20 Depth=1
	s_or_b64 exec, exec, s[24:25]
	s_and_saveexec_b64 s[24:25], s[4:5]
	s_cbranch_execz .LBB217_27
; %bb.26:                               ;   in Loop: Header=BB217_20 Depth=1
	v_mov_b32_e32 v3, s29
	ds_write_b32 v4, v3 offset:6272
.LBB217_27:                             ;   in Loop: Header=BB217_20 Depth=1
	s_or_b64 exec, exec, s[24:25]
	s_andn2_b64 vcc, exec, s[36:37]
	v_mov_b32_e32 v3, s29
	s_waitcnt lgkmcnt(0)
	s_barrier
	s_cbranch_vccnz .LBB217_64
; %bb.28:                               ;   in Loop: Header=BB217_20 Depth=1
	s_cmp_lg_u32 s49, 0
	s_cselect_b64 s[72:73], -1, 0
	v_mov_b32_e32 v3, s29
	s_mov_b64 s[74:75], s[56:57]
	s_branch .LBB217_30
.LBB217_29:                             ;   in Loop: Header=BB217_30 Depth=2
	s_or_b64 exec, exec, s[26:27]
	s_add_u32 s74, s74, 16
	s_addc_u32 s75, s75, 0
	v_pk_mov_b32 v[16:17], s[70:71], s[70:71] op_sel:[0,1]
	v_cmp_lt_i64_e32 vcc, s[74:75], v[16:17]
	s_cbranch_vccz .LBB217_64
.LBB217_30:                             ;   Parent Loop BB217_20 Depth=1
                                        ; =>  This Loop Header: Depth=2
                                        ;       Child Loop BB217_44 Depth 3
                                        ;         Child Loop BB217_53 Depth 4
                                        ;         Child Loop BB217_58 Depth 4
	v_mov_b32_e32 v5, s75
	v_add_co_u32_e32 v16, vcc, s74, v2
	v_addc_co_u32_e32 v17, vcc, 0, v5, vcc
	v_cmp_gt_i64_e64 s[24:25], s[70:71], v[16:17]
	s_barrier
	s_and_saveexec_b64 s[26:27], s[24:25]
	s_cbranch_execz .LBB217_35
; %bb.31:                               ;   in Loop: Header=BB217_30 Depth=2
	s_and_saveexec_b64 s[76:77], s[8:9]
	s_xor_b64 s[76:77], exec, s[76:77]
	s_cbranch_execz .LBB217_33
; %bb.32:                               ;   in Loop: Header=BB217_30 Depth=2
	v_mov_b32_e32 v5, v4
	ds_write_b64 v33, v[4:5]
.LBB217_33:                             ;   in Loop: Header=BB217_30 Depth=2
	s_andn2_saveexec_b64 s[76:77], s[76:77]
	s_cbranch_execz .LBB217_35
; %bb.34:                               ;   in Loop: Header=BB217_30 Depth=2
	v_mad_u64_u32 v[18:19], s[76:77], v16, s48, 0
	v_mov_b32_e32 v20, v19
	v_mad_u64_u32 v[20:21], s[76:77], v17, s48, v[20:21]
	v_mov_b32_e32 v19, v20
	v_lshlrev_b64 v[18:19], 3, v[18:19]
	v_add_co_u32_e32 v18, vcc, v34, v18
	v_addc_co_u32_e32 v19, vcc, v35, v19, vcc
	global_load_dwordx2 v[18:19], v[18:19], off
	s_waitcnt vmcnt(0)
	ds_write_b64 v33, v[18:19]
.LBB217_35:                             ;   in Loop: Header=BB217_30 Depth=2
	s_or_b64 exec, exec, s[26:27]
	v_pk_mov_b32 v[18:19], 0, 0
	s_waitcnt lgkmcnt(0)
	s_barrier
	s_and_saveexec_b64 s[76:77], s[24:25]
	s_cbranch_execz .LBB217_61
; %bb.36:                               ;   in Loop: Header=BB217_30 Depth=2
	v_lshlrev_b64 v[18:19], 2, v[16:17]
	v_mov_b32_e32 v5, s63
	v_add_co_u32_e32 v18, vcc, s62, v18
	v_addc_co_u32_e32 v19, vcc, v5, v19, vcc
	global_load_dword v5, v[18:19], off
	s_and_b64 vcc, exec, s[72:73]
	s_waitcnt vmcnt(0)
	v_subrev_u32_e32 v20, s40, v5
	v_ashrrev_i32_e32 v21, 31, v20
	s_cbranch_vccz .LBB217_63
; %bb.37:                               ;   in Loop: Header=BB217_30 Depth=2
	v_lshlrev_b64 v[18:19], 3, v[16:17]
	v_mov_b32_e32 v5, s39
	v_add_co_u32_e32 v18, vcc, s38, v18
	v_addc_co_u32_e32 v19, vcc, v5, v19, vcc
	global_load_dwordx2 v[18:19], v[18:19], off
	s_cbranch_execnz .LBB217_39
.LBB217_38:                             ;   in Loop: Header=BB217_30 Depth=2
	s_waitcnt vmcnt(0)
	v_lshlrev_b64 v[18:19], 3, v[20:21]
	v_mov_b32_e32 v5, s67
	v_add_co_u32_e32 v18, vcc, s66, v18
	v_addc_co_u32_e32 v19, vcc, v5, v19, vcc
	global_load_dwordx2 v[18:19], v[18:19], off
	v_mov_b32_e32 v5, s92
	s_waitcnt vmcnt(0)
	v_subrev_co_u32_e32 v18, vcc, s91, v18
	v_subb_co_u32_e32 v19, vcc, v19, v5, vcc
.LBB217_39:                             ;   in Loop: Header=BB217_30 Depth=2
	v_lshlrev_b64 v[20:21], 3, v[20:21]
	v_mov_b32_e32 v5, s94
	v_add_co_u32_e32 v20, vcc, s93, v20
	v_addc_co_u32_e32 v21, vcc, v5, v21, vcc
	global_load_dwordx2 v[20:21], v[20:21], off
	v_mov_b32_e32 v5, s92
	s_waitcnt vmcnt(0)
	v_subrev_co_u32_e32 v20, vcc, s91, v20
	v_subb_co_u32_e32 v21, vcc, v21, v5, vcc
	v_cmp_lt_i64_e32 vcc, v[18:19], v[20:21]
	s_and_saveexec_b64 s[78:79], vcc
	s_cbranch_execz .LBB217_60
; %bb.40:                               ;   in Loop: Header=BB217_30 Depth=2
	v_mad_u64_u32 v[22:23], s[26:27], s50, v18, v[8:9]
	v_mul_lo_u32 v5, s50, v19
	v_mul_lo_u32 v26, s51, v18
	v_mad_u64_u32 v[24:25], s[26:27], s50, v18, v[10:11]
	v_add3_u32 v23, v26, v23, v5
	v_add3_u32 v25, v26, v25, v5
	s_mov_b64 s[80:81], 0
	v_pk_mov_b32 v[26:27], v[18:19], v[18:19] op_sel:[0,1]
	s_branch .LBB217_44
.LBB217_41:                             ;   in Loop: Header=BB217_44 Depth=3
	v_lshlrev_b32_e32 v5, 4, v5
	v_or3_b32 v5, v5, v36, v7
	v_mul_f32_e64 v30, v29, -s35
	v_lshlrev_b32_e32 v5, 3, v5
	v_fmac_f32_e32 v30, s33, v28
	v_mul_f32_e32 v29, s33, v29
	v_fmac_f32_e32 v29, s35, v28
	ds_add_f32 v5, v30
	ds_add_f32 v5, v29 offset:4
.LBB217_42:                             ;   in Loop: Header=BB217_44 Depth=3
	s_or_b64 exec, exec, s[86:87]
	s_or_b64 s[82:83], s[82:83], exec
.LBB217_43:                             ;   in Loop: Header=BB217_44 Depth=3
	s_or_b64 exec, exec, s[84:85]
	v_add_co_u32_e32 v26, vcc, 1, v26
	v_addc_co_u32_e32 v27, vcc, 0, v27, vcc
	v_cmp_ge_i64_e32 vcc, v[26:27], v[20:21]
	s_xor_b64 s[26:27], s[82:83], -1
	s_or_b64 s[26:27], s[26:27], vcc
	v_mov_b32_e32 v5, s51
	v_add_co_u32_e32 v22, vcc, s50, v22
	v_addc_co_u32_e32 v23, vcc, v23, v5, vcc
	s_and_b64 s[26:27], exec, s[26:27]
	v_add_co_u32_e32 v24, vcc, s50, v24
	s_or_b64 s[80:81], s[26:27], s[80:81]
	v_addc_co_u32_e32 v25, vcc, v25, v5, vcc
	s_andn2_b64 exec, exec, s[80:81]
	s_cbranch_execz .LBB217_59
.LBB217_44:                             ;   Parent Loop BB217_20 Depth=1
                                        ;     Parent Loop BB217_30 Depth=2
                                        ; =>    This Loop Header: Depth=3
                                        ;         Child Loop BB217_53 Depth 4
                                        ;         Child Loop BB217_58 Depth 4
	v_lshlrev_b64 v[28:29], 2, v[26:27]
	v_mov_b32_e32 v5, s53
	v_add_co_u32_e32 v28, vcc, s52, v28
	v_addc_co_u32_e32 v29, vcc, v5, v29, vcc
	global_load_dword v5, v[28:29], off
                                        ; implicit-def: $sgpr82_sgpr83
	s_waitcnt vmcnt(0)
	v_subrev_u32_e32 v5, s41, v5
	v_cmp_gt_i32_e64 s[26:27], s49, v5
	v_cmp_ge_i32_e32 vcc, v5, v0
	s_or_b64 s[26:27], s[26:27], vcc
	s_and_saveexec_b64 s[84:85], s[26:27]
	s_xor_b64 s[26:27], exec, s[84:85]
	s_cbranch_execz .LBB217_48
; %bb.45:                               ;   in Loop: Header=BB217_44 Depth=3
	s_mov_b64 s[82:83], -1
	s_and_saveexec_b64 s[84:85], vcc
; %bb.46:                               ;   in Loop: Header=BB217_44 Depth=3
	v_min_i32_e32 v3, v5, v3
	s_xor_b64 s[82:83], exec, -1
	v_pk_mov_b32 v[18:19], v[26:27], v[26:27] op_sel:[0,1]
; %bb.47:                               ;   in Loop: Header=BB217_44 Depth=3
	s_or_b64 exec, exec, s[84:85]
	s_and_b64 s[82:83], s[82:83], exec
                                        ; implicit-def: $vgpr5
.LBB217_48:                             ;   in Loop: Header=BB217_44 Depth=3
	s_andn2_saveexec_b64 s[84:85], s[26:27]
	s_cbranch_execz .LBB217_43
; %bb.49:                               ;   in Loop: Header=BB217_44 Depth=3
	v_subrev_u32_e32 v5, s49, v5
	v_lshlrev_b32_e32 v28, 2, v5
	ds_write_b32 v28, v52 offset:6144
	s_and_saveexec_b64 s[86:87], s[6:7]
	s_cbranch_execz .LBB217_42
; %bb.50:                               ;   in Loop: Header=BB217_44 Depth=3
	v_cndmask_b32_e64 v28, 0, 1, s[60:61]
	s_andn2_b64 vcc, exec, s[46:47]
	v_cmp_ne_u32_e64 s[26:27], 1, v28
	s_cbranch_vccnz .LBB217_55
; %bb.51:                               ;   in Loop: Header=BB217_44 Depth=3
	v_mov_b32_e32 v29, 0
	s_and_b64 vcc, exec, s[26:27]
	v_mov_b32_e32 v28, v29
	s_cbranch_vccnz .LBB217_54
; %bb.52:                               ;   in Loop: Header=BB217_44 Depth=3
	v_mov_b32_e32 v28, 0
	v_pk_mov_b32 v[30:31], v[22:23], v[22:23] op_sel:[0,1]
	s_mov_b32 s31, s30
	v_mov_b32_e32 v53, v48
	v_mov_b32_e32 v29, v28
.LBB217_53:                             ;   Parent Loop BB217_20 Depth=1
                                        ;     Parent Loop BB217_30 Depth=2
                                        ;       Parent Loop BB217_44 Depth=3
                                        ; =>      This Inner Loop Header: Depth=4
	global_load_dwordx2 v[54:55], v[30:31], off offset:-4
	ds_read_b64 v[56:57], v53
	s_add_i32 s31, s31, -1
	v_add_co_u32_e32 v30, vcc, 8, v30
	v_add_u32_e32 v53, 32, v53
	v_addc_co_u32_e32 v31, vcc, 0, v31, vcc
	s_cmp_lg_u32 s31, 0
	s_waitcnt vmcnt(0) lgkmcnt(0)
	v_pk_fma_f32 v[28:29], v[56:57], v[54:55], v[28:29] op_sel_hi:[1,0,1]
	v_pk_fma_f32 v[28:29], v[56:57], v[54:55], v[28:29] op_sel:[1,1,0] op_sel_hi:[0,1,1] neg_lo:[1,0,0]
	s_cbranch_scc1 .LBB217_53
.LBB217_54:                             ;   in Loop: Header=BB217_44 Depth=3
	s_cbranch_execnz .LBB217_41
	s_branch .LBB217_56
.LBB217_55:                             ;   in Loop: Header=BB217_44 Depth=3
                                        ; implicit-def: $vgpr29
.LBB217_56:                             ;   in Loop: Header=BB217_44 Depth=3
	v_mov_b32_e32 v29, 0
	s_and_b64 vcc, exec, s[26:27]
	v_mov_b32_e32 v28, v29
	s_cbranch_vccnz .LBB217_41
; %bb.57:                               ;   in Loop: Header=BB217_44 Depth=3
	v_mov_b32_e32 v28, 0
	v_mov_b32_e32 v53, v50
	v_pk_mov_b32 v[30:31], v[24:25], v[24:25] op_sel:[0,1]
	s_mov_b32 s26, s30
	v_mov_b32_e32 v29, v28
.LBB217_58:                             ;   Parent Loop BB217_20 Depth=1
                                        ;     Parent Loop BB217_30 Depth=2
                                        ;       Parent Loop BB217_44 Depth=3
                                        ; =>      This Inner Loop Header: Depth=4
	global_load_dwordx2 v[54:55], v[30:31], off offset:-4
	ds_read_b64 v[56:57], v53
	s_add_i32 s26, s26, -1
	v_mov_b32_e32 v58, s55
	v_add_co_u32_e32 v30, vcc, s54, v30
	v_add_u32_e32 v53, 8, v53
	v_addc_co_u32_e32 v31, vcc, v31, v58, vcc
	s_cmp_eq_u32 s26, 0
	s_waitcnt vmcnt(0) lgkmcnt(0)
	v_pk_fma_f32 v[28:29], v[56:57], v[54:55], v[28:29] op_sel_hi:[1,0,1]
	v_pk_fma_f32 v[28:29], v[56:57], v[54:55], v[28:29] op_sel:[1,1,0] op_sel_hi:[0,1,1] neg_lo:[1,0,0]
	s_cbranch_scc0 .LBB217_58
	s_branch .LBB217_41
.LBB217_59:                             ;   in Loop: Header=BB217_30 Depth=2
	s_or_b64 exec, exec, s[80:81]
.LBB217_60:                             ;   in Loop: Header=BB217_30 Depth=2
	s_or_b64 exec, exec, s[78:79]
.LBB217_61:                             ;   in Loop: Header=BB217_30 Depth=2
	s_or_b64 exec, exec, s[76:77]
	s_waitcnt lgkmcnt(0)
	s_barrier
	s_and_saveexec_b64 s[26:27], s[24:25]
	s_cbranch_execz .LBB217_29
; %bb.62:                               ;   in Loop: Header=BB217_30 Depth=2
	v_lshlrev_b64 v[16:17], 3, v[16:17]
	v_mov_b32_e32 v5, s39
	v_add_co_u32_e32 v16, vcc, s38, v16
	v_addc_co_u32_e32 v17, vcc, v5, v17, vcc
	global_store_dwordx2 v[16:17], v[18:19], off
	s_branch .LBB217_29
.LBB217_63:                             ;   in Loop: Header=BB217_30 Depth=2
                                        ; implicit-def: $vgpr18_vgpr19
	s_branch .LBB217_38
.LBB217_64:                             ;   in Loop: Header=BB217_20 Depth=1
	s_andn2_b64 vcc, exec, s[68:69]
	s_cbranch_vccnz .LBB217_76
; %bb.65:                               ;   in Loop: Header=BB217_20 Depth=1
	s_load_dwordx4 s[24:27], s[58:59], 0x0
	s_waitcnt lgkmcnt(0)
	s_sub_u32 s72, s26, s28
	v_mov_b32_e32 v5, s25
	v_add_co_u32_e32 v20, vcc, s24, v37
	s_subb_u32 s73, s27, 0
	v_addc_co_u32_e32 v21, vcc, v5, v38, vcc
	v_cmp_gt_i64_e32 vcc, s[72:73], v[20:21]
	s_and_saveexec_b64 s[74:75], vcc
	s_cbranch_execz .LBB217_75
; %bb.66:                               ;   in Loop: Header=BB217_20 Depth=1
	v_readlane_b32 s76, v59, 0
	v_lshlrev_b64 v[16:17], 2, v[20:21]
	v_readlane_b32 s77, v59, 1
	v_mov_b32_e32 v5, s77
	v_add_co_u32_e32 v16, vcc, s76, v16
	v_addc_co_u32_e32 v17, vcc, v5, v17, vcc
	v_mad_u64_u32 v[18:19], s[26:27], s50, v20, v[12:13]
	v_mul_lo_u32 v5, s50, v21
	v_mul_lo_u32 v20, s51, v20
	v_add3_u32 v19, v20, v19, v5
	v_mov_b32_e32 v5, s25
	v_add_co_u32_e32 v20, vcc, s24, v43
	v_addc_co_u32_e32 v21, vcc, v44, v5, vcc
	s_mov_b64 s[76:77], 0
	v_readlane_b32 s78, v59, 2
	v_readlane_b32 s79, v59, 3
	;; [unrolled: 1-line block ×6, first 2 shown]
	s_branch .LBB217_69
.LBB217_67:                             ;   in Loop: Header=BB217_69 Depth=2
	s_or_b64 exec, exec, s[78:79]
	s_or_b64 s[24:25], s[24:25], exec
.LBB217_68:                             ;   in Loop: Header=BB217_69 Depth=2
	s_or_b64 exec, exec, s[26:27]
	v_cmp_le_i64_e32 vcc, s[72:73], v[20:21]
	s_xor_b64 s[24:25], s[24:25], -1
	s_or_b64 s[24:25], s[24:25], vcc
	v_add_co_u32_e32 v16, vcc, 64, v16
	v_addc_co_u32_e32 v17, vcc, 0, v17, vcc
	v_mov_b32_e32 v5, s65
	v_add_co_u32_e32 v18, vcc, s64, v18
	v_addc_co_u32_e32 v19, vcc, v19, v5, vcc
	s_and_b64 s[24:25], exec, s[24:25]
	v_add_co_u32_e32 v20, vcc, 16, v20
	s_or_b64 s[76:77], s[24:25], s[76:77]
	v_addc_co_u32_e32 v21, vcc, 0, v21, vcc
	s_andn2_b64 exec, exec, s[76:77]
	s_cbranch_execz .LBB217_74
.LBB217_69:                             ;   Parent Loop BB217_20 Depth=1
                                        ; =>  This Inner Loop Header: Depth=2
	global_load_dword v5, v[16:17], off
	s_waitcnt vmcnt(0)
	v_subrev_u32_e32 v5, s43, v5
	v_cmp_gt_i32_e64 s[24:25], s49, v5
	v_cmp_ge_i32_e64 s[26:27], v5, v0
	v_cmp_lt_i32_e32 vcc, v5, v0
	s_or_b64 s[26:27], s[24:25], s[26:27]
                                        ; implicit-def: $sgpr24_sgpr25
	s_and_saveexec_b64 s[78:79], s[26:27]
	s_xor_b64 s[26:27], exec, s[78:79]
; %bb.70:                               ;   in Loop: Header=BB217_69 Depth=2
	v_min_i32_e32 v5, v5, v3
	v_cndmask_b32_e32 v3, v5, v3, vcc
	s_and_b64 s[24:25], vcc, exec
                                        ; implicit-def: $vgpr5
; %bb.71:                               ;   in Loop: Header=BB217_69 Depth=2
	s_andn2_saveexec_b64 s[26:27], s[26:27]
	s_cbranch_execz .LBB217_68
; %bb.72:                               ;   in Loop: Header=BB217_69 Depth=2
	v_subrev_u32_e32 v5, s49, v5
	v_lshlrev_b32_e32 v22, 2, v5
	ds_write_b32 v22, v52 offset:6144
	s_and_saveexec_b64 s[78:79], s[6:7]
	s_cbranch_execz .LBB217_67
; %bb.73:                               ;   in Loop: Header=BB217_69 Depth=2
	global_load_dwordx2 v[22:23], v[18:19], off offset:-4
	v_lshlrev_b32_e32 v5, 4, v5
	v_or3_b32 v5, v5, v36, v7
	v_lshlrev_b32_e32 v5, 3, v5
	s_waitcnt vmcnt(0)
	v_mul_f32_e64 v24, v23, -s90
	v_mul_f32_e32 v23, s34, v23
	v_fmac_f32_e32 v24, s34, v22
	v_fmac_f32_e32 v23, s90, v22
	ds_add_f32 v5, v24
	ds_add_f32 v5, v23 offset:4
	s_branch .LBB217_67
.LBB217_74:                             ;   in Loop: Header=BB217_20 Depth=1
	s_or_b64 exec, exec, s[76:77]
.LBB217_75:                             ;   in Loop: Header=BB217_20 Depth=1
	s_or_b64 exec, exec, s[74:75]
.LBB217_76:                             ;   in Loop: Header=BB217_20 Depth=1
	s_and_saveexec_b64 s[24:25], s[10:11]
	s_cbranch_execz .LBB217_81
; %bb.77:                               ;   in Loop: Header=BB217_20 Depth=1
	s_mov_b64 s[26:27], exec
	s_brev_b32 s31, -2
.LBB217_78:                             ;   Parent Loop BB217_20 Depth=1
                                        ; =>  This Inner Loop Header: Depth=2
	s_ff1_i32_b64 s45, s[26:27]
	v_readlane_b32 s74, v3, s45
	s_lshl_b64 s[72:73], 1, s45
	s_min_i32 s31, s31, s74
	s_andn2_b64 s[26:27], s[26:27], s[72:73]
	s_cmp_lg_u64 s[26:27], 0
	s_cbranch_scc1 .LBB217_78
; %bb.79:                               ;   in Loop: Header=BB217_20 Depth=1
	v_mbcnt_lo_u32_b32 v0, exec_lo, 0
	v_mbcnt_hi_u32_b32 v0, exec_hi, v0
	v_cmp_eq_u32_e32 vcc, 0, v0
	s_and_saveexec_b64 s[26:27], vcc
	s_xor_b64 s[26:27], exec, s[26:27]
	s_cbranch_execz .LBB217_81
; %bb.80:                               ;   in Loop: Header=BB217_20 Depth=1
	v_mov_b32_e32 v0, s31
	ds_min_i32 v4, v0 offset:6272
.LBB217_81:                             ;   in Loop: Header=BB217_20 Depth=1
	s_or_b64 exec, exec, s[24:25]
	s_waitcnt lgkmcnt(0)
	s_barrier
	ds_read_b32 v0, v39
	s_waitcnt lgkmcnt(0)
	s_barrier
	s_and_saveexec_b64 s[24:25], s[14:15]
	s_cbranch_execz .LBB217_83
; %bb.82:                               ;   in Loop: Header=BB217_20 Depth=1
	ds_read_b32 v3, v40
	s_waitcnt lgkmcnt(0)
	v_add_u32_e32 v0, v3, v0
.LBB217_83:                             ;   in Loop: Header=BB217_20 Depth=1
	s_or_b64 exec, exec, s[24:25]
	s_barrier
	ds_write_b32 v39, v0
	s_waitcnt lgkmcnt(0)
	s_barrier
	s_and_saveexec_b64 s[24:25], s[16:17]
	s_cbranch_execz .LBB217_85
; %bb.84:                               ;   in Loop: Header=BB217_20 Depth=1
	ds_read_b32 v3, v42
	s_waitcnt lgkmcnt(0)
	v_add_u32_e32 v0, v3, v0
.LBB217_85:                             ;   in Loop: Header=BB217_20 Depth=1
	s_or_b64 exec, exec, s[24:25]
	s_barrier
	ds_write_b32 v39, v0
	;; [unrolled: 12-line block ×5, first 2 shown]
	s_waitcnt lgkmcnt(0)
	s_barrier
	ds_read_b32 v5, v4 offset:6268
	v_mov_b32_e32 v3, 0
	s_and_saveexec_b64 s[24:25], s[12:13]
	s_cbranch_execz .LBB217_93
; %bb.92:                               ;   in Loop: Header=BB217_20 Depth=1
	ds_read_b32 v3, v40
.LBB217_93:                             ;   in Loop: Header=BB217_20 Depth=1
	s_or_b64 exec, exec, s[24:25]
	s_waitcnt lgkmcnt(0)
	v_cmp_eq_u32_e32 vcc, v0, v3
	s_and_b64 s[26:27], s[12:13], vcc
	s_barrier
	s_and_saveexec_b64 s[24:25], s[26:27]
	s_cbranch_execz .LBB217_95
; %bb.94:                               ;   in Loop: Header=BB217_20 Depth=1
	ds_write_b32 v39, v4
.LBB217_95:                             ;   in Loop: Header=BB217_20 Depth=1
	s_or_b64 exec, exec, s[24:25]
	s_waitcnt lgkmcnt(0)
	s_barrier
	s_and_saveexec_b64 s[24:25], s[2:3]
	s_cbranch_execz .LBB217_19
; %bb.96:                               ;   in Loop: Header=BB217_20 Depth=1
	v_add_co_u32_e32 v16, vcc, -1, v14
	v_addc_co_u32_e32 v17, vcc, -1, v15, vcc
	s_add_i32 s31, s42, s49
	s_mov_b64 s[26:27], 0
	v_mov_b32_e32 v18, v51
	v_mov_b32_e32 v19, v32
	v_mov_b32_e32 v20, v2
	s_branch .LBB217_98
.LBB217_97:                             ;   in Loop: Header=BB217_98 Depth=2
	s_or_b64 exec, exec, s[72:73]
	v_add_u32_e32 v0, 16, v20
	v_cmp_lt_u32_e32 vcc, 15, v20
	v_add_u32_e32 v19, 0x800, v19
	v_add_u32_e32 v18, 64, v18
	s_or_b64 s[26:27], vcc, s[26:27]
	v_mov_b32_e32 v20, v0
	s_andn2_b64 exec, exec, s[26:27]
	s_cbranch_execz .LBB217_19
.LBB217_98:                             ;   Parent Loop BB217_20 Depth=1
                                        ; =>  This Inner Loop Header: Depth=2
	ds_read_b32 v0, v18
	s_waitcnt lgkmcnt(0)
	v_cmp_ne_u32_e32 vcc, 0, v0
	s_and_saveexec_b64 s[72:73], vcc
	s_cbranch_execz .LBB217_97
; %bb.99:                               ;   in Loop: Header=BB217_98 Depth=2
	v_ashrrev_i32_e32 v3, 31, v0
	v_add_co_u32_e32 v22, vcc, v14, v0
	v_addc_co_u32_e32 v23, vcc, v15, v3, vcc
	v_lshlrev_b64 v[22:23], 2, v[22:23]
	v_mov_b32_e32 v24, s44
	v_add_co_u32_e32 v22, vcc, s95, v22
	v_add_u32_e32 v21, s31, v20
	v_addc_co_u32_e32 v23, vcc, v24, v23, vcc
	global_store_dword v[22:23], v21, off
	s_and_b64 exec, exec, s[6:7]
	s_cbranch_execz .LBB217_97
; %bb.100:                              ;   in Loop: Header=BB217_98 Depth=2
	v_add_co_u32_e32 v0, vcc, v16, v0
	v_mad_u64_u32 v[22:23], s[74:75], v0, s48, 0
	v_addc_co_u32_e32 v3, vcc, v17, v3, vcc
	v_mov_b32_e32 v0, v23
	v_mad_u64_u32 v[24:25], s[74:75], v3, s48, v[0:1]
	v_mov_b32_e32 v23, v24
	ds_read_b64 v[24:25], v19
	v_lshlrev_b64 v[22:23], 3, v[22:23]
	v_add_co_u32_e32 v22, vcc, v6, v22
	v_addc_co_u32_e32 v23, vcc, v1, v23, vcc
	s_waitcnt lgkmcnt(0)
	global_store_dwordx2 v[22:23], v[24:25], off
	s_branch .LBB217_97
.LBB217_101:
	s_endpgm
	.section	.rodata,"a",@progbits
	.p2align	6, 0x0
	.amdhsa_kernel _ZN9rocsparseL38bsrgemm_block_per_row_atomic_multipassILj256ELj32ELj4Eli21rocsparse_complex_numIfEEEv20rocsparse_direction_T3_S4_PKS4_S6_NS_24const_host_device_scalarIT4_EEPKT2_S6_PKS8_SC_S6_SE_S9_SC_S6_SE_SC_PS4_PS8_PSA_21rocsparse_index_base_SI_SI_SI_bbb
		.amdhsa_group_segment_fixed_size 6276
		.amdhsa_private_segment_fixed_size 0
		.amdhsa_kernarg_size 172
		.amdhsa_user_sgpr_count 6
		.amdhsa_user_sgpr_private_segment_buffer 1
		.amdhsa_user_sgpr_dispatch_ptr 0
		.amdhsa_user_sgpr_queue_ptr 0
		.amdhsa_user_sgpr_kernarg_segment_ptr 1
		.amdhsa_user_sgpr_dispatch_id 0
		.amdhsa_user_sgpr_flat_scratch_init 0
		.amdhsa_user_sgpr_kernarg_preload_length 0
		.amdhsa_user_sgpr_kernarg_preload_offset 0
		.amdhsa_user_sgpr_private_segment_size 0
		.amdhsa_uses_dynamic_stack 0
		.amdhsa_system_sgpr_private_segment_wavefront_offset 0
		.amdhsa_system_sgpr_workgroup_id_x 1
		.amdhsa_system_sgpr_workgroup_id_y 0
		.amdhsa_system_sgpr_workgroup_id_z 0
		.amdhsa_system_sgpr_workgroup_info 0
		.amdhsa_system_vgpr_workitem_id 0
		.amdhsa_next_free_vgpr 60
		.amdhsa_next_free_sgpr 96
		.amdhsa_accum_offset 60
		.amdhsa_reserve_vcc 1
		.amdhsa_reserve_flat_scratch 0
		.amdhsa_float_round_mode_32 0
		.amdhsa_float_round_mode_16_64 0
		.amdhsa_float_denorm_mode_32 3
		.amdhsa_float_denorm_mode_16_64 3
		.amdhsa_dx10_clamp 1
		.amdhsa_ieee_mode 1
		.amdhsa_fp16_overflow 0
		.amdhsa_tg_split 0
		.amdhsa_exception_fp_ieee_invalid_op 0
		.amdhsa_exception_fp_denorm_src 0
		.amdhsa_exception_fp_ieee_div_zero 0
		.amdhsa_exception_fp_ieee_overflow 0
		.amdhsa_exception_fp_ieee_underflow 0
		.amdhsa_exception_fp_ieee_inexact 0
		.amdhsa_exception_int_div_zero 0
	.end_amdhsa_kernel
	.section	.text._ZN9rocsparseL38bsrgemm_block_per_row_atomic_multipassILj256ELj32ELj4Eli21rocsparse_complex_numIfEEEv20rocsparse_direction_T3_S4_PKS4_S6_NS_24const_host_device_scalarIT4_EEPKT2_S6_PKS8_SC_S6_SE_S9_SC_S6_SE_SC_PS4_PS8_PSA_21rocsparse_index_base_SI_SI_SI_bbb,"axG",@progbits,_ZN9rocsparseL38bsrgemm_block_per_row_atomic_multipassILj256ELj32ELj4Eli21rocsparse_complex_numIfEEEv20rocsparse_direction_T3_S4_PKS4_S6_NS_24const_host_device_scalarIT4_EEPKT2_S6_PKS8_SC_S6_SE_S9_SC_S6_SE_SC_PS4_PS8_PSA_21rocsparse_index_base_SI_SI_SI_bbb,comdat
.Lfunc_end217:
	.size	_ZN9rocsparseL38bsrgemm_block_per_row_atomic_multipassILj256ELj32ELj4Eli21rocsparse_complex_numIfEEEv20rocsparse_direction_T3_S4_PKS4_S6_NS_24const_host_device_scalarIT4_EEPKT2_S6_PKS8_SC_S6_SE_S9_SC_S6_SE_SC_PS4_PS8_PSA_21rocsparse_index_base_SI_SI_SI_bbb, .Lfunc_end217-_ZN9rocsparseL38bsrgemm_block_per_row_atomic_multipassILj256ELj32ELj4Eli21rocsparse_complex_numIfEEEv20rocsparse_direction_T3_S4_PKS4_S6_NS_24const_host_device_scalarIT4_EEPKT2_S6_PKS8_SC_S6_SE_S9_SC_S6_SE_SC_PS4_PS8_PSA_21rocsparse_index_base_SI_SI_SI_bbb
                                        ; -- End function
	.section	.AMDGPU.csdata,"",@progbits
; Kernel info:
; codeLenInByte = 3608
; NumSgprs: 100
; NumVgprs: 60
; NumAgprs: 0
; TotalNumVgprs: 60
; ScratchSize: 0
; MemoryBound: 0
; FloatMode: 240
; IeeeMode: 1
; LDSByteSize: 6276 bytes/workgroup (compile time only)
; SGPRBlocks: 12
; VGPRBlocks: 7
; NumSGPRsForWavesPerEU: 100
; NumVGPRsForWavesPerEU: 60
; AccumOffset: 60
; Occupancy: 8
; WaveLimiterHint : 1
; COMPUTE_PGM_RSRC2:SCRATCH_EN: 0
; COMPUTE_PGM_RSRC2:USER_SGPR: 6
; COMPUTE_PGM_RSRC2:TRAP_HANDLER: 0
; COMPUTE_PGM_RSRC2:TGID_X_EN: 1
; COMPUTE_PGM_RSRC2:TGID_Y_EN: 0
; COMPUTE_PGM_RSRC2:TGID_Z_EN: 0
; COMPUTE_PGM_RSRC2:TIDIG_COMP_CNT: 0
; COMPUTE_PGM_RSRC3_GFX90A:ACCUM_OFFSET: 14
; COMPUTE_PGM_RSRC3_GFX90A:TG_SPLIT: 0
	.section	.text._ZN9rocsparseL38bsrgemm_block_per_row_atomic_multipassILj256ELj64ELj4Eli21rocsparse_complex_numIfEEEv20rocsparse_direction_T3_S4_PKS4_S6_NS_24const_host_device_scalarIT4_EEPKT2_S6_PKS8_SC_S6_SE_S9_SC_S6_SE_SC_PS4_PS8_PSA_21rocsparse_index_base_SI_SI_SI_bbb,"axG",@progbits,_ZN9rocsparseL38bsrgemm_block_per_row_atomic_multipassILj256ELj64ELj4Eli21rocsparse_complex_numIfEEEv20rocsparse_direction_T3_S4_PKS4_S6_NS_24const_host_device_scalarIT4_EEPKT2_S6_PKS8_SC_S6_SE_S9_SC_S6_SE_SC_PS4_PS8_PSA_21rocsparse_index_base_SI_SI_SI_bbb,comdat
	.globl	_ZN9rocsparseL38bsrgemm_block_per_row_atomic_multipassILj256ELj64ELj4Eli21rocsparse_complex_numIfEEEv20rocsparse_direction_T3_S4_PKS4_S6_NS_24const_host_device_scalarIT4_EEPKT2_S6_PKS8_SC_S6_SE_S9_SC_S6_SE_SC_PS4_PS8_PSA_21rocsparse_index_base_SI_SI_SI_bbb ; -- Begin function _ZN9rocsparseL38bsrgemm_block_per_row_atomic_multipassILj256ELj64ELj4Eli21rocsparse_complex_numIfEEEv20rocsparse_direction_T3_S4_PKS4_S6_NS_24const_host_device_scalarIT4_EEPKT2_S6_PKS8_SC_S6_SE_S9_SC_S6_SE_SC_PS4_PS8_PSA_21rocsparse_index_base_SI_SI_SI_bbb
	.p2align	8
	.type	_ZN9rocsparseL38bsrgemm_block_per_row_atomic_multipassILj256ELj64ELj4Eli21rocsparse_complex_numIfEEEv20rocsparse_direction_T3_S4_PKS4_S6_NS_24const_host_device_scalarIT4_EEPKT2_S6_PKS8_SC_S6_SE_S9_SC_S6_SE_SC_PS4_PS8_PSA_21rocsparse_index_base_SI_SI_SI_bbb,@function
_ZN9rocsparseL38bsrgemm_block_per_row_atomic_multipassILj256ELj64ELj4Eli21rocsparse_complex_numIfEEEv20rocsparse_direction_T3_S4_PKS4_S6_NS_24const_host_device_scalarIT4_EEPKT2_S6_PKS8_SC_S6_SE_S9_SC_S6_SE_SC_PS4_PS8_PSA_21rocsparse_index_base_SI_SI_SI_bbb: ; @_ZN9rocsparseL38bsrgemm_block_per_row_atomic_multipassILj256ELj64ELj4Eli21rocsparse_complex_numIfEEEv20rocsparse_direction_T3_S4_PKS4_S6_NS_24const_host_device_scalarIT4_EEPKT2_S6_PKS8_SC_S6_SE_S9_SC_S6_SE_SC_PS4_PS8_PSA_21rocsparse_index_base_SI_SI_SI_bbb
; %bb.0:
	s_load_dwordx8 s[36:43], s[4:5], 0x88
	s_load_dword s2, s[4:5], 0xa8
	s_load_dwordx8 s[8:15], s[4:5], 0x68
                                        ; implicit-def: $vgpr61 : SGPR spill to VGPR lane
	s_mov_b32 s35, 0
	s_mov_b32 s33, 0
	s_waitcnt lgkmcnt(0)
	s_bitcmp1_b32 s2, 0
	v_writelane_b32 v61, s8, 0
	v_writelane_b32 v61, s9, 1
	;; [unrolled: 1-line block ×8, first 2 shown]
	s_load_dwordx8 s[52:59], s[4:5], 0x48
	s_load_dwordx4 s[8:11], s[4:5], 0x10
	s_load_dwordx8 s[60:67], s[4:5], 0x28
	s_cselect_b64 s[12:13], -1, 0
	s_bitcmp1_b32 s2, 16
	s_cselect_b64 s[0:1], -1, 0
	s_xor_b64 s[0:1], s[0:1], -1
	v_cndmask_b32_e64 v1, 0, 1, s[0:1]
	s_bitcmp0_b32 s2, 0
	v_cmp_ne_u32_e64 s[0:1], 1, v1
	s_cbranch_scc1 .LBB218_5
; %bb.1:
	s_load_dwordx2 s[34:35], s[4:5], 0x20
	s_and_b64 vcc, exec, s[0:1]
	s_waitcnt lgkmcnt(0)
	s_mov_b32 s33, s34
	s_cbranch_vccnz .LBB218_3
; %bb.2:
	s_load_dword s33, s[34:35], 0x0
.LBB218_3:
	s_and_b64 vcc, exec, s[0:1]
	s_cbranch_vccnz .LBB218_5
; %bb.4:
	s_load_dword s35, s[34:35], 0x4
.LBB218_5:
	s_bitcmp1_b32 s2, 8
	s_cselect_b64 s[68:69], -1, 0
	s_bfe_u32 s2, s2, 0x10008
	s_mov_b32 s90, 0
	s_cmp_eq_u32 s2, 0
	s_mov_b32 s34, 0
	s_cbranch_scc1 .LBB218_11
; %bb.6:
	s_and_b64 vcc, exec, s[0:1]
	s_waitcnt lgkmcnt(0)
	s_mov_b32 s34, s56
	s_cbranch_vccnz .LBB218_8
; %bb.7:
	s_load_dword s34, s[56:57], 0x0
.LBB218_8:
	s_and_b64 vcc, exec, s[0:1]
	s_cbranch_vccnz .LBB218_10
; %bb.9:
	s_load_dword s57, s[56:57], 0x4
.LBB218_10:
	s_waitcnt lgkmcnt(0)
	s_mov_b32 s90, s57
.LBB218_11:
	s_waitcnt lgkmcnt(0)
	s_cmp_eq_u64 s[10:11], 0
	s_mov_b64 s[56:57], 0
	s_cbranch_scc1 .LBB218_13
; %bb.12:
	s_load_dword s0, s[8:9], 0x0
	s_mov_b32 s1, 0
	s_waitcnt lgkmcnt(0)
	s_add_i32 s0, s0, s6
	s_lshl_b64 s[0:1], s[0:1], 2
	s_add_u32 s0, s10, s0
	s_addc_u32 s1, s11, s1
	s_load_dword s6, s[0:1], 0x0
.LBB218_13:
	v_cndmask_b32_e64 v1, 0, 1, s[12:13]
	v_cmp_ne_u32_e64 s[0:1], 1, v1
	s_andn2_b64 vcc, exec, s[12:13]
	s_cbranch_vccz .LBB218_16
; %bb.14:
	s_and_b64 vcc, exec, s[0:1]
	s_mov_b64 s[70:71], 0
	s_cbranch_vccz .LBB218_17
.LBB218_15:
	s_load_dwordx4 s[28:31], s[4:5], 0x0
	s_waitcnt lgkmcnt(0)
	s_cmp_lt_i32 s29, 1
	s_cbranch_scc0 .LBB218_18
	s_branch .LBB218_101
.LBB218_16:
	s_waitcnt lgkmcnt(0)
	s_ashr_i32 s7, s6, 31
	s_lshl_b64 s[2:3], s[6:7], 3
	s_add_u32 s2, s60, s2
	s_addc_u32 s3, s61, s3
	s_load_dwordx2 s[2:3], s[2:3], 0x0
	s_waitcnt lgkmcnt(0)
	s_sub_u32 s56, s2, s40
	s_subb_u32 s57, s3, 0
	s_and_b64 vcc, exec, s[0:1]
	s_mov_b64 s[70:71], 0
	s_cbranch_vccnz .LBB218_15
.LBB218_17:
	s_waitcnt lgkmcnt(0)
	s_ashr_i32 s7, s6, 31
	s_lshl_b64 s[0:1], s[6:7], 3
	s_add_u32 s0, s60, s0
	s_addc_u32 s1, s61, s1
	s_load_dwordx2 s[0:1], s[0:1], 0x8
	s_waitcnt lgkmcnt(0)
	s_sub_u32 s70, s0, s40
	s_subb_u32 s71, s1, 0
	s_load_dwordx4 s[28:31], s[4:5], 0x0
	s_waitcnt lgkmcnt(0)
	s_cmp_lt_i32 s29, 1
	s_cbranch_scc1 .LBB218_101
.LBB218_18:
	v_pk_mov_b32 v[4:5], s[70:71], s[70:71] op_sel:[0,1]
	v_bfe_u32 v3, v0, 2, 2
	v_cmp_lt_i64_e32 vcc, s[56:57], v[4:5]
	v_mov_b32_e32 v4, 0
	v_and_b32_e32 v7, 3, v0
	v_mul_lo_u32 v8, v3, s30
	v_mov_b32_e32 v9, v4
	s_ashr_i32 s7, s6, 31
	v_max_i32_e32 v5, v7, v3
	v_lshlrev_b64 v[8:9], 3, v[8:9]
	s_lshl_b64 s[10:11], s[6:7], 3
	v_cmp_gt_i32_e64 s[4:5], s30, v5
	v_cmp_le_i32_e64 s[6:7], s30, v5
	v_mov_b32_e32 v5, s65
	v_add_co_u32_e64 v6, s[8:9], s64, v8
	v_addc_co_u32_e64 v5, s[8:9], v5, v9, s[8:9]
	v_lshlrev_b32_e32 v12, 3, v7
	v_add_co_u32_e64 v34, s[8:9], v6, v12
	v_mul_lo_u32 v10, v7, s30
	v_mov_b32_e32 v11, v4
	v_addc_co_u32_e64 v35, s[8:9], 0, v5, s[8:9]
	v_lshlrev_b64 v[10:11], 3, v[10:11]
	v_mov_b32_e32 v5, s37
	v_add_co_u32_e64 v6, s[8:9], s36, v10
	v_lshlrev_b32_e32 v3, 3, v3
	v_addc_co_u32_e64 v13, s[8:9], v5, v11, s[8:9]
	v_add_co_u32_e64 v6, s[8:9], v6, v3
	v_addc_co_u32_e64 v13, s[8:9], 0, v13, s[8:9]
	v_readlane_b32 s44, v61, 0
	v_add_co_u32_e64 v14, s[8:9], s36, v8
	v_readlane_b32 s48, v61, 4
	v_addc_co_u32_e64 v5, s[8:9], v5, v9, s[8:9]
	v_readlane_b32 s49, v61, 5
	s_add_u32 s0, s48, s10
	v_add_co_u32_e64 v14, s[8:9], v14, v12
	s_addc_u32 s1, s49, s11
	v_lshrrev_b32_e32 v2, 4, v0
	v_addc_co_u32_e64 v5, s[8:9], 0, v5, s[8:9]
	s_load_dwordx2 s[0:1], s[0:1], 0x0
	v_subrev_co_u32_e64 v37, s[8:9], s43, v2
	v_readlane_b32 s46, v61, 2
	v_readlane_b32 s47, v61, 3
	v_subb_co_u32_e64 v38, s[8:9], 0, 0, s[8:9]
	v_mov_b32_e32 v15, s47
	v_add_co_u32_e64 v16, s[8:9], s46, v10
	v_addc_co_u32_e64 v17, s[8:9], v15, v11, s[8:9]
	v_add_co_u32_e64 v16, s[8:9], v16, v3
	s_waitcnt lgkmcnt(0)
	s_sub_u32 s26, s0, s42
	v_addc_co_u32_e64 v17, s[8:9], 0, v17, s[8:9]
	s_subb_u32 s27, s1, 0
	v_add_co_u32_e64 v8, s[8:9], s46, v8
	s_cmp_eq_u32 s28, 0
	v_addc_co_u32_e64 v9, s[8:9], v15, v9, s[8:9]
	s_cselect_b64 s[24:25], -1, 0
	s_cmp_lg_u32 s28, 0
	v_add_co_u32_e64 v8, s[8:9], v8, v12
	v_and_b32_e32 v1, 15, v0
	s_cselect_b64 s[36:37], -1, 0
	s_cmp_gt_i32 s30, 0
	v_addc_co_u32_e64 v9, s[8:9], 0, v9, s[8:9]
	v_mov_b32_e32 v19, 0x2800
	v_cmp_gt_u32_e64 s[0:1], 64, v0
	v_cmp_eq_u32_e64 s[2:3], 0, v0
	v_lshlrev_b32_e32 v32, 3, v0
	s_movk_i32 s31, 0x2000
	s_cselect_b64 s[60:61], -1, 0
	v_and_b32_e32 v36, 12, v0
	s_add_u32 s58, s58, s10
	v_cmp_eq_u32_e64 s[8:9], 15, v1
	v_and_b32_e32 v1, 63, v0
	v_lshl_or_b32 v41, v0, 2, v19
	v_or_b32_e32 v47, 0xffffff00, v0
	v_lshlrev_b32_e32 v0, 7, v2
	s_addc_u32 s59, s59, s11
	s_and_b64 s[46:47], s[12:13], vcc
	v_or3_b32 v48, v0, v3, s31
	v_mov_b32_e32 v0, s55
	v_add_co_u32_e32 v3, vcc, s54, v10
	v_lshlrev_b32_e32 v15, 2, v1
	v_add_co_u32_e64 v18, s[10:11], -1, v1
	v_cmp_ne_u32_e64 s[12:13], 0, v1
	v_cmp_lt_u32_e64 s[14:15], 1, v1
	v_cmp_lt_u32_e64 s[16:17], 3, v1
	;; [unrolled: 1-line block ×5, first 2 shown]
	v_cndmask_b32_e64 v1, v13, v5, s[24:25]
	v_cndmask_b32_e64 v5, v17, v9, s[24:25]
	v_addc_co_u32_e32 v9, vcc, v11, v0, vcc
	v_cndmask_b32_e64 v13, v16, v8, s[24:25]
	v_add_co_u32_e32 v8, vcc, 4, v3
	v_addc_co_u32_e32 v9, vcc, 0, v9, vcc
	v_add_co_u32_e32 v3, vcc, s54, v12
	v_addc_co_u32_e32 v0, vcc, 0, v0, vcc
	;; [unrolled: 2-line block ×3, first 2 shown]
	s_add_u32 s93, s66, 8
	v_add_co_u32_e32 v12, vcc, 4, v13
	v_readlane_b32 s50, v61, 6
	s_mov_b32 s49, 0
	s_addc_u32 s94, s67, 0
	v_addc_co_u32_e32 v13, vcc, 0, v5, vcc
	v_readlane_b32 s51, v61, 7
	s_mul_i32 s48, s30, s30
	s_add_u32 s95, s50, -4
	s_mov_b32 s31, s49
	v_and_b32_e32 v0, 0x7e0, v32
	v_add_co_u32_e32 v50, vcc, 16, v37
	v_or_b32_e32 v33, 0x2000, v32
	s_mov_b32 s91, s41
	s_mov_b32 s92, s49
	;; [unrolled: 1-line block ×3, first 2 shown]
	v_or_b32_e32 v39, 0x2800, v15
	v_lshl_add_u32 v40, v18, 2, v19
	v_add_u32_e32 v42, 0x27f8, v15
	v_add_u32_e32 v43, 0x27f0, v15
	;; [unrolled: 1-line block ×5, first 2 shown]
	v_cndmask_b32_e64 v6, v6, v14, s[24:25]
	s_addc_u32 s44, s51, -1
	s_lshl_b64 s[50:51], s[48:49], 3
	s_lshl_b64 s[54:55], s[30:31], 3
	v_or_b32_e32 v49, 0x2000, v0
	s_lshl_b64 s[64:65], s[48:49], 7
	v_addc_co_u32_e32 v51, vcc, 0, v38, vcc
	v_lshl_or_b32 v52, v2, 2, v19
	v_mov_b32_e32 v0, 64
	v_pk_mov_b32 v[14:15], s[26:27], s[26:27] op_sel:[0,1]
	s_movk_i32 s31, 0x2ff
	v_mov_b32_e32 v53, 1
	v_mov_b32_e32 v5, v4
	v_readlane_b32 s45, v61, 1
	s_branch .LBB218_20
.LBB218_19:                             ;   in Loop: Header=BB218_20 Depth=1
	s_or_b64 exec, exec, s[24:25]
	s_barrier
	ds_read_b32 v3, v4 offset:10496
	v_ashrrev_i32_e32 v0, 31, v16
	v_add_co_u32_e32 v14, vcc, v14, v16
	v_addc_co_u32_e32 v15, vcc, v15, v0, vcc
	s_waitcnt lgkmcnt(0)
	v_cmp_le_i32_e32 vcc, s29, v3
	v_readfirstlane_b32 s49, v3
	v_add_u32_e32 v0, 64, v3
	s_barrier
	s_cbranch_vccnz .LBB218_101
.LBB218_20:                             ; =>This Loop Header: Depth=1
                                        ;     Child Loop BB218_23 Depth 2
                                        ;     Child Loop BB218_29 Depth 2
                                        ;       Child Loop BB218_43 Depth 3
                                        ;         Child Loop BB218_52 Depth 4
                                        ;         Child Loop BB218_57 Depth 4
                                        ;     Child Loop BB218_68 Depth 2
                                        ;     Child Loop BB218_77 Depth 2
	;; [unrolled: 1-line block ×3, first 2 shown]
	s_and_saveexec_b64 s[24:25], s[0:1]
	s_cbranch_execz .LBB218_22
; %bb.21:                               ;   in Loop: Header=BB218_20 Depth=1
	ds_write_b32 v41, v4
.LBB218_22:                             ;   in Loop: Header=BB218_20 Depth=1
	s_or_b64 exec, exec, s[24:25]
	s_mov_b64 s[24:25], 0
	v_mov_b32_e32 v3, v32
	v_mov_b32_e32 v16, v47
.LBB218_23:                             ;   Parent Loop BB218_20 Depth=1
                                        ; =>  This Inner Loop Header: Depth=2
	v_add_u32_e32 v16, 0x100, v16
	v_cmp_lt_u32_e32 vcc, s31, v16
	ds_write_b64 v3, v[4:5]
	s_or_b64 s[24:25], vcc, s[24:25]
	v_add_u32_e32 v3, 0x800, v3
	s_andn2_b64 exec, exec, s[24:25]
	s_cbranch_execnz .LBB218_23
; %bb.24:                               ;   in Loop: Header=BB218_20 Depth=1
	s_or_b64 exec, exec, s[24:25]
	s_and_saveexec_b64 s[24:25], s[2:3]
	s_cbranch_execz .LBB218_26
; %bb.25:                               ;   in Loop: Header=BB218_20 Depth=1
	v_mov_b32_e32 v3, s29
	ds_write_b32 v4, v3 offset:10496
.LBB218_26:                             ;   in Loop: Header=BB218_20 Depth=1
	s_or_b64 exec, exec, s[24:25]
	s_andn2_b64 vcc, exec, s[46:47]
	v_mov_b32_e32 v3, s29
	s_waitcnt lgkmcnt(0)
	s_barrier
	s_cbranch_vccnz .LBB218_63
; %bb.27:                               ;   in Loop: Header=BB218_20 Depth=1
	s_cmp_lg_u32 s49, 0
	s_cselect_b64 s[72:73], -1, 0
	v_mov_b32_e32 v3, s29
	s_mov_b64 s[74:75], s[56:57]
	s_branch .LBB218_29
.LBB218_28:                             ;   in Loop: Header=BB218_29 Depth=2
	s_or_b64 exec, exec, s[26:27]
	s_add_u32 s74, s74, 16
	s_addc_u32 s75, s75, 0
	v_pk_mov_b32 v[16:17], s[70:71], s[70:71] op_sel:[0,1]
	v_cmp_lt_i64_e32 vcc, s[74:75], v[16:17]
	s_cbranch_vccz .LBB218_63
.LBB218_29:                             ;   Parent Loop BB218_20 Depth=1
                                        ; =>  This Loop Header: Depth=2
                                        ;       Child Loop BB218_43 Depth 3
                                        ;         Child Loop BB218_52 Depth 4
                                        ;         Child Loop BB218_57 Depth 4
	v_mov_b32_e32 v17, s75
	v_add_co_u32_e32 v16, vcc, s74, v2
	v_addc_co_u32_e32 v17, vcc, 0, v17, vcc
	v_cmp_gt_i64_e64 s[24:25], s[70:71], v[16:17]
	s_barrier
	s_and_saveexec_b64 s[26:27], s[24:25]
	s_cbranch_execz .LBB218_34
; %bb.30:                               ;   in Loop: Header=BB218_29 Depth=2
	s_and_saveexec_b64 s[76:77], s[6:7]
	s_xor_b64 s[76:77], exec, s[76:77]
	s_cbranch_execz .LBB218_32
; %bb.31:                               ;   in Loop: Header=BB218_29 Depth=2
	ds_write_b64 v33, v[4:5]
.LBB218_32:                             ;   in Loop: Header=BB218_29 Depth=2
	s_andn2_saveexec_b64 s[76:77], s[76:77]
	s_cbranch_execz .LBB218_34
; %bb.33:                               ;   in Loop: Header=BB218_29 Depth=2
	v_mad_u64_u32 v[18:19], s[76:77], v16, s48, 0
	v_mov_b32_e32 v20, v19
	v_mad_u64_u32 v[20:21], s[76:77], v17, s48, v[20:21]
	v_mov_b32_e32 v19, v20
	v_lshlrev_b64 v[18:19], 3, v[18:19]
	v_add_co_u32_e32 v18, vcc, v34, v18
	v_addc_co_u32_e32 v19, vcc, v35, v19, vcc
	global_load_dwordx2 v[18:19], v[18:19], off
	s_waitcnt vmcnt(0)
	ds_write_b64 v33, v[18:19]
.LBB218_34:                             ;   in Loop: Header=BB218_29 Depth=2
	s_or_b64 exec, exec, s[26:27]
	v_pk_mov_b32 v[18:19], 0, 0
	s_waitcnt lgkmcnt(0)
	s_barrier
	s_and_saveexec_b64 s[76:77], s[24:25]
	s_cbranch_execz .LBB218_60
; %bb.35:                               ;   in Loop: Header=BB218_29 Depth=2
	v_lshlrev_b64 v[18:19], 2, v[16:17]
	v_mov_b32_e32 v20, s63
	v_add_co_u32_e32 v18, vcc, s62, v18
	v_addc_co_u32_e32 v19, vcc, v20, v19, vcc
	global_load_dword v18, v[18:19], off
	s_and_b64 vcc, exec, s[72:73]
	s_waitcnt vmcnt(0)
	v_subrev_u32_e32 v20, s40, v18
	v_ashrrev_i32_e32 v21, 31, v20
	s_cbranch_vccz .LBB218_62
; %bb.36:                               ;   in Loop: Header=BB218_29 Depth=2
	v_lshlrev_b64 v[18:19], 3, v[16:17]
	v_mov_b32_e32 v22, s39
	v_add_co_u32_e32 v18, vcc, s38, v18
	v_addc_co_u32_e32 v19, vcc, v22, v19, vcc
	global_load_dwordx2 v[18:19], v[18:19], off
	s_cbranch_execnz .LBB218_38
.LBB218_37:                             ;   in Loop: Header=BB218_29 Depth=2
	s_waitcnt vmcnt(0)
	v_lshlrev_b64 v[18:19], 3, v[20:21]
	v_mov_b32_e32 v22, s67
	v_add_co_u32_e32 v18, vcc, s66, v18
	v_addc_co_u32_e32 v19, vcc, v22, v19, vcc
	global_load_dwordx2 v[18:19], v[18:19], off
	v_mov_b32_e32 v22, s92
	s_waitcnt vmcnt(0)
	v_subrev_co_u32_e32 v18, vcc, s91, v18
	v_subb_co_u32_e32 v19, vcc, v19, v22, vcc
.LBB218_38:                             ;   in Loop: Header=BB218_29 Depth=2
	v_lshlrev_b64 v[20:21], 3, v[20:21]
	v_mov_b32_e32 v22, s94
	v_add_co_u32_e32 v20, vcc, s93, v20
	v_addc_co_u32_e32 v21, vcc, v22, v21, vcc
	global_load_dwordx2 v[20:21], v[20:21], off
	v_mov_b32_e32 v22, s92
	s_waitcnt vmcnt(0)
	v_subrev_co_u32_e32 v20, vcc, s91, v20
	v_subb_co_u32_e32 v21, vcc, v21, v22, vcc
	v_cmp_lt_i64_e32 vcc, v[18:19], v[20:21]
	s_and_saveexec_b64 s[78:79], vcc
	s_cbranch_execz .LBB218_59
; %bb.39:                               ;   in Loop: Header=BB218_29 Depth=2
	v_mad_u64_u32 v[22:23], s[26:27], s50, v18, v[8:9]
	v_mul_lo_u32 v26, s50, v19
	v_mul_lo_u32 v27, s51, v18
	v_mad_u64_u32 v[24:25], s[26:27], s50, v18, v[10:11]
	v_add3_u32 v23, v27, v23, v26
	v_add3_u32 v25, v27, v25, v26
	s_mov_b64 s[80:81], 0
	v_pk_mov_b32 v[26:27], v[18:19], v[18:19] op_sel:[0,1]
	s_branch .LBB218_43
.LBB218_40:                             ;   in Loop: Header=BB218_43 Depth=3
	v_lshlrev_b32_e32 v30, 4, v54
	v_or3_b32 v30, v30, v36, v7
	v_mul_f32_e64 v31, v29, -s35
	v_lshlrev_b32_e32 v30, 3, v30
	v_fmac_f32_e32 v31, s33, v28
	v_mul_f32_e32 v29, s33, v29
	v_fmac_f32_e32 v29, s35, v28
	ds_add_f32 v30, v31
	ds_add_f32 v30, v29 offset:4
.LBB218_41:                             ;   in Loop: Header=BB218_43 Depth=3
	s_or_b64 exec, exec, s[86:87]
	s_or_b64 s[82:83], s[82:83], exec
.LBB218_42:                             ;   in Loop: Header=BB218_43 Depth=3
	s_or_b64 exec, exec, s[84:85]
	v_add_co_u32_e32 v26, vcc, 1, v26
	v_addc_co_u32_e32 v27, vcc, 0, v27, vcc
	v_cmp_ge_i64_e32 vcc, v[26:27], v[20:21]
	s_xor_b64 s[26:27], s[82:83], -1
	s_or_b64 s[26:27], s[26:27], vcc
	v_mov_b32_e32 v28, s51
	v_add_co_u32_e32 v22, vcc, s50, v22
	v_addc_co_u32_e32 v23, vcc, v23, v28, vcc
	s_and_b64 s[26:27], exec, s[26:27]
	v_add_co_u32_e32 v24, vcc, s50, v24
	s_or_b64 s[80:81], s[26:27], s[80:81]
	v_addc_co_u32_e32 v25, vcc, v25, v28, vcc
	s_andn2_b64 exec, exec, s[80:81]
	s_cbranch_execz .LBB218_58
.LBB218_43:                             ;   Parent Loop BB218_20 Depth=1
                                        ;     Parent Loop BB218_29 Depth=2
                                        ; =>    This Loop Header: Depth=3
                                        ;         Child Loop BB218_52 Depth 4
                                        ;         Child Loop BB218_57 Depth 4
	v_lshlrev_b64 v[28:29], 2, v[26:27]
	v_mov_b32_e32 v30, s53
	v_add_co_u32_e32 v28, vcc, s52, v28
	v_addc_co_u32_e32 v29, vcc, v30, v29, vcc
	global_load_dword v28, v[28:29], off
                                        ; implicit-def: $sgpr82_sgpr83
	s_waitcnt vmcnt(0)
	v_subrev_u32_e32 v28, s41, v28
	v_cmp_gt_i32_e64 s[26:27], s49, v28
	v_cmp_ge_i32_e32 vcc, v28, v0
	s_or_b64 s[26:27], s[26:27], vcc
	s_and_saveexec_b64 s[84:85], s[26:27]
	s_xor_b64 s[26:27], exec, s[84:85]
	s_cbranch_execz .LBB218_47
; %bb.44:                               ;   in Loop: Header=BB218_43 Depth=3
	s_mov_b64 s[82:83], -1
	s_and_saveexec_b64 s[84:85], vcc
; %bb.45:                               ;   in Loop: Header=BB218_43 Depth=3
	v_min_i32_e32 v3, v28, v3
	s_xor_b64 s[82:83], exec, -1
	v_pk_mov_b32 v[18:19], v[26:27], v[26:27] op_sel:[0,1]
; %bb.46:                               ;   in Loop: Header=BB218_43 Depth=3
	s_or_b64 exec, exec, s[84:85]
	s_and_b64 s[82:83], s[82:83], exec
                                        ; implicit-def: $vgpr28
.LBB218_47:                             ;   in Loop: Header=BB218_43 Depth=3
	s_andn2_saveexec_b64 s[84:85], s[26:27]
	s_cbranch_execz .LBB218_42
; %bb.48:                               ;   in Loop: Header=BB218_43 Depth=3
	v_subrev_u32_e32 v54, s49, v28
	v_lshlrev_b32_e32 v28, 2, v54
	ds_write_b32 v28, v53 offset:10240
	s_and_saveexec_b64 s[86:87], s[4:5]
	s_cbranch_execz .LBB218_41
; %bb.49:                               ;   in Loop: Header=BB218_43 Depth=3
	v_cndmask_b32_e64 v28, 0, 1, s[60:61]
	s_andn2_b64 vcc, exec, s[36:37]
	v_cmp_ne_u32_e64 s[26:27], 1, v28
	s_cbranch_vccnz .LBB218_54
; %bb.50:                               ;   in Loop: Header=BB218_43 Depth=3
	v_mov_b32_e32 v29, 0
	s_and_b64 vcc, exec, s[26:27]
	v_mov_b32_e32 v28, v29
	s_cbranch_vccnz .LBB218_53
; %bb.51:                               ;   in Loop: Header=BB218_43 Depth=3
	v_mov_b32_e32 v28, 0
	v_pk_mov_b32 v[30:31], v[22:23], v[22:23] op_sel:[0,1]
	s_mov_b32 s45, s30
	v_mov_b32_e32 v55, v48
	v_mov_b32_e32 v29, v28
.LBB218_52:                             ;   Parent Loop BB218_20 Depth=1
                                        ;     Parent Loop BB218_29 Depth=2
                                        ;       Parent Loop BB218_43 Depth=3
                                        ; =>      This Inner Loop Header: Depth=4
	global_load_dwordx2 v[56:57], v[30:31], off offset:-4
	ds_read_b64 v[58:59], v55
	s_add_i32 s45, s45, -1
	v_add_co_u32_e32 v30, vcc, 8, v30
	v_add_u32_e32 v55, 32, v55
	v_addc_co_u32_e32 v31, vcc, 0, v31, vcc
	s_cmp_lg_u32 s45, 0
	s_waitcnt vmcnt(0) lgkmcnt(0)
	v_pk_fma_f32 v[28:29], v[58:59], v[56:57], v[28:29] op_sel_hi:[1,0,1]
	v_pk_fma_f32 v[28:29], v[58:59], v[56:57], v[28:29] op_sel:[1,1,0] op_sel_hi:[0,1,1] neg_lo:[1,0,0]
	s_cbranch_scc1 .LBB218_52
.LBB218_53:                             ;   in Loop: Header=BB218_43 Depth=3
	s_cbranch_execnz .LBB218_40
	s_branch .LBB218_55
.LBB218_54:                             ;   in Loop: Header=BB218_43 Depth=3
                                        ; implicit-def: $vgpr29
.LBB218_55:                             ;   in Loop: Header=BB218_43 Depth=3
	v_mov_b32_e32 v29, 0
	s_and_b64 vcc, exec, s[26:27]
	v_mov_b32_e32 v28, v29
	s_cbranch_vccnz .LBB218_40
; %bb.56:                               ;   in Loop: Header=BB218_43 Depth=3
	v_mov_b32_e32 v28, 0
	v_mov_b32_e32 v55, v49
	v_pk_mov_b32 v[30:31], v[24:25], v[24:25] op_sel:[0,1]
	s_mov_b32 s26, s30
	v_mov_b32_e32 v29, v28
.LBB218_57:                             ;   Parent Loop BB218_20 Depth=1
                                        ;     Parent Loop BB218_29 Depth=2
                                        ;       Parent Loop BB218_43 Depth=3
                                        ; =>      This Inner Loop Header: Depth=4
	global_load_dwordx2 v[56:57], v[30:31], off offset:-4
	ds_read_b64 v[58:59], v55
	s_add_i32 s26, s26, -1
	v_mov_b32_e32 v60, s55
	v_add_co_u32_e32 v30, vcc, s54, v30
	v_add_u32_e32 v55, 8, v55
	v_addc_co_u32_e32 v31, vcc, v31, v60, vcc
	s_cmp_eq_u32 s26, 0
	s_waitcnt vmcnt(0) lgkmcnt(0)
	v_pk_fma_f32 v[28:29], v[58:59], v[56:57], v[28:29] op_sel_hi:[1,0,1]
	v_pk_fma_f32 v[28:29], v[58:59], v[56:57], v[28:29] op_sel:[1,1,0] op_sel_hi:[0,1,1] neg_lo:[1,0,0]
	s_cbranch_scc0 .LBB218_57
	s_branch .LBB218_40
.LBB218_58:                             ;   in Loop: Header=BB218_29 Depth=2
	s_or_b64 exec, exec, s[80:81]
.LBB218_59:                             ;   in Loop: Header=BB218_29 Depth=2
	s_or_b64 exec, exec, s[78:79]
.LBB218_60:                             ;   in Loop: Header=BB218_29 Depth=2
	s_or_b64 exec, exec, s[76:77]
	s_waitcnt lgkmcnt(0)
	s_barrier
	s_and_saveexec_b64 s[26:27], s[24:25]
	s_cbranch_execz .LBB218_28
; %bb.61:                               ;   in Loop: Header=BB218_29 Depth=2
	v_lshlrev_b64 v[16:17], 3, v[16:17]
	v_mov_b32_e32 v20, s39
	v_add_co_u32_e32 v16, vcc, s38, v16
	v_addc_co_u32_e32 v17, vcc, v20, v17, vcc
	global_store_dwordx2 v[16:17], v[18:19], off
	s_branch .LBB218_28
.LBB218_62:                             ;   in Loop: Header=BB218_29 Depth=2
                                        ; implicit-def: $vgpr18_vgpr19
	s_branch .LBB218_37
.LBB218_63:                             ;   in Loop: Header=BB218_20 Depth=1
	s_andn2_b64 vcc, exec, s[68:69]
	s_cbranch_vccnz .LBB218_75
; %bb.64:                               ;   in Loop: Header=BB218_20 Depth=1
	s_load_dwordx4 s[24:27], s[58:59], 0x0
	s_waitcnt lgkmcnt(0)
	s_sub_u32 s72, s26, s28
	v_mov_b32_e32 v16, s25
	v_add_co_u32_e32 v20, vcc, s24, v37
	s_subb_u32 s73, s27, 0
	v_addc_co_u32_e32 v21, vcc, v16, v38, vcc
	v_cmp_gt_i64_e32 vcc, s[72:73], v[20:21]
	s_and_saveexec_b64 s[74:75], vcc
	s_cbranch_execz .LBB218_74
; %bb.65:                               ;   in Loop: Header=BB218_20 Depth=1
	v_readlane_b32 s76, v61, 0
	v_lshlrev_b64 v[16:17], 2, v[20:21]
	v_readlane_b32 s77, v61, 1
	v_mov_b32_e32 v18, s77
	v_add_co_u32_e32 v16, vcc, s76, v16
	v_addc_co_u32_e32 v17, vcc, v18, v17, vcc
	v_mad_u64_u32 v[18:19], s[26:27], s50, v20, v[12:13]
	v_mul_lo_u32 v21, s50, v21
	v_mul_lo_u32 v20, s51, v20
	v_add3_u32 v19, v20, v19, v21
	v_mov_b32_e32 v21, s25
	v_add_co_u32_e32 v20, vcc, s24, v50
	v_addc_co_u32_e32 v21, vcc, v51, v21, vcc
	s_mov_b64 s[76:77], 0
	v_readlane_b32 s78, v61, 2
	v_readlane_b32 s79, v61, 3
	;; [unrolled: 1-line block ×6, first 2 shown]
	s_branch .LBB218_68
.LBB218_66:                             ;   in Loop: Header=BB218_68 Depth=2
	s_or_b64 exec, exec, s[78:79]
	s_or_b64 s[24:25], s[24:25], exec
.LBB218_67:                             ;   in Loop: Header=BB218_68 Depth=2
	s_or_b64 exec, exec, s[26:27]
	v_cmp_le_i64_e32 vcc, s[72:73], v[20:21]
	s_xor_b64 s[24:25], s[24:25], -1
	s_or_b64 s[24:25], s[24:25], vcc
	v_add_co_u32_e32 v16, vcc, 64, v16
	v_addc_co_u32_e32 v17, vcc, 0, v17, vcc
	v_mov_b32_e32 v22, s65
	v_add_co_u32_e32 v18, vcc, s64, v18
	v_addc_co_u32_e32 v19, vcc, v19, v22, vcc
	s_and_b64 s[24:25], exec, s[24:25]
	v_add_co_u32_e32 v20, vcc, 16, v20
	s_or_b64 s[76:77], s[24:25], s[76:77]
	v_addc_co_u32_e32 v21, vcc, 0, v21, vcc
	s_andn2_b64 exec, exec, s[76:77]
	s_cbranch_execz .LBB218_73
.LBB218_68:                             ;   Parent Loop BB218_20 Depth=1
                                        ; =>  This Inner Loop Header: Depth=2
	global_load_dword v22, v[16:17], off
	s_waitcnt vmcnt(0)
	v_subrev_u32_e32 v22, s43, v22
	v_cmp_gt_i32_e64 s[24:25], s49, v22
	v_cmp_ge_i32_e64 s[26:27], v22, v0
	v_cmp_lt_i32_e32 vcc, v22, v0
	s_or_b64 s[26:27], s[24:25], s[26:27]
                                        ; implicit-def: $sgpr24_sgpr25
	s_and_saveexec_b64 s[78:79], s[26:27]
	s_xor_b64 s[26:27], exec, s[78:79]
; %bb.69:                               ;   in Loop: Header=BB218_68 Depth=2
	v_min_i32_e32 v22, v22, v3
	v_cndmask_b32_e32 v3, v22, v3, vcc
	s_and_b64 s[24:25], vcc, exec
                                        ; implicit-def: $vgpr22
; %bb.70:                               ;   in Loop: Header=BB218_68 Depth=2
	s_andn2_saveexec_b64 s[26:27], s[26:27]
	s_cbranch_execz .LBB218_67
; %bb.71:                               ;   in Loop: Header=BB218_68 Depth=2
	v_subrev_u32_e32 v22, s49, v22
	v_lshlrev_b32_e32 v23, 2, v22
	ds_write_b32 v23, v53 offset:10240
	s_and_saveexec_b64 s[78:79], s[4:5]
	s_cbranch_execz .LBB218_66
; %bb.72:                               ;   in Loop: Header=BB218_68 Depth=2
	global_load_dwordx2 v[24:25], v[18:19], off offset:-4
	v_lshlrev_b32_e32 v22, 4, v22
	v_or3_b32 v22, v22, v36, v7
	v_lshlrev_b32_e32 v22, 3, v22
	s_waitcnt vmcnt(0)
	v_mul_f32_e64 v23, v25, -s90
	v_mul_f32_e32 v25, s34, v25
	v_fmac_f32_e32 v23, s34, v24
	v_fmac_f32_e32 v25, s90, v24
	ds_add_f32 v22, v23
	ds_add_f32 v22, v25 offset:4
	s_branch .LBB218_66
.LBB218_73:                             ;   in Loop: Header=BB218_20 Depth=1
	s_or_b64 exec, exec, s[76:77]
.LBB218_74:                             ;   in Loop: Header=BB218_20 Depth=1
	s_or_b64 exec, exec, s[74:75]
.LBB218_75:                             ;   in Loop: Header=BB218_20 Depth=1
	s_and_saveexec_b64 s[24:25], s[8:9]
	s_cbranch_execz .LBB218_80
; %bb.76:                               ;   in Loop: Header=BB218_20 Depth=1
	s_mov_b64 s[26:27], exec
	s_brev_b32 s45, -2
.LBB218_77:                             ;   Parent Loop BB218_20 Depth=1
                                        ; =>  This Inner Loop Header: Depth=2
	s_ff1_i32_b64 s72, s[26:27]
	v_readlane_b32 s74, v3, s72
	s_lshl_b64 s[72:73], 1, s72
	s_min_i32 s45, s45, s74
	s_andn2_b64 s[26:27], s[26:27], s[72:73]
	s_cmp_lg_u64 s[26:27], 0
	s_cbranch_scc1 .LBB218_77
; %bb.78:                               ;   in Loop: Header=BB218_20 Depth=1
	v_mbcnt_lo_u32_b32 v0, exec_lo, 0
	v_mbcnt_hi_u32_b32 v0, exec_hi, v0
	v_cmp_eq_u32_e32 vcc, 0, v0
	s_and_saveexec_b64 s[26:27], vcc
	s_xor_b64 s[26:27], exec, s[26:27]
	s_cbranch_execz .LBB218_80
; %bb.79:                               ;   in Loop: Header=BB218_20 Depth=1
	v_mov_b32_e32 v0, s45
	ds_min_i32 v4, v0 offset:10496
.LBB218_80:                             ;   in Loop: Header=BB218_20 Depth=1
	s_or_b64 exec, exec, s[24:25]
	s_waitcnt lgkmcnt(0)
	s_barrier
	ds_read_b32 v0, v39
	s_waitcnt lgkmcnt(0)
	s_barrier
	s_and_saveexec_b64 s[24:25], s[12:13]
	s_cbranch_execz .LBB218_82
; %bb.81:                               ;   in Loop: Header=BB218_20 Depth=1
	ds_read_b32 v3, v40
	s_waitcnt lgkmcnt(0)
	v_add_u32_e32 v0, v3, v0
.LBB218_82:                             ;   in Loop: Header=BB218_20 Depth=1
	s_or_b64 exec, exec, s[24:25]
	s_barrier
	ds_write_b32 v39, v0
	s_waitcnt lgkmcnt(0)
	s_barrier
	s_and_saveexec_b64 s[24:25], s[14:15]
	s_cbranch_execz .LBB218_84
; %bb.83:                               ;   in Loop: Header=BB218_20 Depth=1
	ds_read_b32 v3, v42
	s_waitcnt lgkmcnt(0)
	v_add_u32_e32 v0, v3, v0
.LBB218_84:                             ;   in Loop: Header=BB218_20 Depth=1
	s_or_b64 exec, exec, s[24:25]
	s_barrier
	ds_write_b32 v39, v0
	s_waitcnt lgkmcnt(0)
	s_barrier
	s_and_saveexec_b64 s[24:25], s[16:17]
	s_cbranch_execz .LBB218_86
; %bb.85:                               ;   in Loop: Header=BB218_20 Depth=1
	ds_read_b32 v3, v43
	s_waitcnt lgkmcnt(0)
	v_add_u32_e32 v0, v3, v0
.LBB218_86:                             ;   in Loop: Header=BB218_20 Depth=1
	s_or_b64 exec, exec, s[24:25]
	s_barrier
	ds_write_b32 v39, v0
	s_waitcnt lgkmcnt(0)
	s_barrier
	s_and_saveexec_b64 s[24:25], s[18:19]
	s_cbranch_execz .LBB218_88
; %bb.87:                               ;   in Loop: Header=BB218_20 Depth=1
	ds_read_b32 v3, v44
	s_waitcnt lgkmcnt(0)
	v_add_u32_e32 v0, v3, v0
.LBB218_88:                             ;   in Loop: Header=BB218_20 Depth=1
	s_or_b64 exec, exec, s[24:25]
	s_barrier
	ds_write_b32 v39, v0
	s_waitcnt lgkmcnt(0)
	s_barrier
	s_and_saveexec_b64 s[24:25], s[20:21]
	s_cbranch_execz .LBB218_90
; %bb.89:                               ;   in Loop: Header=BB218_20 Depth=1
	ds_read_b32 v3, v45
	s_waitcnt lgkmcnt(0)
	v_add_u32_e32 v0, v3, v0
.LBB218_90:                             ;   in Loop: Header=BB218_20 Depth=1
	s_or_b64 exec, exec, s[24:25]
	s_barrier
	ds_write_b32 v39, v0
	s_waitcnt lgkmcnt(0)
	s_barrier
	s_and_saveexec_b64 s[24:25], s[22:23]
	s_cbranch_execz .LBB218_92
; %bb.91:                               ;   in Loop: Header=BB218_20 Depth=1
	ds_read_b32 v3, v46
	s_waitcnt lgkmcnt(0)
	v_add_u32_e32 v0, v3, v0
.LBB218_92:                             ;   in Loop: Header=BB218_20 Depth=1
	s_or_b64 exec, exec, s[24:25]
	s_barrier
	ds_write_b32 v39, v0
	s_waitcnt lgkmcnt(0)
	s_barrier
	ds_read_b32 v16, v4 offset:10492
	v_mov_b32_e32 v3, 0
	s_and_saveexec_b64 s[24:25], s[10:11]
	s_cbranch_execz .LBB218_94
; %bb.93:                               ;   in Loop: Header=BB218_20 Depth=1
	ds_read_b32 v3, v40
.LBB218_94:                             ;   in Loop: Header=BB218_20 Depth=1
	s_or_b64 exec, exec, s[24:25]
	s_waitcnt lgkmcnt(0)
	v_cmp_eq_u32_e32 vcc, v0, v3
	s_and_b64 s[26:27], s[10:11], vcc
	s_barrier
	s_and_saveexec_b64 s[24:25], s[26:27]
	s_cbranch_execz .LBB218_96
; %bb.95:                               ;   in Loop: Header=BB218_20 Depth=1
	ds_write_b32 v39, v4
.LBB218_96:                             ;   in Loop: Header=BB218_20 Depth=1
	s_or_b64 exec, exec, s[24:25]
	v_add_co_u32_e32 v17, vcc, -1, v14
	v_addc_co_u32_e32 v18, vcc, -1, v15, vcc
	s_add_i32 s45, s42, s49
	s_mov_b64 s[24:25], 0
	v_mov_b32_e32 v19, v52
	v_mov_b32_e32 v20, v32
	;; [unrolled: 1-line block ×3, first 2 shown]
	s_waitcnt lgkmcnt(0)
	s_barrier
	s_branch .LBB218_98
.LBB218_97:                             ;   in Loop: Header=BB218_98 Depth=2
	s_or_b64 exec, exec, s[26:27]
	v_add_u32_e32 v0, 16, v21
	v_cmp_lt_u32_e32 vcc, 47, v21
	v_add_u32_e32 v20, 0x800, v20
	v_add_u32_e32 v19, 64, v19
	s_or_b64 s[24:25], vcc, s[24:25]
	v_mov_b32_e32 v21, v0
	s_andn2_b64 exec, exec, s[24:25]
	s_cbranch_execz .LBB218_19
.LBB218_98:                             ;   Parent Loop BB218_20 Depth=1
                                        ; =>  This Inner Loop Header: Depth=2
	ds_read_b32 v0, v19
	s_waitcnt lgkmcnt(0)
	v_cmp_ne_u32_e32 vcc, 0, v0
	s_and_saveexec_b64 s[26:27], vcc
	s_cbranch_execz .LBB218_97
; %bb.99:                               ;   in Loop: Header=BB218_98 Depth=2
	v_ashrrev_i32_e32 v3, 31, v0
	v_add_co_u32_e32 v22, vcc, v14, v0
	v_addc_co_u32_e32 v23, vcc, v15, v3, vcc
	v_lshlrev_b64 v[22:23], 2, v[22:23]
	v_mov_b32_e32 v25, s44
	v_add_co_u32_e32 v22, vcc, s95, v22
	v_add_u32_e32 v24, s45, v21
	v_addc_co_u32_e32 v23, vcc, v25, v23, vcc
	global_store_dword v[22:23], v24, off
	s_and_b64 exec, exec, s[4:5]
	s_cbranch_execz .LBB218_97
; %bb.100:                              ;   in Loop: Header=BB218_98 Depth=2
	v_add_co_u32_e32 v0, vcc, v17, v0
	v_mad_u64_u32 v[22:23], s[72:73], v0, s48, 0
	v_addc_co_u32_e32 v3, vcc, v18, v3, vcc
	v_mov_b32_e32 v0, v23
	v_mad_u64_u32 v[24:25], s[72:73], v3, s48, v[0:1]
	v_mov_b32_e32 v23, v24
	ds_read_b64 v[24:25], v20
	v_lshlrev_b64 v[22:23], 3, v[22:23]
	v_add_co_u32_e32 v22, vcc, v6, v22
	v_addc_co_u32_e32 v23, vcc, v1, v23, vcc
	s_waitcnt lgkmcnt(0)
	global_store_dwordx2 v[22:23], v[24:25], off
	s_branch .LBB218_97
.LBB218_101:
	s_endpgm
	.section	.rodata,"a",@progbits
	.p2align	6, 0x0
	.amdhsa_kernel _ZN9rocsparseL38bsrgemm_block_per_row_atomic_multipassILj256ELj64ELj4Eli21rocsparse_complex_numIfEEEv20rocsparse_direction_T3_S4_PKS4_S6_NS_24const_host_device_scalarIT4_EEPKT2_S6_PKS8_SC_S6_SE_S9_SC_S6_SE_SC_PS4_PS8_PSA_21rocsparse_index_base_SI_SI_SI_bbb
		.amdhsa_group_segment_fixed_size 10500
		.amdhsa_private_segment_fixed_size 0
		.amdhsa_kernarg_size 172
		.amdhsa_user_sgpr_count 6
		.amdhsa_user_sgpr_private_segment_buffer 1
		.amdhsa_user_sgpr_dispatch_ptr 0
		.amdhsa_user_sgpr_queue_ptr 0
		.amdhsa_user_sgpr_kernarg_segment_ptr 1
		.amdhsa_user_sgpr_dispatch_id 0
		.amdhsa_user_sgpr_flat_scratch_init 0
		.amdhsa_user_sgpr_kernarg_preload_length 0
		.amdhsa_user_sgpr_kernarg_preload_offset 0
		.amdhsa_user_sgpr_private_segment_size 0
		.amdhsa_uses_dynamic_stack 0
		.amdhsa_system_sgpr_private_segment_wavefront_offset 0
		.amdhsa_system_sgpr_workgroup_id_x 1
		.amdhsa_system_sgpr_workgroup_id_y 0
		.amdhsa_system_sgpr_workgroup_id_z 0
		.amdhsa_system_sgpr_workgroup_info 0
		.amdhsa_system_vgpr_workitem_id 0
		.amdhsa_next_free_vgpr 62
		.amdhsa_next_free_sgpr 96
		.amdhsa_accum_offset 64
		.amdhsa_reserve_vcc 1
		.amdhsa_reserve_flat_scratch 0
		.amdhsa_float_round_mode_32 0
		.amdhsa_float_round_mode_16_64 0
		.amdhsa_float_denorm_mode_32 3
		.amdhsa_float_denorm_mode_16_64 3
		.amdhsa_dx10_clamp 1
		.amdhsa_ieee_mode 1
		.amdhsa_fp16_overflow 0
		.amdhsa_tg_split 0
		.amdhsa_exception_fp_ieee_invalid_op 0
		.amdhsa_exception_fp_denorm_src 0
		.amdhsa_exception_fp_ieee_div_zero 0
		.amdhsa_exception_fp_ieee_overflow 0
		.amdhsa_exception_fp_ieee_underflow 0
		.amdhsa_exception_fp_ieee_inexact 0
		.amdhsa_exception_int_div_zero 0
	.end_amdhsa_kernel
	.section	.text._ZN9rocsparseL38bsrgemm_block_per_row_atomic_multipassILj256ELj64ELj4Eli21rocsparse_complex_numIfEEEv20rocsparse_direction_T3_S4_PKS4_S6_NS_24const_host_device_scalarIT4_EEPKT2_S6_PKS8_SC_S6_SE_S9_SC_S6_SE_SC_PS4_PS8_PSA_21rocsparse_index_base_SI_SI_SI_bbb,"axG",@progbits,_ZN9rocsparseL38bsrgemm_block_per_row_atomic_multipassILj256ELj64ELj4Eli21rocsparse_complex_numIfEEEv20rocsparse_direction_T3_S4_PKS4_S6_NS_24const_host_device_scalarIT4_EEPKT2_S6_PKS8_SC_S6_SE_S9_SC_S6_SE_SC_PS4_PS8_PSA_21rocsparse_index_base_SI_SI_SI_bbb,comdat
.Lfunc_end218:
	.size	_ZN9rocsparseL38bsrgemm_block_per_row_atomic_multipassILj256ELj64ELj4Eli21rocsparse_complex_numIfEEEv20rocsparse_direction_T3_S4_PKS4_S6_NS_24const_host_device_scalarIT4_EEPKT2_S6_PKS8_SC_S6_SE_S9_SC_S6_SE_SC_PS4_PS8_PSA_21rocsparse_index_base_SI_SI_SI_bbb, .Lfunc_end218-_ZN9rocsparseL38bsrgemm_block_per_row_atomic_multipassILj256ELj64ELj4Eli21rocsparse_complex_numIfEEEv20rocsparse_direction_T3_S4_PKS4_S6_NS_24const_host_device_scalarIT4_EEPKT2_S6_PKS8_SC_S6_SE_S9_SC_S6_SE_SC_PS4_PS8_PSA_21rocsparse_index_base_SI_SI_SI_bbb
                                        ; -- End function
	.section	.AMDGPU.csdata,"",@progbits
; Kernel info:
; codeLenInByte = 3640
; NumSgprs: 100
; NumVgprs: 62
; NumAgprs: 0
; TotalNumVgprs: 62
; ScratchSize: 0
; MemoryBound: 0
; FloatMode: 240
; IeeeMode: 1
; LDSByteSize: 10500 bytes/workgroup (compile time only)
; SGPRBlocks: 12
; VGPRBlocks: 7
; NumSGPRsForWavesPerEU: 100
; NumVGPRsForWavesPerEU: 62
; AccumOffset: 64
; Occupancy: 6
; WaveLimiterHint : 1
; COMPUTE_PGM_RSRC2:SCRATCH_EN: 0
; COMPUTE_PGM_RSRC2:USER_SGPR: 6
; COMPUTE_PGM_RSRC2:TRAP_HANDLER: 0
; COMPUTE_PGM_RSRC2:TGID_X_EN: 1
; COMPUTE_PGM_RSRC2:TGID_Y_EN: 0
; COMPUTE_PGM_RSRC2:TGID_Z_EN: 0
; COMPUTE_PGM_RSRC2:TIDIG_COMP_CNT: 0
; COMPUTE_PGM_RSRC3_GFX90A:ACCUM_OFFSET: 15
; COMPUTE_PGM_RSRC3_GFX90A:TG_SPLIT: 0
	.section	.text._ZN9rocsparseL38bsrgemm_block_per_row_atomic_multipassILj256ELj128ELj4Eli21rocsparse_complex_numIfEEEv20rocsparse_direction_T3_S4_PKS4_S6_NS_24const_host_device_scalarIT4_EEPKT2_S6_PKS8_SC_S6_SE_S9_SC_S6_SE_SC_PS4_PS8_PSA_21rocsparse_index_base_SI_SI_SI_bbb,"axG",@progbits,_ZN9rocsparseL38bsrgemm_block_per_row_atomic_multipassILj256ELj128ELj4Eli21rocsparse_complex_numIfEEEv20rocsparse_direction_T3_S4_PKS4_S6_NS_24const_host_device_scalarIT4_EEPKT2_S6_PKS8_SC_S6_SE_S9_SC_S6_SE_SC_PS4_PS8_PSA_21rocsparse_index_base_SI_SI_SI_bbb,comdat
	.globl	_ZN9rocsparseL38bsrgemm_block_per_row_atomic_multipassILj256ELj128ELj4Eli21rocsparse_complex_numIfEEEv20rocsparse_direction_T3_S4_PKS4_S6_NS_24const_host_device_scalarIT4_EEPKT2_S6_PKS8_SC_S6_SE_S9_SC_S6_SE_SC_PS4_PS8_PSA_21rocsparse_index_base_SI_SI_SI_bbb ; -- Begin function _ZN9rocsparseL38bsrgemm_block_per_row_atomic_multipassILj256ELj128ELj4Eli21rocsparse_complex_numIfEEEv20rocsparse_direction_T3_S4_PKS4_S6_NS_24const_host_device_scalarIT4_EEPKT2_S6_PKS8_SC_S6_SE_S9_SC_S6_SE_SC_PS4_PS8_PSA_21rocsparse_index_base_SI_SI_SI_bbb
	.p2align	8
	.type	_ZN9rocsparseL38bsrgemm_block_per_row_atomic_multipassILj256ELj128ELj4Eli21rocsparse_complex_numIfEEEv20rocsparse_direction_T3_S4_PKS4_S6_NS_24const_host_device_scalarIT4_EEPKT2_S6_PKS8_SC_S6_SE_S9_SC_S6_SE_SC_PS4_PS8_PSA_21rocsparse_index_base_SI_SI_SI_bbb,@function
_ZN9rocsparseL38bsrgemm_block_per_row_atomic_multipassILj256ELj128ELj4Eli21rocsparse_complex_numIfEEEv20rocsparse_direction_T3_S4_PKS4_S6_NS_24const_host_device_scalarIT4_EEPKT2_S6_PKS8_SC_S6_SE_S9_SC_S6_SE_SC_PS4_PS8_PSA_21rocsparse_index_base_SI_SI_SI_bbb: ; @_ZN9rocsparseL38bsrgemm_block_per_row_atomic_multipassILj256ELj128ELj4Eli21rocsparse_complex_numIfEEEv20rocsparse_direction_T3_S4_PKS4_S6_NS_24const_host_device_scalarIT4_EEPKT2_S6_PKS8_SC_S6_SE_S9_SC_S6_SE_SC_PS4_PS8_PSA_21rocsparse_index_base_SI_SI_SI_bbb
; %bb.0:
	s_load_dwordx8 s[36:43], s[4:5], 0x88
	s_load_dword s2, s[4:5], 0xa8
	s_load_dwordx8 s[8:15], s[4:5], 0x68
                                        ; implicit-def: $vgpr63 : SGPR spill to VGPR lane
	s_mov_b32 s73, 0
	s_mov_b32 s33, 0
	s_waitcnt lgkmcnt(0)
	s_bitcmp1_b32 s2, 0
	v_writelane_b32 v63, s8, 0
	v_writelane_b32 v63, s9, 1
	;; [unrolled: 1-line block ×8, first 2 shown]
	s_load_dwordx8 s[52:59], s[4:5], 0x48
	s_load_dwordx4 s[8:11], s[4:5], 0x10
	s_load_dwordx8 s[60:67], s[4:5], 0x28
	s_cselect_b64 s[12:13], -1, 0
	s_bitcmp1_b32 s2, 16
	s_cselect_b64 s[0:1], -1, 0
	s_xor_b64 s[0:1], s[0:1], -1
	v_cndmask_b32_e64 v1, 0, 1, s[0:1]
	s_bitcmp0_b32 s2, 0
	v_cmp_ne_u32_e64 s[0:1], 1, v1
	s_cbranch_scc1 .LBB219_5
; %bb.1:
	s_load_dwordx2 s[72:73], s[4:5], 0x20
	s_and_b64 vcc, exec, s[0:1]
	s_waitcnt lgkmcnt(0)
	s_mov_b32 s33, s72
	s_cbranch_vccnz .LBB219_3
; %bb.2:
	s_load_dword s33, s[72:73], 0x0
.LBB219_3:
	s_and_b64 vcc, exec, s[0:1]
	s_cbranch_vccnz .LBB219_5
; %bb.4:
	s_load_dword s73, s[72:73], 0x4
.LBB219_5:
	s_bitcmp1_b32 s2, 8
	s_cselect_b64 s[74:75], -1, 0
	s_bfe_u32 s2, s2, 0x10008
	s_mov_b32 s30, 0
	s_cmp_eq_u32 s2, 0
	s_mov_b32 s72, 0
	s_cbranch_scc1 .LBB219_11
; %bb.6:
	s_and_b64 vcc, exec, s[0:1]
	s_waitcnt lgkmcnt(0)
	s_mov_b32 s72, s56
	s_cbranch_vccnz .LBB219_8
; %bb.7:
	s_load_dword s72, s[56:57], 0x0
.LBB219_8:
	s_and_b64 vcc, exec, s[0:1]
	s_cbranch_vccnz .LBB219_10
; %bb.9:
	s_load_dword s57, s[56:57], 0x4
.LBB219_10:
	s_waitcnt lgkmcnt(0)
	s_mov_b32 s30, s57
.LBB219_11:
	s_waitcnt lgkmcnt(0)
	s_cmp_eq_u64 s[10:11], 0
	s_mov_b64 s[56:57], 0
	s_cbranch_scc1 .LBB219_13
; %bb.12:
	s_load_dword s0, s[8:9], 0x0
	s_mov_b32 s1, 0
	s_waitcnt lgkmcnt(0)
	s_add_i32 s0, s0, s6
	s_lshl_b64 s[0:1], s[0:1], 2
	s_add_u32 s0, s10, s0
	s_addc_u32 s1, s11, s1
	s_load_dword s6, s[0:1], 0x0
.LBB219_13:
	v_cndmask_b32_e64 v1, 0, 1, s[12:13]
	v_cmp_ne_u32_e64 s[0:1], 1, v1
	s_andn2_b64 vcc, exec, s[12:13]
	s_cbranch_vccz .LBB219_16
; %bb.14:
	s_and_b64 vcc, exec, s[0:1]
	s_mov_b64 s[76:77], 0
	s_cbranch_vccz .LBB219_17
.LBB219_15:
	s_load_dwordx4 s[68:71], s[4:5], 0x0
	s_waitcnt lgkmcnt(0)
	s_cmp_lt_i32 s69, 1
	s_cbranch_scc0 .LBB219_18
	s_branch .LBB219_107
.LBB219_16:
	s_waitcnt lgkmcnt(0)
	s_ashr_i32 s7, s6, 31
	s_lshl_b64 s[2:3], s[6:7], 3
	s_add_u32 s2, s60, s2
	s_addc_u32 s3, s61, s3
	s_load_dwordx2 s[2:3], s[2:3], 0x0
	s_waitcnt lgkmcnt(0)
	s_sub_u32 s56, s2, s40
	s_subb_u32 s57, s3, 0
	s_and_b64 vcc, exec, s[0:1]
	s_mov_b64 s[76:77], 0
	s_cbranch_vccnz .LBB219_15
.LBB219_17:
	s_waitcnt lgkmcnt(0)
	s_ashr_i32 s7, s6, 31
	s_lshl_b64 s[0:1], s[6:7], 3
	s_add_u32 s0, s60, s0
	s_addc_u32 s1, s61, s1
	s_load_dwordx2 s[0:1], s[0:1], 0x8
	s_waitcnt lgkmcnt(0)
	s_sub_u32 s76, s0, s40
	s_subb_u32 s77, s1, 0
	s_load_dwordx4 s[68:71], s[4:5], 0x0
	s_waitcnt lgkmcnt(0)
	s_cmp_lt_i32 s69, 1
	s_cbranch_scc1 .LBB219_107
.LBB219_18:
	v_pk_mov_b32 v[4:5], s[76:77], s[76:77] op_sel:[0,1]
	v_bfe_u32 v3, v0, 2, 2
	v_cmp_lt_i64_e32 vcc, s[56:57], v[4:5]
	v_mov_b32_e32 v4, 0
	v_and_b32_e32 v7, 3, v0
	v_mul_lo_u32 v8, v3, s70
	v_mov_b32_e32 v9, v4
	s_ashr_i32 s7, s6, 31
	v_max_i32_e32 v5, v7, v3
	v_lshlrev_b64 v[8:9], 3, v[8:9]
	s_lshl_b64 s[10:11], s[6:7], 3
	v_cmp_gt_i32_e64 s[4:5], s70, v5
	v_cmp_le_i32_e64 s[6:7], s70, v5
	v_mov_b32_e32 v5, s65
	v_add_co_u32_e64 v6, s[8:9], s64, v8
	v_addc_co_u32_e64 v5, s[8:9], v5, v9, s[8:9]
	v_lshlrev_b32_e32 v12, 3, v7
	v_add_co_u32_e64 v36, s[8:9], v6, v12
	v_mul_lo_u32 v10, v7, s70
	v_mov_b32_e32 v11, v4
	v_addc_co_u32_e64 v37, s[8:9], 0, v5, s[8:9]
	v_lshlrev_b64 v[10:11], 3, v[10:11]
	v_mov_b32_e32 v5, s37
	v_add_co_u32_e64 v6, s[8:9], s36, v10
	v_lshlrev_b32_e32 v3, 3, v3
	v_addc_co_u32_e64 v13, s[8:9], v5, v11, s[8:9]
	v_add_co_u32_e64 v6, s[8:9], v6, v3
	v_addc_co_u32_e64 v13, s[8:9], 0, v13, s[8:9]
	v_add_co_u32_e64 v14, s[8:9], s36, v8
	v_readlane_b32 s44, v63, 0
	v_addc_co_u32_e64 v5, s[8:9], v5, v9, s[8:9]
	v_readlane_b32 s48, v63, 4
	v_add_co_u32_e64 v14, s[8:9], v14, v12
	v_readlane_b32 s49, v63, 5
	s_add_u32 s0, s48, s10
	v_addc_co_u32_e64 v5, s[8:9], 0, v5, s[8:9]
	s_addc_u32 s1, s49, s11
	v_lshrrev_b32_e32 v2, 4, v0
	s_mov_b32 s8, s43
	v_readlane_b32 s45, v63, 1
	v_readlane_b32 s46, v63, 2
	;; [unrolled: 1-line block ×5, first 2 shown]
	s_load_dwordx2 s[0:1], s[0:1], 0x0
	v_writelane_b32 v63, s8, 8
	v_subrev_co_u32_e64 v39, s[8:9], s43, v2
	v_subb_co_u32_e64 v40, s[8:9], 0, 0, s[8:9]
	v_mov_b32_e32 v15, s47
	v_add_co_u32_e64 v16, s[8:9], s46, v10
	v_addc_co_u32_e64 v17, s[8:9], v15, v11, s[8:9]
	v_add_co_u32_e64 v16, s[8:9], v16, v3
	s_waitcnt lgkmcnt(0)
	s_sub_u32 s34, s0, s42
	v_addc_co_u32_e64 v17, s[8:9], 0, v17, s[8:9]
	s_subb_u32 s35, s1, 0
	v_add_co_u32_e64 v8, s[8:9], s46, v8
	s_cmp_eq_u32 s68, 0
	v_addc_co_u32_e64 v9, s[8:9], v15, v9, s[8:9]
	s_cselect_b64 s[26:27], -1, 0
	s_cmp_lg_u32 s68, 0
	v_add_co_u32_e64 v8, s[8:9], v8, v12
	v_and_b32_e32 v1, 15, v0
	s_cselect_b64 s[64:65], -1, 0
	s_cmp_gt_i32 s70, 0
	v_addc_co_u32_e64 v9, s[8:9], 0, v9, s[8:9]
	s_movk_i32 s28, 0x200
	s_cselect_b64 s[36:37], -1, 0
	s_add_u32 s58, s58, s10
	v_cmp_eq_u32_e64 s[8:9], 15, v1
	v_and_b32_e32 v1, 0x7f, v0
	v_cmp_gt_u32_e64 s[48:49], s28, v0
	s_movk_i32 s0, 0x80
	s_addc_u32 s59, s59, s11
	v_lshlrev_b32_e32 v15, 2, v1
	v_add_co_u32_e64 v18, s[10:11], -1, v1
	v_mov_b32_e32 v19, 0x4800
	s_and_b64 s[46:47], s[12:13], vcc
	v_cmp_ne_u32_e64 s[12:13], 0, v1
	v_cmp_lt_u32_e64 s[14:15], 1, v1
	v_cmp_lt_u32_e64 s[16:17], 3, v1
	;; [unrolled: 1-line block ×6, first 2 shown]
	v_cndmask_b32_e64 v1, v13, v5, s[26:27]
	v_cndmask_b32_e64 v6, v6, v14, s[26:27]
	v_cndmask_b32_e64 v5, v17, v9, s[26:27]
	v_cndmask_b32_e64 v13, v16, v8, s[26:27]
	v_or_b32_e32 v8, 0x400, v0
	s_movk_i32 s26, 0x700
	v_writelane_b32 v63, s48, 9
	s_movk_i32 s28, 0x100
	v_cmp_gt_u32_e64 s[0:1], s0, v0
	v_cmp_eq_u32_e64 s[2:3], 0, v0
	v_lshlrev_b32_e32 v34, 3, v0
	v_and_b32_e32 v38, 12, v0
	v_lshl_or_b32 v43, v0, 2, v19
	v_cmp_gt_u32_e64 s[26:27], s26, v8
	v_writelane_b32 v63, s49, 10
	v_cmp_gt_u32_e64 s[48:49], s28, v0
	v_mov_b32_e32 v0, s55
	v_add_co_u32_e32 v8, vcc, s54, v10
	v_addc_co_u32_e32 v9, vcc, v11, v0, vcc
	v_add_co_u32_e32 v8, vcc, 4, v8
	v_addc_co_u32_e32 v9, vcc, 0, v9, vcc
	;; [unrolled: 2-line block ×4, first 2 shown]
	s_add_u32 s68, s66, 8
	v_add_co_u32_e32 v12, vcc, 4, v13
	s_mov_b32 s61, 0
	s_movk_i32 s29, 0x4000
	v_addc_co_u32_e32 v13, vcc, 0, v5, vcc
	s_addc_u32 s45, s67, 0
	v_lshlrev_b32_e32 v0, 7, v2
	s_mul_i32 s60, s70, s70
	v_or_b32_e32 v41, 0x4800, v15
	v_add_u32_e32 v44, 0x47f8, v15
	v_add_u32_e32 v45, 0x47f0, v15
	;; [unrolled: 1-line block ×6, first 2 shown]
	v_add_co_u32_e32 v50, vcc, 16, v39
	s_add_u32 s28, s50, -4
	v_or3_b32 v52, v0, v3, s29
	v_pk_mov_b32 v[14:15], s[34:35], s[34:35] op_sel:[0,1]
	s_mov_b32 s34, s61
	s_mov_b32 s35, s61
	;; [unrolled: 1-line block ×3, first 2 shown]
	v_and_b32_e32 v0, 0x7e0, v34
	v_or_b32_e32 v35, 0x4000, v34
	s_mov_b32 s31, s41
	s_mov_b32 s44, s61
	v_lshl_add_u32 v42, v18, 2, v19
	v_writelane_b32 v63, s48, 11
	v_addc_co_u32_e32 v51, vcc, 0, v40, vcc
	s_addc_u32 s29, s51, -1
	v_pk_mov_b32 v[16:17], s[34:35], s[34:35] op_sel:[0,1]
	s_lshl_b64 s[54:55], s[60:61], 3
	s_lshl_b64 s[78:79], s[70:71], 3
	v_or_b32_e32 v53, 0x4000, v0
	s_lshl_b64 s[80:81], s[60:61], 7
	v_lshl_or_b32 v54, v2, 2, v19
	v_mov_b32_e32 v0, 0x80
	v_mov_b32_e32 v55, 1
	v_cndmask_b32_e64 v56, 0, 1, s[36:37]
	s_movk_i32 s71, 0x6f
	v_writelane_b32 v63, s49, 12
	s_branch .LBB219_20
.LBB219_19:                             ;   in Loop: Header=BB219_20 Depth=1
	s_or_b64 exec, exec, s[34:35]
	s_barrier
	ds_read_b32 v3, v4 offset:18944
	v_ashrrev_i32_e32 v0, 31, v5
	v_add_co_u32_e32 v14, vcc, v14, v5
	v_addc_co_u32_e32 v15, vcc, v15, v0, vcc
	s_waitcnt lgkmcnt(0)
	v_cmp_le_i32_e32 vcc, s69, v3
	v_readfirstlane_b32 s61, v3
	v_add_u32_e32 v0, 0x80, v3
	s_barrier
	s_cbranch_vccnz .LBB219_107
.LBB219_20:                             ; =>This Loop Header: Depth=1
                                        ;     Child Loop BB219_33 Depth 2
                                        ;       Child Loop BB219_47 Depth 3
                                        ;         Child Loop BB219_56 Depth 4
                                        ;         Child Loop BB219_61 Depth 4
                                        ;     Child Loop BB219_72 Depth 2
                                        ;     Child Loop BB219_81 Depth 2
	;; [unrolled: 1-line block ×3, first 2 shown]
	s_and_saveexec_b64 s[34:35], s[0:1]
	s_cbranch_execz .LBB219_22
; %bb.21:                               ;   in Loop: Header=BB219_20 Depth=1
	ds_write_b32 v43, v4
.LBB219_22:                             ;   in Loop: Header=BB219_20 Depth=1
	s_or_b64 exec, exec, s[34:35]
	ds_write2st64_b64 v34, v[16:17], v[16:17] offset1:4
	ds_write2st64_b64 v34, v[16:17], v[16:17] offset0:8 offset1:12
	ds_write_b64 v34, v[16:17] offset:8192
	s_and_saveexec_b64 s[34:35], s[26:27]
	s_xor_b64 s[34:35], exec, s[34:35]
	s_cbranch_execz .LBB219_28
; %bb.23:                               ;   in Loop: Header=BB219_20 Depth=1
	v_mov_b32_e32 v5, v4
	ds_write_b64 v34, v[4:5] offset:10240
	s_mov_b64 s[36:37], exec
	v_readlane_b32 s48, v63, 9
	v_readlane_b32 s49, v63, 10
	s_and_b64 s[48:49], s[36:37], s[48:49]
	s_xor_b64 s[36:37], s[48:49], s[36:37]
	s_mov_b64 exec, s[48:49]
	s_cbranch_execz .LBB219_27
; %bb.24:                               ;   in Loop: Header=BB219_20 Depth=1
	ds_write_b64 v34, v[4:5] offset:12288
	s_mov_b64 s[48:49], exec
	v_readlane_b32 s50, v63, 11
	v_readlane_b32 s51, v63, 12
	s_and_b64 s[50:51], s[48:49], s[50:51]
	s_xor_b64 s[48:49], s[50:51], s[48:49]
	s_mov_b64 exec, s[50:51]
	s_cbranch_execz .LBB219_26
; %bb.25:                               ;   in Loop: Header=BB219_20 Depth=1
	v_mov_b32_e32 v5, v4
	ds_write_b64 v34, v[4:5] offset:14336
.LBB219_26:                             ;   in Loop: Header=BB219_20 Depth=1
	s_or_b64 exec, exec, s[48:49]
.LBB219_27:                             ;   in Loop: Header=BB219_20 Depth=1
	s_or_b64 exec, exec, s[36:37]
.LBB219_28:                             ;   in Loop: Header=BB219_20 Depth=1
	s_or_b64 exec, exec, s[34:35]
	s_and_saveexec_b64 s[34:35], s[2:3]
	s_cbranch_execz .LBB219_30
; %bb.29:                               ;   in Loop: Header=BB219_20 Depth=1
	v_mov_b32_e32 v3, s69
	ds_write_b32 v4, v3 offset:18944
.LBB219_30:                             ;   in Loop: Header=BB219_20 Depth=1
	s_or_b64 exec, exec, s[34:35]
	s_andn2_b64 vcc, exec, s[46:47]
	v_mov_b32_e32 v3, s69
	s_waitcnt lgkmcnt(0)
	s_barrier
	s_cbranch_vccnz .LBB219_67
; %bb.31:                               ;   in Loop: Header=BB219_20 Depth=1
	s_cmp_lg_u32 s61, 0
	s_cselect_b64 s[48:49], -1, 0
	v_mov_b32_e32 v3, s69
	s_mov_b64 s[50:51], s[56:57]
	s_branch .LBB219_33
.LBB219_32:                             ;   in Loop: Header=BB219_33 Depth=2
	s_or_b64 exec, exec, s[36:37]
	s_add_u32 s50, s50, 16
	s_addc_u32 s51, s51, 0
	v_pk_mov_b32 v[18:19], s[76:77], s[76:77] op_sel:[0,1]
	v_cmp_lt_i64_e32 vcc, s[50:51], v[18:19]
	s_cbranch_vccz .LBB219_67
.LBB219_33:                             ;   Parent Loop BB219_20 Depth=1
                                        ; =>  This Loop Header: Depth=2
                                        ;       Child Loop BB219_47 Depth 3
                                        ;         Child Loop BB219_56 Depth 4
                                        ;         Child Loop BB219_61 Depth 4
	v_mov_b32_e32 v5, s51
	v_add_co_u32_e32 v18, vcc, s50, v2
	v_addc_co_u32_e32 v19, vcc, 0, v5, vcc
	v_cmp_gt_i64_e64 s[34:35], s[76:77], v[18:19]
	s_barrier
	s_and_saveexec_b64 s[36:37], s[34:35]
	s_cbranch_execz .LBB219_38
; %bb.34:                               ;   in Loop: Header=BB219_33 Depth=2
	s_and_saveexec_b64 s[82:83], s[6:7]
	s_xor_b64 s[82:83], exec, s[82:83]
	s_cbranch_execz .LBB219_36
; %bb.35:                               ;   in Loop: Header=BB219_33 Depth=2
	v_mov_b32_e32 v5, v4
	ds_write_b64 v35, v[4:5]
.LBB219_36:                             ;   in Loop: Header=BB219_33 Depth=2
	s_andn2_saveexec_b64 s[82:83], s[82:83]
	s_cbranch_execz .LBB219_38
; %bb.37:                               ;   in Loop: Header=BB219_33 Depth=2
	v_mad_u64_u32 v[20:21], s[82:83], v18, s60, 0
	v_mov_b32_e32 v22, v21
	v_mad_u64_u32 v[22:23], s[82:83], v19, s60, v[22:23]
	v_mov_b32_e32 v21, v22
	v_lshlrev_b64 v[20:21], 3, v[20:21]
	v_add_co_u32_e32 v20, vcc, v36, v20
	v_addc_co_u32_e32 v21, vcc, v37, v21, vcc
	global_load_dwordx2 v[20:21], v[20:21], off
	s_waitcnt vmcnt(0)
	ds_write_b64 v35, v[20:21]
.LBB219_38:                             ;   in Loop: Header=BB219_33 Depth=2
	s_or_b64 exec, exec, s[36:37]
	v_pk_mov_b32 v[20:21], 0, 0
	s_waitcnt lgkmcnt(0)
	s_barrier
	s_and_saveexec_b64 s[82:83], s[34:35]
	s_cbranch_execz .LBB219_64
; %bb.39:                               ;   in Loop: Header=BB219_33 Depth=2
	v_lshlrev_b64 v[20:21], 2, v[18:19]
	v_mov_b32_e32 v5, s63
	v_add_co_u32_e32 v20, vcc, s62, v20
	v_addc_co_u32_e32 v21, vcc, v5, v21, vcc
	global_load_dword v5, v[20:21], off
	s_and_b64 vcc, exec, s[48:49]
	s_waitcnt vmcnt(0)
	v_subrev_u32_e32 v22, s40, v5
	v_ashrrev_i32_e32 v23, 31, v22
	s_cbranch_vccz .LBB219_66
; %bb.40:                               ;   in Loop: Header=BB219_33 Depth=2
	v_lshlrev_b64 v[20:21], 3, v[18:19]
	v_mov_b32_e32 v5, s39
	v_add_co_u32_e32 v20, vcc, s38, v20
	v_addc_co_u32_e32 v21, vcc, v5, v21, vcc
	global_load_dwordx2 v[20:21], v[20:21], off
	s_cbranch_execnz .LBB219_42
.LBB219_41:                             ;   in Loop: Header=BB219_33 Depth=2
	s_waitcnt vmcnt(0)
	v_lshlrev_b64 v[20:21], 3, v[22:23]
	v_mov_b32_e32 v5, s67
	v_add_co_u32_e32 v20, vcc, s66, v20
	v_addc_co_u32_e32 v21, vcc, v5, v21, vcc
	global_load_dwordx2 v[20:21], v[20:21], off
	v_mov_b32_e32 v5, s44
	s_waitcnt vmcnt(0)
	v_subrev_co_u32_e32 v20, vcc, s31, v20
	v_subb_co_u32_e32 v21, vcc, v21, v5, vcc
.LBB219_42:                             ;   in Loop: Header=BB219_33 Depth=2
	v_lshlrev_b64 v[22:23], 3, v[22:23]
	v_mov_b32_e32 v5, s45
	v_add_co_u32_e32 v22, vcc, s68, v22
	v_addc_co_u32_e32 v23, vcc, v5, v23, vcc
	global_load_dwordx2 v[22:23], v[22:23], off
	v_mov_b32_e32 v5, s44
	s_waitcnt vmcnt(0)
	v_subrev_co_u32_e32 v22, vcc, s31, v22
	v_subb_co_u32_e32 v23, vcc, v23, v5, vcc
	v_cmp_lt_i64_e32 vcc, v[20:21], v[22:23]
	s_and_saveexec_b64 s[84:85], vcc
	s_cbranch_execz .LBB219_63
; %bb.43:                               ;   in Loop: Header=BB219_33 Depth=2
	v_mad_u64_u32 v[24:25], s[36:37], s54, v20, v[8:9]
	v_mul_lo_u32 v5, s54, v21
	v_mul_lo_u32 v28, s55, v20
	v_mad_u64_u32 v[26:27], s[36:37], s54, v20, v[10:11]
	v_add3_u32 v25, v28, v25, v5
	v_add3_u32 v27, v28, v27, v5
	s_mov_b64 s[86:87], 0
	v_pk_mov_b32 v[28:29], v[20:21], v[20:21] op_sel:[0,1]
	s_branch .LBB219_47
.LBB219_44:                             ;   in Loop: Header=BB219_47 Depth=3
	v_lshlrev_b32_e32 v5, 4, v5
	v_or3_b32 v5, v5, v38, v7
	v_mul_f32_e64 v32, v31, -s73
	v_lshlrev_b32_e32 v5, 3, v5
	v_fmac_f32_e32 v32, s33, v30
	v_mul_f32_e32 v31, s33, v31
	v_fmac_f32_e32 v31, s73, v30
	ds_add_f32 v5, v32
	ds_add_f32 v5, v31 offset:4
.LBB219_45:                             ;   in Loop: Header=BB219_47 Depth=3
	s_or_b64 exec, exec, s[92:93]
	s_or_b64 s[88:89], s[88:89], exec
.LBB219_46:                             ;   in Loop: Header=BB219_47 Depth=3
	s_or_b64 exec, exec, s[90:91]
	v_add_co_u32_e32 v28, vcc, 1, v28
	v_addc_co_u32_e32 v29, vcc, 0, v29, vcc
	v_cmp_ge_i64_e32 vcc, v[28:29], v[22:23]
	s_xor_b64 s[36:37], s[88:89], -1
	s_or_b64 s[36:37], s[36:37], vcc
	v_mov_b32_e32 v5, s55
	v_add_co_u32_e32 v24, vcc, s54, v24
	v_addc_co_u32_e32 v25, vcc, v25, v5, vcc
	s_and_b64 s[36:37], exec, s[36:37]
	v_add_co_u32_e32 v26, vcc, s54, v26
	s_or_b64 s[86:87], s[36:37], s[86:87]
	v_addc_co_u32_e32 v27, vcc, v27, v5, vcc
	s_andn2_b64 exec, exec, s[86:87]
	s_cbranch_execz .LBB219_62
.LBB219_47:                             ;   Parent Loop BB219_20 Depth=1
                                        ;     Parent Loop BB219_33 Depth=2
                                        ; =>    This Loop Header: Depth=3
                                        ;         Child Loop BB219_56 Depth 4
                                        ;         Child Loop BB219_61 Depth 4
	v_lshlrev_b64 v[30:31], 2, v[28:29]
	v_mov_b32_e32 v5, s53
	v_add_co_u32_e32 v30, vcc, s52, v30
	v_addc_co_u32_e32 v31, vcc, v5, v31, vcc
	global_load_dword v5, v[30:31], off
                                        ; implicit-def: $sgpr88_sgpr89
	s_waitcnt vmcnt(0)
	v_subrev_u32_e32 v5, s41, v5
	v_cmp_gt_i32_e64 s[36:37], s61, v5
	v_cmp_ge_i32_e32 vcc, v5, v0
	s_or_b64 s[36:37], s[36:37], vcc
	s_and_saveexec_b64 s[90:91], s[36:37]
	s_xor_b64 s[36:37], exec, s[90:91]
	s_cbranch_execz .LBB219_51
; %bb.48:                               ;   in Loop: Header=BB219_47 Depth=3
	s_mov_b64 s[88:89], -1
	s_and_saveexec_b64 s[90:91], vcc
; %bb.49:                               ;   in Loop: Header=BB219_47 Depth=3
	v_min_i32_e32 v3, v5, v3
	s_xor_b64 s[88:89], exec, -1
	v_pk_mov_b32 v[20:21], v[28:29], v[28:29] op_sel:[0,1]
; %bb.50:                               ;   in Loop: Header=BB219_47 Depth=3
	s_or_b64 exec, exec, s[90:91]
	s_and_b64 s[88:89], s[88:89], exec
                                        ; implicit-def: $vgpr5
.LBB219_51:                             ;   in Loop: Header=BB219_47 Depth=3
	s_andn2_saveexec_b64 s[90:91], s[36:37]
	s_cbranch_execz .LBB219_46
; %bb.52:                               ;   in Loop: Header=BB219_47 Depth=3
	v_subrev_u32_e32 v5, s61, v5
	v_lshlrev_b32_e32 v30, 2, v5
	ds_write_b32 v30, v55 offset:18432
	s_and_saveexec_b64 s[92:93], s[4:5]
	s_cbranch_execz .LBB219_45
; %bb.53:                               ;   in Loop: Header=BB219_47 Depth=3
	s_andn2_b64 vcc, exec, s[64:65]
	v_cmp_ne_u32_e64 s[36:37], 1, v56
	s_cbranch_vccnz .LBB219_58
; %bb.54:                               ;   in Loop: Header=BB219_47 Depth=3
	v_mov_b32_e32 v31, 0
	s_and_b64 vcc, exec, s[36:37]
	v_mov_b32_e32 v30, v31
	s_cbranch_vccnz .LBB219_57
; %bb.55:                               ;   in Loop: Header=BB219_47 Depth=3
	v_mov_b32_e32 v30, 0
	v_pk_mov_b32 v[32:33], v[24:25], v[24:25] op_sel:[0,1]
	s_mov_b32 s94, s70
	v_mov_b32_e32 v57, v52
	v_mov_b32_e32 v31, v30
.LBB219_56:                             ;   Parent Loop BB219_20 Depth=1
                                        ;     Parent Loop BB219_33 Depth=2
                                        ;       Parent Loop BB219_47 Depth=3
                                        ; =>      This Inner Loop Header: Depth=4
	global_load_dwordx2 v[58:59], v[32:33], off offset:-4
	ds_read_b64 v[60:61], v57
	s_add_i32 s94, s94, -1
	v_add_co_u32_e32 v32, vcc, 8, v32
	v_add_u32_e32 v57, 32, v57
	v_addc_co_u32_e32 v33, vcc, 0, v33, vcc
	s_cmp_lg_u32 s94, 0
	s_waitcnt vmcnt(0) lgkmcnt(0)
	v_pk_fma_f32 v[30:31], v[60:61], v[58:59], v[30:31] op_sel_hi:[1,0,1]
	v_pk_fma_f32 v[30:31], v[60:61], v[58:59], v[30:31] op_sel:[1,1,0] op_sel_hi:[0,1,1] neg_lo:[1,0,0]
	s_cbranch_scc1 .LBB219_56
.LBB219_57:                             ;   in Loop: Header=BB219_47 Depth=3
	s_cbranch_execnz .LBB219_44
	s_branch .LBB219_59
.LBB219_58:                             ;   in Loop: Header=BB219_47 Depth=3
                                        ; implicit-def: $vgpr31
.LBB219_59:                             ;   in Loop: Header=BB219_47 Depth=3
	v_mov_b32_e32 v31, 0
	s_and_b64 vcc, exec, s[36:37]
	v_mov_b32_e32 v30, v31
	s_cbranch_vccnz .LBB219_44
; %bb.60:                               ;   in Loop: Header=BB219_47 Depth=3
	v_mov_b32_e32 v30, 0
	v_mov_b32_e32 v57, v53
	v_pk_mov_b32 v[32:33], v[26:27], v[26:27] op_sel:[0,1]
	s_mov_b32 s36, s70
	v_mov_b32_e32 v31, v30
.LBB219_61:                             ;   Parent Loop BB219_20 Depth=1
                                        ;     Parent Loop BB219_33 Depth=2
                                        ;       Parent Loop BB219_47 Depth=3
                                        ; =>      This Inner Loop Header: Depth=4
	global_load_dwordx2 v[58:59], v[32:33], off offset:-4
	ds_read_b64 v[60:61], v57
	s_add_i32 s36, s36, -1
	v_mov_b32_e32 v62, s79
	v_add_co_u32_e32 v32, vcc, s78, v32
	v_add_u32_e32 v57, 8, v57
	v_addc_co_u32_e32 v33, vcc, v33, v62, vcc
	s_cmp_eq_u32 s36, 0
	s_waitcnt vmcnt(0) lgkmcnt(0)
	v_pk_fma_f32 v[30:31], v[60:61], v[58:59], v[30:31] op_sel_hi:[1,0,1]
	v_pk_fma_f32 v[30:31], v[60:61], v[58:59], v[30:31] op_sel:[1,1,0] op_sel_hi:[0,1,1] neg_lo:[1,0,0]
	s_cbranch_scc0 .LBB219_61
	s_branch .LBB219_44
.LBB219_62:                             ;   in Loop: Header=BB219_33 Depth=2
	s_or_b64 exec, exec, s[86:87]
.LBB219_63:                             ;   in Loop: Header=BB219_33 Depth=2
	s_or_b64 exec, exec, s[84:85]
.LBB219_64:                             ;   in Loop: Header=BB219_33 Depth=2
	s_or_b64 exec, exec, s[82:83]
	s_waitcnt lgkmcnt(0)
	s_barrier
	s_and_saveexec_b64 s[36:37], s[34:35]
	s_cbranch_execz .LBB219_32
; %bb.65:                               ;   in Loop: Header=BB219_33 Depth=2
	v_lshlrev_b64 v[18:19], 3, v[18:19]
	v_mov_b32_e32 v5, s39
	v_add_co_u32_e32 v18, vcc, s38, v18
	v_addc_co_u32_e32 v19, vcc, v5, v19, vcc
	global_store_dwordx2 v[18:19], v[20:21], off
	s_branch .LBB219_32
.LBB219_66:                             ;   in Loop: Header=BB219_33 Depth=2
                                        ; implicit-def: $vgpr20_vgpr21
	s_branch .LBB219_41
.LBB219_67:                             ;   in Loop: Header=BB219_20 Depth=1
	s_andn2_b64 vcc, exec, s[74:75]
	s_cbranch_vccnz .LBB219_79
; %bb.68:                               ;   in Loop: Header=BB219_20 Depth=1
	s_load_dwordx4 s[48:51], s[58:59], 0x0
	v_readlane_b32 s34, v63, 8
	s_waitcnt lgkmcnt(0)
	s_sub_u32 s50, s50, s34
	v_mov_b32_e32 v5, s49
	v_add_co_u32_e32 v22, vcc, s48, v39
	s_subb_u32 s51, s51, 0
	v_addc_co_u32_e32 v23, vcc, v5, v40, vcc
	v_cmp_gt_i64_e32 vcc, s[50:51], v[22:23]
	s_and_saveexec_b64 s[82:83], vcc
	s_cbranch_execz .LBB219_78
; %bb.69:                               ;   in Loop: Header=BB219_20 Depth=1
	v_readlane_b32 s84, v63, 0
	v_readlane_b32 s85, v63, 1
	v_lshlrev_b64 v[18:19], 2, v[22:23]
	s_mov_b64 s[36:37], s[84:85]
	v_mov_b32_e32 v5, s37
	v_add_co_u32_e32 v18, vcc, s36, v18
	v_addc_co_u32_e32 v19, vcc, v5, v19, vcc
	v_mad_u64_u32 v[20:21], s[34:35], s54, v22, v[12:13]
	v_mul_lo_u32 v5, s54, v23
	v_mul_lo_u32 v22, s55, v22
	v_add3_u32 v21, v22, v21, v5
	v_mov_b32_e32 v5, s49
	v_add_co_u32_e32 v22, vcc, s48, v50
	v_addc_co_u32_e32 v23, vcc, v51, v5, vcc
	s_mov_b64 s[48:49], 0
	v_readlane_b32 s86, v63, 2
	v_readlane_b32 s87, v63, 3
	;; [unrolled: 1-line block ×6, first 2 shown]
	s_branch .LBB219_72
.LBB219_70:                             ;   in Loop: Header=BB219_72 Depth=2
	s_or_b64 exec, exec, s[84:85]
	s_or_b64 s[34:35], s[34:35], exec
.LBB219_71:                             ;   in Loop: Header=BB219_72 Depth=2
	s_or_b64 exec, exec, s[36:37]
	v_cmp_le_i64_e32 vcc, s[50:51], v[22:23]
	s_xor_b64 s[34:35], s[34:35], -1
	s_or_b64 s[34:35], s[34:35], vcc
	v_add_co_u32_e32 v18, vcc, 64, v18
	v_addc_co_u32_e32 v19, vcc, 0, v19, vcc
	v_mov_b32_e32 v5, s81
	v_add_co_u32_e32 v20, vcc, s80, v20
	v_addc_co_u32_e32 v21, vcc, v21, v5, vcc
	s_and_b64 s[34:35], exec, s[34:35]
	v_add_co_u32_e32 v22, vcc, 16, v22
	s_or_b64 s[48:49], s[34:35], s[48:49]
	v_addc_co_u32_e32 v23, vcc, 0, v23, vcc
	s_andn2_b64 exec, exec, s[48:49]
	s_cbranch_execz .LBB219_77
.LBB219_72:                             ;   Parent Loop BB219_20 Depth=1
                                        ; =>  This Inner Loop Header: Depth=2
	global_load_dword v5, v[18:19], off
	s_waitcnt vmcnt(0)
	v_subrev_u32_e32 v5, s43, v5
	v_cmp_gt_i32_e64 s[34:35], s61, v5
	v_cmp_ge_i32_e64 s[36:37], v5, v0
	v_cmp_lt_i32_e32 vcc, v5, v0
	s_or_b64 s[36:37], s[34:35], s[36:37]
                                        ; implicit-def: $sgpr34_sgpr35
	s_and_saveexec_b64 s[84:85], s[36:37]
	s_xor_b64 s[36:37], exec, s[84:85]
; %bb.73:                               ;   in Loop: Header=BB219_72 Depth=2
	v_min_i32_e32 v5, v5, v3
	v_cndmask_b32_e32 v3, v5, v3, vcc
	s_and_b64 s[34:35], vcc, exec
                                        ; implicit-def: $vgpr5
; %bb.74:                               ;   in Loop: Header=BB219_72 Depth=2
	s_andn2_saveexec_b64 s[36:37], s[36:37]
	s_cbranch_execz .LBB219_71
; %bb.75:                               ;   in Loop: Header=BB219_72 Depth=2
	v_subrev_u32_e32 v5, s61, v5
	v_lshlrev_b32_e32 v24, 2, v5
	ds_write_b32 v24, v55 offset:18432
	s_and_saveexec_b64 s[84:85], s[4:5]
	s_cbranch_execz .LBB219_70
; %bb.76:                               ;   in Loop: Header=BB219_72 Depth=2
	global_load_dwordx2 v[24:25], v[20:21], off offset:-4
	v_lshlrev_b32_e32 v5, 4, v5
	v_or3_b32 v5, v5, v38, v7
	v_lshlrev_b32_e32 v5, 3, v5
	s_waitcnt vmcnt(0)
	v_mul_f32_e64 v26, v25, -s30
	v_mul_f32_e32 v25, s72, v25
	v_fmac_f32_e32 v26, s72, v24
	v_fmac_f32_e32 v25, s30, v24
	ds_add_f32 v5, v26
	ds_add_f32 v5, v25 offset:4
	s_branch .LBB219_70
.LBB219_77:                             ;   in Loop: Header=BB219_20 Depth=1
	s_or_b64 exec, exec, s[48:49]
.LBB219_78:                             ;   in Loop: Header=BB219_20 Depth=1
	s_or_b64 exec, exec, s[82:83]
.LBB219_79:                             ;   in Loop: Header=BB219_20 Depth=1
	s_and_saveexec_b64 s[34:35], s[8:9]
	s_cbranch_execz .LBB219_84
; %bb.80:                               ;   in Loop: Header=BB219_20 Depth=1
	s_mov_b64 s[36:37], exec
	s_brev_b32 s48, -2
.LBB219_81:                             ;   Parent Loop BB219_20 Depth=1
                                        ; =>  This Inner Loop Header: Depth=2
	s_ff1_i32_b64 s49, s[36:37]
	v_readlane_b32 s82, v3, s49
	s_lshl_b64 s[50:51], 1, s49
	s_min_i32 s48, s48, s82
	s_andn2_b64 s[36:37], s[36:37], s[50:51]
	s_cmp_lg_u64 s[36:37], 0
	s_cbranch_scc1 .LBB219_81
; %bb.82:                               ;   in Loop: Header=BB219_20 Depth=1
	v_mbcnt_lo_u32_b32 v0, exec_lo, 0
	v_mbcnt_hi_u32_b32 v0, exec_hi, v0
	v_cmp_eq_u32_e32 vcc, 0, v0
	s_and_saveexec_b64 s[36:37], vcc
	s_xor_b64 s[36:37], exec, s[36:37]
	s_cbranch_execz .LBB219_84
; %bb.83:                               ;   in Loop: Header=BB219_20 Depth=1
	v_mov_b32_e32 v0, s48
	ds_min_i32 v4, v0 offset:18944
.LBB219_84:                             ;   in Loop: Header=BB219_20 Depth=1
	s_or_b64 exec, exec, s[34:35]
	s_waitcnt lgkmcnt(0)
	s_barrier
	ds_read_b32 v0, v41
	s_waitcnt lgkmcnt(0)
	s_barrier
	s_and_saveexec_b64 s[34:35], s[12:13]
	s_cbranch_execz .LBB219_86
; %bb.85:                               ;   in Loop: Header=BB219_20 Depth=1
	ds_read_b32 v3, v42
	s_waitcnt lgkmcnt(0)
	v_add_u32_e32 v0, v3, v0
.LBB219_86:                             ;   in Loop: Header=BB219_20 Depth=1
	s_or_b64 exec, exec, s[34:35]
	s_barrier
	ds_write_b32 v41, v0
	s_waitcnt lgkmcnt(0)
	s_barrier
	s_and_saveexec_b64 s[34:35], s[14:15]
	s_cbranch_execz .LBB219_88
; %bb.87:                               ;   in Loop: Header=BB219_20 Depth=1
	ds_read_b32 v3, v44
	s_waitcnt lgkmcnt(0)
	v_add_u32_e32 v0, v3, v0
.LBB219_88:                             ;   in Loop: Header=BB219_20 Depth=1
	s_or_b64 exec, exec, s[34:35]
	s_barrier
	ds_write_b32 v41, v0
	;; [unrolled: 12-line block ×7, first 2 shown]
	s_waitcnt lgkmcnt(0)
	s_barrier
	ds_read_b32 v5, v4 offset:18940
	v_mov_b32_e32 v3, 0
	s_and_saveexec_b64 s[34:35], s[10:11]
	s_cbranch_execz .LBB219_100
; %bb.99:                               ;   in Loop: Header=BB219_20 Depth=1
	ds_read_b32 v3, v42
.LBB219_100:                            ;   in Loop: Header=BB219_20 Depth=1
	s_or_b64 exec, exec, s[34:35]
	s_waitcnt lgkmcnt(0)
	v_cmp_eq_u32_e32 vcc, v0, v3
	s_and_b64 s[36:37], s[10:11], vcc
	s_barrier
	s_and_saveexec_b64 s[34:35], s[36:37]
	s_cbranch_execz .LBB219_102
; %bb.101:                              ;   in Loop: Header=BB219_20 Depth=1
	ds_write_b32 v41, v4
.LBB219_102:                            ;   in Loop: Header=BB219_20 Depth=1
	s_or_b64 exec, exec, s[34:35]
	v_add_co_u32_e32 v18, vcc, -1, v14
	v_addc_co_u32_e32 v19, vcc, -1, v15, vcc
	s_add_i32 s48, s42, s61
	s_mov_b64 s[34:35], 0
	v_mov_b32_e32 v20, v54
	v_mov_b32_e32 v21, v34
	v_mov_b32_e32 v22, v2
	s_waitcnt lgkmcnt(0)
	s_barrier
	s_branch .LBB219_104
.LBB219_103:                            ;   in Loop: Header=BB219_104 Depth=2
	s_or_b64 exec, exec, s[36:37]
	v_add_u32_e32 v0, 16, v22
	v_cmp_lt_u32_e32 vcc, s71, v22
	v_add_u32_e32 v21, 0x800, v21
	v_add_u32_e32 v20, 64, v20
	s_or_b64 s[34:35], vcc, s[34:35]
	v_mov_b32_e32 v22, v0
	s_andn2_b64 exec, exec, s[34:35]
	s_cbranch_execz .LBB219_19
.LBB219_104:                            ;   Parent Loop BB219_20 Depth=1
                                        ; =>  This Inner Loop Header: Depth=2
	ds_read_b32 v0, v20
	s_waitcnt lgkmcnt(0)
	v_cmp_ne_u32_e32 vcc, 0, v0
	s_and_saveexec_b64 s[36:37], vcc
	s_cbranch_execz .LBB219_103
; %bb.105:                              ;   in Loop: Header=BB219_104 Depth=2
	v_ashrrev_i32_e32 v3, 31, v0
	v_add_co_u32_e32 v24, vcc, v14, v0
	v_addc_co_u32_e32 v25, vcc, v15, v3, vcc
	v_lshlrev_b64 v[24:25], 2, v[24:25]
	v_mov_b32_e32 v26, s29
	v_add_co_u32_e32 v24, vcc, s28, v24
	v_add_u32_e32 v23, s48, v22
	v_addc_co_u32_e32 v25, vcc, v26, v25, vcc
	global_store_dword v[24:25], v23, off
	s_and_b64 exec, exec, s[4:5]
	s_cbranch_execz .LBB219_103
; %bb.106:                              ;   in Loop: Header=BB219_104 Depth=2
	v_add_co_u32_e32 v0, vcc, v18, v0
	v_mad_u64_u32 v[24:25], s[50:51], v0, s60, 0
	v_addc_co_u32_e32 v3, vcc, v19, v3, vcc
	v_mov_b32_e32 v0, v25
	v_mad_u64_u32 v[26:27], s[50:51], v3, s60, v[0:1]
	v_mov_b32_e32 v25, v26
	ds_read_b64 v[26:27], v21
	v_lshlrev_b64 v[24:25], 3, v[24:25]
	v_add_co_u32_e32 v24, vcc, v6, v24
	v_addc_co_u32_e32 v25, vcc, v1, v25, vcc
	s_waitcnt lgkmcnt(0)
	global_store_dwordx2 v[24:25], v[26:27], off
	s_branch .LBB219_103
.LBB219_107:
	s_endpgm
	.section	.rodata,"a",@progbits
	.p2align	6, 0x0
	.amdhsa_kernel _ZN9rocsparseL38bsrgemm_block_per_row_atomic_multipassILj256ELj128ELj4Eli21rocsparse_complex_numIfEEEv20rocsparse_direction_T3_S4_PKS4_S6_NS_24const_host_device_scalarIT4_EEPKT2_S6_PKS8_SC_S6_SE_S9_SC_S6_SE_SC_PS4_PS8_PSA_21rocsparse_index_base_SI_SI_SI_bbb
		.amdhsa_group_segment_fixed_size 18948
		.amdhsa_private_segment_fixed_size 0
		.amdhsa_kernarg_size 172
		.amdhsa_user_sgpr_count 6
		.amdhsa_user_sgpr_private_segment_buffer 1
		.amdhsa_user_sgpr_dispatch_ptr 0
		.amdhsa_user_sgpr_queue_ptr 0
		.amdhsa_user_sgpr_kernarg_segment_ptr 1
		.amdhsa_user_sgpr_dispatch_id 0
		.amdhsa_user_sgpr_flat_scratch_init 0
		.amdhsa_user_sgpr_kernarg_preload_length 0
		.amdhsa_user_sgpr_kernarg_preload_offset 0
		.amdhsa_user_sgpr_private_segment_size 0
		.amdhsa_uses_dynamic_stack 0
		.amdhsa_system_sgpr_private_segment_wavefront_offset 0
		.amdhsa_system_sgpr_workgroup_id_x 1
		.amdhsa_system_sgpr_workgroup_id_y 0
		.amdhsa_system_sgpr_workgroup_id_z 0
		.amdhsa_system_sgpr_workgroup_info 0
		.amdhsa_system_vgpr_workitem_id 0
		.amdhsa_next_free_vgpr 64
		.amdhsa_next_free_sgpr 95
		.amdhsa_accum_offset 64
		.amdhsa_reserve_vcc 1
		.amdhsa_reserve_flat_scratch 0
		.amdhsa_float_round_mode_32 0
		.amdhsa_float_round_mode_16_64 0
		.amdhsa_float_denorm_mode_32 3
		.amdhsa_float_denorm_mode_16_64 3
		.amdhsa_dx10_clamp 1
		.amdhsa_ieee_mode 1
		.amdhsa_fp16_overflow 0
		.amdhsa_tg_split 0
		.amdhsa_exception_fp_ieee_invalid_op 0
		.amdhsa_exception_fp_denorm_src 0
		.amdhsa_exception_fp_ieee_div_zero 0
		.amdhsa_exception_fp_ieee_overflow 0
		.amdhsa_exception_fp_ieee_underflow 0
		.amdhsa_exception_fp_ieee_inexact 0
		.amdhsa_exception_int_div_zero 0
	.end_amdhsa_kernel
	.section	.text._ZN9rocsparseL38bsrgemm_block_per_row_atomic_multipassILj256ELj128ELj4Eli21rocsparse_complex_numIfEEEv20rocsparse_direction_T3_S4_PKS4_S6_NS_24const_host_device_scalarIT4_EEPKT2_S6_PKS8_SC_S6_SE_S9_SC_S6_SE_SC_PS4_PS8_PSA_21rocsparse_index_base_SI_SI_SI_bbb,"axG",@progbits,_ZN9rocsparseL38bsrgemm_block_per_row_atomic_multipassILj256ELj128ELj4Eli21rocsparse_complex_numIfEEEv20rocsparse_direction_T3_S4_PKS4_S6_NS_24const_host_device_scalarIT4_EEPKT2_S6_PKS8_SC_S6_SE_S9_SC_S6_SE_SC_PS4_PS8_PSA_21rocsparse_index_base_SI_SI_SI_bbb,comdat
.Lfunc_end219:
	.size	_ZN9rocsparseL38bsrgemm_block_per_row_atomic_multipassILj256ELj128ELj4Eli21rocsparse_complex_numIfEEEv20rocsparse_direction_T3_S4_PKS4_S6_NS_24const_host_device_scalarIT4_EEPKT2_S6_PKS8_SC_S6_SE_S9_SC_S6_SE_SC_PS4_PS8_PSA_21rocsparse_index_base_SI_SI_SI_bbb, .Lfunc_end219-_ZN9rocsparseL38bsrgemm_block_per_row_atomic_multipassILj256ELj128ELj4Eli21rocsparse_complex_numIfEEEv20rocsparse_direction_T3_S4_PKS4_S6_NS_24const_host_device_scalarIT4_EEPKT2_S6_PKS8_SC_S6_SE_S9_SC_S6_SE_SC_PS4_PS8_PSA_21rocsparse_index_base_SI_SI_SI_bbb
                                        ; -- End function
	.section	.AMDGPU.csdata,"",@progbits
; Kernel info:
; codeLenInByte = 3920
; NumSgprs: 99
; NumVgprs: 64
; NumAgprs: 0
; TotalNumVgprs: 64
; ScratchSize: 0
; MemoryBound: 0
; FloatMode: 240
; IeeeMode: 1
; LDSByteSize: 18948 bytes/workgroup (compile time only)
; SGPRBlocks: 12
; VGPRBlocks: 7
; NumSGPRsForWavesPerEU: 99
; NumVGPRsForWavesPerEU: 64
; AccumOffset: 64
; Occupancy: 3
; WaveLimiterHint : 1
; COMPUTE_PGM_RSRC2:SCRATCH_EN: 0
; COMPUTE_PGM_RSRC2:USER_SGPR: 6
; COMPUTE_PGM_RSRC2:TRAP_HANDLER: 0
; COMPUTE_PGM_RSRC2:TGID_X_EN: 1
; COMPUTE_PGM_RSRC2:TGID_Y_EN: 0
; COMPUTE_PGM_RSRC2:TGID_Z_EN: 0
; COMPUTE_PGM_RSRC2:TIDIG_COMP_CNT: 0
; COMPUTE_PGM_RSRC3_GFX90A:ACCUM_OFFSET: 15
; COMPUTE_PGM_RSRC3_GFX90A:TG_SPLIT: 0
	.section	.text._ZN9rocsparseL23bsrgemm_fill_wf_per_rowILj256ELj64ELj8ELj137ELj8Eli21rocsparse_complex_numIfEEEv20rocsparse_direction_T5_S4_S4_PKS4_S6_NS_24const_host_device_scalarIT6_EEPKT4_S6_PKS8_SC_S6_SE_S9_SC_S6_SE_SC_PS4_PS8_21rocsparse_index_base_SH_SH_SH_bbb,"axG",@progbits,_ZN9rocsparseL23bsrgemm_fill_wf_per_rowILj256ELj64ELj8ELj137ELj8Eli21rocsparse_complex_numIfEEEv20rocsparse_direction_T5_S4_S4_PKS4_S6_NS_24const_host_device_scalarIT6_EEPKT4_S6_PKS8_SC_S6_SE_S9_SC_S6_SE_SC_PS4_PS8_21rocsparse_index_base_SH_SH_SH_bbb,comdat
	.globl	_ZN9rocsparseL23bsrgemm_fill_wf_per_rowILj256ELj64ELj8ELj137ELj8Eli21rocsparse_complex_numIfEEEv20rocsparse_direction_T5_S4_S4_PKS4_S6_NS_24const_host_device_scalarIT6_EEPKT4_S6_PKS8_SC_S6_SE_S9_SC_S6_SE_SC_PS4_PS8_21rocsparse_index_base_SH_SH_SH_bbb ; -- Begin function _ZN9rocsparseL23bsrgemm_fill_wf_per_rowILj256ELj64ELj8ELj137ELj8Eli21rocsparse_complex_numIfEEEv20rocsparse_direction_T5_S4_S4_PKS4_S6_NS_24const_host_device_scalarIT6_EEPKT4_S6_PKS8_SC_S6_SE_S9_SC_S6_SE_SC_PS4_PS8_21rocsparse_index_base_SH_SH_SH_bbb
	.p2align	8
	.type	_ZN9rocsparseL23bsrgemm_fill_wf_per_rowILj256ELj64ELj8ELj137ELj8Eli21rocsparse_complex_numIfEEEv20rocsparse_direction_T5_S4_S4_PKS4_S6_NS_24const_host_device_scalarIT6_EEPKT4_S6_PKS8_SC_S6_SE_S9_SC_S6_SE_SC_PS4_PS8_21rocsparse_index_base_SH_SH_SH_bbb,@function
_ZN9rocsparseL23bsrgemm_fill_wf_per_rowILj256ELj64ELj8ELj137ELj8Eli21rocsparse_complex_numIfEEEv20rocsparse_direction_T5_S4_S4_PKS4_S6_NS_24const_host_device_scalarIT6_EEPKT4_S6_PKS8_SC_S6_SE_S9_SC_S6_SE_SC_PS4_PS8_21rocsparse_index_base_SH_SH_SH_bbb: ; @_ZN9rocsparseL23bsrgemm_fill_wf_per_rowILj256ELj64ELj8ELj137ELj8Eli21rocsparse_complex_numIfEEEv20rocsparse_direction_T5_S4_S4_PKS4_S6_NS_24const_host_device_scalarIT6_EEPKT4_S6_PKS8_SC_S6_SE_S9_SC_S6_SE_SC_PS4_PS8_21rocsparse_index_base_SH_SH_SH_bbb
; %bb.0:
	s_load_dwordx8 s[8:15], s[4:5], 0x68
	s_load_dwordx8 s[16:23], s[4:5], 0x48
	s_load_dword s7, s[4:5], 0xa0
	s_load_dwordx4 s[44:47], s[4:5], 0x10
	s_load_dwordx8 s[24:31], s[4:5], 0x28
	s_load_dwordx2 s[34:35], s[4:5], 0x88
	s_load_dwordx4 s[36:39], s[4:5], 0x90
	s_waitcnt lgkmcnt(0)
	s_bitcmp1_b32 s7, 0
	s_cselect_b64 s[2:3], -1, 0
	s_bitcmp1_b32 s7, 16
	s_cselect_b64 s[0:1], -1, 0
	s_xor_b64 s[0:1], s[0:1], -1
	v_cndmask_b32_e64 v1, 0, 1, s[0:1]
	s_mov_b32 s49, 0
	s_bitcmp0_b32 s7, 0
	v_cmp_ne_u32_e64 s[0:1], 1, v1
	s_mov_b32 s66, 0
	s_cbranch_scc1 .LBB220_5
; %bb.1:
	s_load_dwordx2 s[48:49], s[4:5], 0x20
	s_and_b64 vcc, exec, s[0:1]
	s_waitcnt lgkmcnt(0)
	s_mov_b32 s66, s48
	s_cbranch_vccnz .LBB220_3
; %bb.2:
	s_load_dword s66, s[48:49], 0x0
.LBB220_3:
	s_and_b64 vcc, exec, s[0:1]
	s_cbranch_vccnz .LBB220_5
; %bb.4:
	s_load_dword s49, s[48:49], 0x4
.LBB220_5:
	s_bitcmp1_b32 s7, 8
	s_cselect_b64 s[50:51], -1, 0
	s_bfe_u32 s7, s7, 0x10008
	s_mov_b32 s48, 0
	s_cmp_eq_u32 s7, 0
	s_mov_b32 s33, 0
	s_cbranch_scc1 .LBB220_11
; %bb.6:
	s_and_b64 vcc, exec, s[0:1]
	s_mov_b32 s33, s20
	s_cbranch_vccnz .LBB220_8
; %bb.7:
	s_load_dword s33, s[20:21], 0x0
.LBB220_8:
	s_and_b64 vcc, exec, s[0:1]
	s_cbranch_vccnz .LBB220_10
; %bb.9:
	s_load_dword s21, s[20:21], 0x4
.LBB220_10:
	s_waitcnt lgkmcnt(0)
	s_mov_b32 s48, s21
.LBB220_11:
	s_load_dwordx4 s[40:43], s[4:5], 0x0
	v_and_b32_e32 v36, 63, v0
	v_lshrrev_b32_e32 v31, 6, v0
	v_mov_b32_e32 v1, 0x4000
	v_lshl_or_b32 v30, v31, 5, v1
	v_cmp_gt_u32_e32 vcc, 8, v36
	s_and_saveexec_b64 s[0:1], vcc
	s_cbranch_execz .LBB220_13
; %bb.12:
	v_lshl_add_u32 v1, v36, 2, v30
	s_waitcnt lgkmcnt(0)
	v_mov_b32_e32 v2, s42
	ds_write_b32 v1, v2
.LBB220_13:
	s_or_b64 exec, exec, s[0:1]
	v_lshlrev_b32_e32 v32, 12, v31
	v_mov_b32_e32 v2, 0
	v_or_b32_e32 v1, 0xffffffc0, v36
	v_lshl_or_b32 v4, v36, 3, v32
	s_mov_b64 s[0:1], 0
	v_mov_b32_e32 v3, v2
	s_movk_i32 s4, 0x1bf
.LBB220_14:                             ; =>This Inner Loop Header: Depth=1
	v_add_u32_e32 v1, 64, v1
	v_cmp_lt_u32_e32 vcc, s4, v1
	ds_write_b64 v4, v[2:3]
	s_or_b64 s[0:1], vcc, s[0:1]
	v_add_u32_e32 v4, 0x200, v4
	s_andn2_b64 exec, exec, s[0:1]
	s_cbranch_execnz .LBB220_14
; %bb.15:
	s_or_b64 exec, exec, s[0:1]
	v_lshl_or_b32 v2, s6, 2, v31
	s_waitcnt lgkmcnt(0)
	v_cmp_gt_i32_e32 vcc, s41, v2
	s_barrier
	s_and_saveexec_b64 s[0:1], vcc
	s_cbranch_execz .LBB220_71
; %bb.16:
	s_cmp_eq_u64 s[46:47], 0
	s_cbranch_scc1 .LBB220_18
; %bb.17:
	s_load_dword s0, s[44:45], 0x0
	v_mov_b32_e32 v1, s47
	s_waitcnt lgkmcnt(0)
	v_add_u32_e32 v2, s0, v2
	v_ashrrev_i32_e32 v3, 31, v2
	v_lshlrev_b64 v[2:3], 2, v[2:3]
	v_add_co_u32_e32 v2, vcc, s46, v2
	v_addc_co_u32_e32 v3, vcc, v1, v3, vcc
	global_load_dword v2, v[2:3], off
.LBB220_18:
	v_lshlrev_b32_e32 v1, 6, v0
	s_waitcnt vmcnt(0)
	v_ashrrev_i32_e32 v3, 31, v2
	v_and_b32_e32 v33, 7, v0
	v_lshrrev_b32_e32 v34, 3, v36
	v_and_b32_e32 v35, 0x3000, v1
	s_andn2_b64 vcc, exec, s[2:3]
	s_mul_i32 s6, s43, s43
	v_lshlrev_b64 v[6:7], 3, v[2:3]
	s_cbranch_vccnz .LBB220_48
; %bb.19:
	v_mov_b32_e32 v1, s25
	v_add_co_u32_e32 v2, vcc, s24, v6
	v_addc_co_u32_e32 v3, vcc, v1, v7, vcc
	global_load_dwordx4 v[2:5], v[2:3], off
	s_waitcnt vmcnt(0)
	v_cmp_lt_i64_e32 vcc, v[2:3], v[4:5]
	s_and_saveexec_b64 s[20:21], vcc
	s_cbranch_execz .LBB220_47
; %bb.20:
	v_subrev_co_u32_e32 v8, vcc, s36, v4
	v_subbrev_co_u32_e32 v9, vcc, 0, v5, vcc
	v_subrev_co_u32_e32 v10, vcc, s36, v2
	v_subbrev_co_u32_e32 v11, vcc, 0, v3, vcc
	v_mul_lo_u32 v2, v33, s43
	v_mov_b32_e32 v3, 0
	v_max_i32_e32 v1, v33, v34
	v_mov_b32_e32 v5, v3
	v_lshlrev_b64 v[2:3], 3, v[2:3]
	v_cmp_gt_i32_e64 s[0:1], s43, v1
	v_mov_b32_e32 v1, s19
	v_add_co_u32_e32 v2, vcc, s18, v2
	v_addc_co_u32_e32 v3, vcc, v3, v1, vcc
	v_add_co_u32_e32 v12, vcc, 4, v2
	v_addc_co_u32_e32 v13, vcc, 0, v3, vcc
	v_mad_u64_u32 v[2:3], s[44:45], v10, s6, 0
	v_mov_b32_e32 v14, v3
	v_mad_u64_u32 v[14:15], s[44:45], v11, s6, v[14:15]
	v_mov_b32_e32 v3, v14
	v_lshlrev_b64 v[2:3], 3, v[2:3]
	v_lshlrev_b32_e32 v14, 3, v34
	v_add_co_u32_e32 v14, vcc, v2, v14
	v_addc_co_u32_e32 v15, vcc, 0, v3, vcc
	v_mov_b32_e32 v19, s29
	v_add_co_u32_e32 v14, vcc, s28, v14
	v_addc_co_u32_e32 v15, vcc, v19, v15, vcc
	v_lshlrev_b32_e32 v16, 3, v33
	v_add_co_u32_e32 v16, vcc, s18, v16
	v_addc_co_u32_e32 v1, vcc, 0, v1, vcc
	v_mul_lo_u32 v4, v34, s43
	v_add_co_u32_e32 v16, vcc, 4, v16
	v_addc_co_u32_e32 v17, vcc, 0, v1, vcc
	v_lshlrev_b64 v[4:5], 3, v[4:5]
	v_add_co_u32_e32 v1, vcc, v2, v4
	s_cmp_lg_u32 s40, 0
	v_addc_co_u32_e32 v2, vcc, v3, v5, vcc
	s_mov_b32 s41, 0
	s_cselect_b64 s[2:3], -1, 0
	s_cmp_gt_i32 s43, 0
	v_add_co_u32_e32 v18, vcc, s28, v1
	s_cselect_b64 s[4:5], -1, 0
	s_mov_b32 s44, s43
	s_mov_b32 s45, s41
	v_addc_co_u32_e32 v19, vcc, v19, v2, vcc
	v_cndmask_b32_e64 v2, 0, 1, s[2:3]
	s_mov_b32 s7, s41
	s_lshl_b64 s[44:45], s[44:45], 3
	v_cmp_ne_u32_e64 s[2:3], 1, v2
	v_cndmask_b32_e64 v2, 0, 1, s[4:5]
	s_mov_b32 s67, s37
	s_lshl_b64 s[24:25], s[6:7], 3
	s_mov_b64 s[18:19], 0
	v_mov_b32_e32 v1, s27
	v_mov_b32_e32 v37, s31
	v_cmp_ne_u32_e64 s[4:5], 1, v2
	v_mov_b32_e32 v38, s45
	s_branch .LBB220_22
.LBB220_21:                             ;   in Loop: Header=BB220_22 Depth=1
	s_or_b64 exec, exec, s[28:29]
	v_add_co_u32_e32 v10, vcc, 1, v10
	v_addc_co_u32_e32 v11, vcc, 0, v11, vcc
	v_mov_b32_e32 v2, s25
	v_add_co_u32_e32 v14, vcc, s24, v14
	v_addc_co_u32_e32 v15, vcc, v15, v2, vcc
	v_cmp_ge_i64_e32 vcc, v[10:11], v[8:9]
	s_or_b64 s[18:19], vcc, s[18:19]
	v_add_co_u32_e32 v18, vcc, s24, v18
	v_addc_co_u32_e32 v19, vcc, v19, v2, vcc
	s_andn2_b64 exec, exec, s[18:19]
	s_cbranch_execz .LBB220_47
.LBB220_22:                             ; =>This Loop Header: Depth=1
                                        ;     Child Loop BB220_25 Depth 2
                                        ;       Child Loop BB220_29 Depth 3
                                        ;       Child Loop BB220_34 Depth 3
	;; [unrolled: 1-line block ×3, first 2 shown]
	v_lshlrev_b64 v[2:3], 2, v[10:11]
	v_add_co_u32_e32 v2, vcc, s26, v2
	v_addc_co_u32_e32 v3, vcc, v1, v3, vcc
	global_load_dword v2, v[2:3], off
	s_waitcnt vmcnt(0)
	v_subrev_u32_e32 v2, s36, v2
	v_ashrrev_i32_e32 v3, 31, v2
	v_lshlrev_b64 v[2:3], 3, v[2:3]
	v_add_co_u32_e32 v2, vcc, s30, v2
	v_addc_co_u32_e32 v3, vcc, v37, v3, vcc
	global_load_dwordx4 v[2:5], v[2:3], off
	s_waitcnt vmcnt(0)
	v_cmp_lt_i64_e32 vcc, v[2:3], v[4:5]
	s_and_saveexec_b64 s[28:29], vcc
	s_cbranch_execz .LBB220_21
; %bb.23:                               ;   in Loop: Header=BB220_22 Depth=1
	v_mov_b32_e32 v20, s41
	v_subrev_co_u32_e32 v4, vcc, s67, v4
	v_subb_co_u32_e32 v5, vcc, v5, v20, vcc
	v_subrev_co_u32_e32 v2, vcc, s67, v2
	v_subb_co_u32_e32 v3, vcc, v3, v20, vcc
	v_mad_u64_u32 v[20:21], s[46:47], s24, v2, v[12:13]
	v_mul_lo_u32 v24, s24, v3
	v_mul_lo_u32 v25, s25, v2
	v_mad_u64_u32 v[22:23], s[46:47], s24, v2, v[16:17]
	v_add3_u32 v21, v25, v21, v24
	v_add3_u32 v23, v25, v23, v24
	s_mov_b64 s[46:47], 0
	s_branch .LBB220_25
.LBB220_24:                             ;   in Loop: Header=BB220_25 Depth=2
	s_or_b64 exec, exec, s[52:53]
	v_add_co_u32_e32 v2, vcc, 1, v2
	v_addc_co_u32_e32 v3, vcc, 0, v3, vcc
	v_mov_b32_e32 v24, s25
	v_add_co_u32_e32 v20, vcc, s24, v20
	v_addc_co_u32_e32 v21, vcc, v21, v24, vcc
	v_cmp_ge_i64_e32 vcc, v[2:3], v[4:5]
	s_or_b64 s[46:47], vcc, s[46:47]
	v_add_co_u32_e32 v22, vcc, s24, v22
	v_addc_co_u32_e32 v23, vcc, v23, v24, vcc
	s_andn2_b64 exec, exec, s[46:47]
	s_cbranch_execz .LBB220_21
.LBB220_25:                             ;   Parent Loop BB220_22 Depth=1
                                        ; =>  This Loop Header: Depth=2
                                        ;       Child Loop BB220_29 Depth 3
                                        ;       Child Loop BB220_34 Depth 3
	;; [unrolled: 1-line block ×3, first 2 shown]
	s_and_saveexec_b64 s[52:53], s[0:1]
	s_cbranch_execz .LBB220_24
; %bb.26:                               ;   in Loop: Header=BB220_25 Depth=2
	v_lshlrev_b64 v[24:25], 2, v[2:3]
	v_mov_b32_e32 v26, s17
	v_add_co_u32_e32 v24, vcc, s16, v24
	v_addc_co_u32_e32 v25, vcc, v26, v25, vcc
	global_load_dword v39, v[24:25], off
	s_and_b64 vcc, exec, s[2:3]
	s_cbranch_vccnz .LBB220_31
; %bb.27:                               ;   in Loop: Header=BB220_25 Depth=2
	v_mov_b32_e32 v25, 0
	s_and_b64 vcc, exec, s[4:5]
	v_mov_b32_e32 v24, v25
	s_cbranch_vccnz .LBB220_30
; %bb.28:                               ;   in Loop: Header=BB220_25 Depth=2
	v_mov_b32_e32 v24, 0
	v_pk_mov_b32 v[26:27], v[14:15], v[14:15] op_sel:[0,1]
	v_pk_mov_b32 v[28:29], v[20:21], v[20:21] op_sel:[0,1]
	s_mov_b32 s7, s43
	v_mov_b32_e32 v25, v24
.LBB220_29:                             ;   Parent Loop BB220_22 Depth=1
                                        ;     Parent Loop BB220_25 Depth=2
                                        ; =>    This Inner Loop Header: Depth=3
	global_load_dwordx2 v[40:41], v[28:29], off offset:-4
	global_load_dwordx2 v[42:43], v[26:27], off
	v_add_co_u32_e32 v28, vcc, 8, v28
	v_addc_co_u32_e32 v29, vcc, 0, v29, vcc
	s_add_i32 s7, s7, -1
	v_add_co_u32_e32 v26, vcc, s44, v26
	v_addc_co_u32_e32 v27, vcc, v27, v38, vcc
	s_cmp_lg_u32 s7, 0
	s_waitcnt vmcnt(0)
	v_pk_fma_f32 v[24:25], v[42:43], v[40:41], v[24:25] op_sel_hi:[1,0,1]
	v_pk_fma_f32 v[24:25], v[42:43], v[40:41], v[24:25] op_sel:[1,1,0] op_sel_hi:[0,1,1] neg_lo:[1,0,0]
	s_cbranch_scc1 .LBB220_29
.LBB220_30:                             ;   in Loop: Header=BB220_25 Depth=2
	s_cbranch_execz .LBB220_32
	s_branch .LBB220_35
.LBB220_31:                             ;   in Loop: Header=BB220_25 Depth=2
                                        ; implicit-def: $vgpr25
.LBB220_32:                             ;   in Loop: Header=BB220_25 Depth=2
	v_mov_b32_e32 v25, 0
	s_and_b64 vcc, exec, s[4:5]
	v_mov_b32_e32 v24, v25
	s_cbranch_vccnz .LBB220_35
; %bb.33:                               ;   in Loop: Header=BB220_25 Depth=2
	v_mov_b32_e32 v24, 0
	v_pk_mov_b32 v[26:27], v[18:19], v[18:19] op_sel:[0,1]
	v_pk_mov_b32 v[28:29], v[22:23], v[22:23] op_sel:[0,1]
	s_mov_b32 s7, s43
	v_mov_b32_e32 v25, v24
.LBB220_34:                             ;   Parent Loop BB220_22 Depth=1
                                        ;     Parent Loop BB220_25 Depth=2
                                        ; =>    This Inner Loop Header: Depth=3
	global_load_dwordx2 v[40:41], v[28:29], off offset:-4
	global_load_dwordx2 v[42:43], v[26:27], off
	v_add_co_u32_e32 v28, vcc, s44, v28
	v_addc_co_u32_e32 v29, vcc, v29, v38, vcc
	s_add_i32 s7, s7, -1
	v_add_co_u32_e32 v26, vcc, 8, v26
	v_addc_co_u32_e32 v27, vcc, 0, v27, vcc
	s_cmp_eq_u32 s7, 0
	s_waitcnt vmcnt(0)
	v_pk_fma_f32 v[24:25], v[42:43], v[40:41], v[24:25] op_sel_hi:[1,0,1]
	v_pk_fma_f32 v[24:25], v[42:43], v[40:41], v[24:25] op_sel:[1,1,0] op_sel_hi:[0,1,1] neg_lo:[1,0,0]
	s_cbranch_scc0 .LBB220_34
.LBB220_35:                             ;   in Loop: Header=BB220_25 Depth=2
	s_waitcnt vmcnt(0)
	v_subrev_u32_e32 v26, s37, v39
	v_mul_f32_e64 v27, v25, -s49
	v_mul_f32_e32 v25, s66, v25
	v_fmac_f32_e32 v27, s66, v24
	v_fmac_f32_e32 v25, s49, v24
	v_and_b32_e32 v24, 7, v26
	s_mov_b64 s[54:55], 0
	s_branch .LBB220_37
.LBB220_36:                             ;   in Loop: Header=BB220_37 Depth=3
	s_or_b64 exec, exec, s[56:57]
	s_xor_b64 s[56:57], s[58:59], -1
	s_and_b64 s[56:57], exec, s[56:57]
	s_or_b64 s[54:55], s[56:57], s[54:55]
	s_andn2_b64 exec, exec, s[54:55]
	s_cbranch_execz .LBB220_24
.LBB220_37:                             ;   Parent Loop BB220_22 Depth=1
                                        ;     Parent Loop BB220_25 Depth=2
                                        ; =>    This Inner Loop Header: Depth=3
	v_lshl_add_u32 v28, v24, 2, v30
	ds_read_b32 v29, v28
                                        ; implicit-def: $sgpr58_sgpr59
	s_waitcnt lgkmcnt(0)
	v_cmp_ne_u32_e32 vcc, v29, v26
	s_and_saveexec_b64 s[56:57], vcc
	s_xor_b64 s[56:57], exec, s[56:57]
	s_cbranch_execz .LBB220_45
; %bb.38:                               ;   in Loop: Header=BB220_37 Depth=3
	v_cmp_ne_u32_e32 vcc, s42, v29
                                        ; implicit-def: $sgpr58_sgpr59
	s_and_saveexec_b64 s[60:61], vcc
	s_xor_b64 s[60:61], exec, s[60:61]
; %bb.39:                               ;   in Loop: Header=BB220_37 Depth=3
	v_add_u32_e32 v24, 1, v24
	v_and_b32_e32 v24, 7, v24
	s_mov_b64 s[58:59], -1
                                        ; implicit-def: $vgpr28
; %bb.40:                               ;   in Loop: Header=BB220_37 Depth=3
	s_andn2_saveexec_b64 s[60:61], s[60:61]
	s_cbranch_execz .LBB220_44
; %bb.41:                               ;   in Loop: Header=BB220_37 Depth=3
	v_mov_b32_e32 v29, s42
	ds_cmpst_rtn_b32 v28, v28, v29, v26
	s_mov_b64 s[64:65], -1
	s_waitcnt lgkmcnt(0)
	v_cmp_eq_u32_e32 vcc, s42, v28
	s_and_saveexec_b64 s[62:63], vcc
	s_cbranch_execz .LBB220_43
; %bb.42:                               ;   in Loop: Header=BB220_37 Depth=3
	v_lshlrev_b32_e32 v28, 3, v36
	v_lshl_or_b32 v28, v24, 9, v28
	v_add_u32_e32 v28, v35, v28
	ds_add_f32 v28, v27
	ds_add_f32 v28, v25 offset:4
	s_xor_b64 s[64:65], exec, -1
.LBB220_43:                             ;   in Loop: Header=BB220_37 Depth=3
	s_or_b64 exec, exec, s[62:63]
	s_andn2_b64 s[58:59], s[58:59], exec
	s_and_b64 s[62:63], s[64:65], exec
	s_or_b64 s[58:59], s[58:59], s[62:63]
.LBB220_44:                             ;   in Loop: Header=BB220_37 Depth=3
	s_or_b64 exec, exec, s[60:61]
	s_and_b64 s[58:59], s[58:59], exec
.LBB220_45:                             ;   in Loop: Header=BB220_37 Depth=3
	s_andn2_saveexec_b64 s[56:57], s[56:57]
	s_cbranch_execz .LBB220_36
; %bb.46:                               ;   in Loop: Header=BB220_37 Depth=3
	v_lshlrev_b32_e32 v28, 3, v36
	v_lshl_or_b32 v28, v24, 9, v28
	v_add_u32_e32 v28, v35, v28
	ds_add_f32 v28, v27
	ds_add_f32 v28, v25 offset:4
	s_andn2_b64 s[58:59], s[58:59], exec
	s_branch .LBB220_36
.LBB220_47:
	s_or_b64 exec, exec, s[20:21]
.LBB220_48:
	s_andn2_b64 vcc, exec, s[50:51]
	s_waitcnt lgkmcnt(0)
	s_barrier
	s_cbranch_vccnz .LBB220_66
; %bb.49:
	v_mov_b32_e32 v1, s23
	v_add_co_u32_e32 v2, vcc, s22, v6
	v_addc_co_u32_e32 v3, vcc, v1, v7, vcc
	global_load_dwordx4 v[2:5], v[2:3], off
	s_waitcnt vmcnt(0)
	v_cmp_lt_i64_e32 vcc, v[2:3], v[4:5]
	s_and_saveexec_b64 s[2:3], vcc
	s_cbranch_execz .LBB220_65
; %bb.50:
	v_subrev_co_u32_e32 v4, vcc, s39, v4
	v_subbrev_co_u32_e32 v5, vcc, 0, v5, vcc
	v_subrev_co_u32_e32 v2, vcc, s39, v2
	v_mul_lo_u32 v8, v33, s43
	v_mov_b32_e32 v9, 0
	v_subbrev_co_u32_e32 v3, vcc, 0, v3, vcc
	v_max_i32_e32 v1, v33, v34
	v_lshlrev_b64 v[10:11], 3, v[8:9]
	v_cmp_gt_i32_e32 vcc, s43, v1
	v_mov_b32_e32 v1, s11
	v_add_co_u32_e64 v8, s[0:1], s10, v10
	v_addc_co_u32_e64 v10, s[0:1], v1, v11, s[0:1]
	v_lshlrev_b32_e32 v11, 3, v34
	v_add_co_u32_e64 v11, s[0:1], v8, v11
	v_mul_lo_u32 v8, v34, s43
	v_addc_co_u32_e64 v10, s[0:1], 0, v10, s[0:1]
	v_lshlrev_b64 v[8:9], 3, v[8:9]
	v_add_co_u32_e64 v8, s[0:1], s10, v8
	v_addc_co_u32_e64 v1, s[0:1], v1, v9, s[0:1]
	v_lshlrev_b32_e32 v9, 3, v33
	v_add_co_u32_e64 v8, s[0:1], v8, v9
	s_cmp_eq_u32 s40, 0
	v_addc_co_u32_e64 v1, s[0:1], 0, v1, s[0:1]
	s_cselect_b64 s[0:1], -1, 0
	v_cndmask_b32_e64 v1, v10, v1, s[0:1]
	v_cndmask_b32_e64 v8, v11, v8, s[0:1]
	s_mov_b64 s[4:5], 0
	v_lshlrev_b32_e32 v9, 3, v36
	s_branch .LBB220_52
.LBB220_51:                             ;   in Loop: Header=BB220_52 Depth=1
	s_or_b64 exec, exec, s[10:11]
	v_add_co_u32_e64 v2, s[0:1], 1, v2
	v_addc_co_u32_e64 v3, s[0:1], 0, v3, s[0:1]
	v_cmp_ge_i64_e64 s[0:1], v[2:3], v[4:5]
	s_or_b64 s[4:5], s[0:1], s[4:5]
	s_andn2_b64 exec, exec, s[4:5]
	s_cbranch_execz .LBB220_65
.LBB220_52:                             ; =>This Loop Header: Depth=1
                                        ;     Child Loop BB220_55 Depth 2
	s_and_saveexec_b64 s[10:11], vcc
	s_cbranch_execz .LBB220_51
; %bb.53:                               ;   in Loop: Header=BB220_52 Depth=1
	v_lshlrev_b64 v[10:11], 2, v[2:3]
	v_mov_b32_e32 v12, s9
	v_add_co_u32_e64 v10, s[0:1], s8, v10
	v_addc_co_u32_e64 v11, s[0:1], v12, v11, s[0:1]
	global_load_dword v16, v[10:11], off
	v_mad_u64_u32 v[10:11], s[0:1], v2, s6, 0
	v_mov_b32_e32 v12, v11
	v_mad_u64_u32 v[12:13], s[0:1], v3, s6, v[12:13]
	v_mov_b32_e32 v11, v12
	v_lshlrev_b64 v[10:11], 3, v[10:11]
	v_add_co_u32_e64 v10, s[0:1], v8, v10
	v_addc_co_u32_e64 v11, s[0:1], v1, v11, s[0:1]
	global_load_dwordx2 v[14:15], v[10:11], off
	s_mov_b64 s[16:17], 0
	s_waitcnt vmcnt(1)
	v_subrev_u32_e32 v10, s39, v16
	v_and_b32_e32 v12, 7, v10
	s_waitcnt vmcnt(0)
	v_mul_f32_e64 v11, v15, -s48
	v_mul_f32_e32 v13, s33, v15
	v_fmac_f32_e32 v11, s33, v14
	v_fmac_f32_e32 v13, s48, v14
	s_branch .LBB220_55
.LBB220_54:                             ;   in Loop: Header=BB220_55 Depth=2
	s_or_b64 exec, exec, s[0:1]
	s_xor_b64 s[0:1], s[20:21], -1
	s_and_b64 s[0:1], exec, s[0:1]
	s_or_b64 s[16:17], s[0:1], s[16:17]
	s_andn2_b64 exec, exec, s[16:17]
	s_cbranch_execz .LBB220_51
.LBB220_55:                             ;   Parent Loop BB220_52 Depth=1
                                        ; =>  This Inner Loop Header: Depth=2
	v_lshl_add_u32 v14, v12, 2, v30
	ds_read_b32 v15, v14
                                        ; implicit-def: $sgpr20_sgpr21
	s_waitcnt lgkmcnt(0)
	v_cmp_ne_u32_e64 s[0:1], v15, v10
	s_and_saveexec_b64 s[18:19], s[0:1]
	s_xor_b64 s[18:19], exec, s[18:19]
	s_cbranch_execz .LBB220_63
; %bb.56:                               ;   in Loop: Header=BB220_55 Depth=2
	v_cmp_ne_u32_e64 s[0:1], s42, v15
                                        ; implicit-def: $sgpr20_sgpr21
	s_and_saveexec_b64 s[22:23], s[0:1]
	s_xor_b64 s[0:1], exec, s[22:23]
; %bb.57:                               ;   in Loop: Header=BB220_55 Depth=2
	v_add_u32_e32 v12, 1, v12
	v_and_b32_e32 v12, 7, v12
	s_mov_b64 s[20:21], -1
                                        ; implicit-def: $vgpr14
; %bb.58:                               ;   in Loop: Header=BB220_55 Depth=2
	s_andn2_saveexec_b64 s[22:23], s[0:1]
	s_cbranch_execz .LBB220_62
; %bb.59:                               ;   in Loop: Header=BB220_55 Depth=2
	v_mov_b32_e32 v15, s42
	ds_cmpst_rtn_b32 v14, v14, v15, v10
	s_mov_b64 s[26:27], -1
	s_waitcnt lgkmcnt(0)
	v_cmp_eq_u32_e64 s[0:1], s42, v14
	s_and_saveexec_b64 s[24:25], s[0:1]
	s_cbranch_execz .LBB220_61
; %bb.60:                               ;   in Loop: Header=BB220_55 Depth=2
	v_lshl_or_b32 v14, v12, 9, v9
	v_add_u32_e32 v14, v35, v14
	ds_add_f32 v14, v11
	ds_add_f32 v14, v13 offset:4
	s_xor_b64 s[26:27], exec, -1
.LBB220_61:                             ;   in Loop: Header=BB220_55 Depth=2
	s_or_b64 exec, exec, s[24:25]
	s_andn2_b64 s[0:1], s[20:21], exec
	s_and_b64 s[20:21], s[26:27], exec
	s_or_b64 s[20:21], s[0:1], s[20:21]
.LBB220_62:                             ;   in Loop: Header=BB220_55 Depth=2
	s_or_b64 exec, exec, s[22:23]
	s_and_b64 s[20:21], s[20:21], exec
.LBB220_63:                             ;   in Loop: Header=BB220_55 Depth=2
	s_andn2_saveexec_b64 s[0:1], s[18:19]
	s_cbranch_execz .LBB220_54
; %bb.64:                               ;   in Loop: Header=BB220_55 Depth=2
	v_lshl_or_b32 v14, v12, 9, v9
	v_add_u32_e32 v14, v35, v14
	ds_add_f32 v14, v11
	ds_add_f32 v14, v13 offset:4
	s_andn2_b64 s[20:21], s[20:21], exec
	s_branch .LBB220_54
.LBB220_65:
	s_or_b64 exec, exec, s[2:3]
.LBB220_66:
	v_mov_b32_e32 v1, s13
	v_add_co_u32_e32 v2, vcc, s12, v6
	v_addc_co_u32_e32 v3, vcc, v1, v7, vcc
	s_waitcnt lgkmcnt(0)
	s_barrier
	global_load_dwordx2 v[6:7], v[2:3], off
	v_max_i32_e32 v1, v33, v34
	v_mul_lo_u32 v2, v34, s43
	v_mov_b32_e32 v3, 0
	s_cmp_eq_u32 s40, 0
	v_and_b32_e32 v8, 56, v0
	v_cmp_gt_i32_e32 vcc, s43, v1
	v_lshlrev_b64 v[0:1], 3, v[2:3]
	v_lshlrev_b32_e32 v4, 3, v33
	v_mov_b32_e32 v5, s35
	s_cselect_b64 s[0:1], -1, 0
	v_add_co_u32_e64 v0, s[2:3], s34, v0
	v_cndmask_b32_e64 v8, v4, v8, s[0:1]
	v_addc_co_u32_e64 v1, s[2:3], v5, v1, s[2:3]
	v_cndmask_b32_e64 v5, v34, v33, s[0:1]
	v_add_co_u32_e64 v2, s[0:1], v0, v4
	v_addc_co_u32_e64 v3, s[0:1], 0, v1, s[0:1]
	v_mov_b32_e32 v9, 0x4000
	v_or_b32_e32 v0, v5, v8
	s_mov_b32 s4, 0
	v_lshl_add_u32 v4, v0, 3, v32
	s_waitcnt vmcnt(0)
	v_subrev_co_u32_e64 v5, s[0:1], s38, v6
	v_subbrev_co_u32_e64 v6, s[0:1], 0, v7, s[0:1]
	v_lshl_or_b32 v7, v31, 5, v9
	s_branch .LBB220_68
.LBB220_67:                             ;   in Loop: Header=BB220_68 Depth=1
	s_or_b64 exec, exec, s[2:3]
	s_add_i32 s4, s4, 4
	s_cmp_lg_u32 s4, 32
	v_add_u32_e32 v4, 0x200, v4
	s_cbranch_scc0 .LBB220_71
.LBB220_68:                             ; =>This Inner Loop Header: Depth=1
	v_add_u32_e32 v0, s4, v7
	ds_read_b32 v8, v0
	s_waitcnt lgkmcnt(0)
	v_cmp_gt_i32_e64 s[0:1], s42, v8
	s_and_saveexec_b64 s[2:3], s[0:1]
	s_cbranch_execz .LBB220_67
; %bb.69:                               ;   in Loop: Header=BB220_68 Depth=1
	ds_read_b128 v[10:13], v30
	ds_read_b128 v[14:17], v30 offset:16
	s_waitcnt lgkmcnt(1)
	v_cmp_gt_i32_e64 s[0:1], v8, v10
	v_cndmask_b32_e64 v0, 0, 1, s[0:1]
	v_add_co_u32_e64 v0, s[0:1], v5, v0
	v_addc_co_u32_e64 v1, s[0:1], 0, v6, s[0:1]
	v_cmp_gt_i32_e64 s[0:1], v8, v11
	v_cndmask_b32_e64 v9, 0, 1, s[0:1]
	v_add_co_u32_e64 v0, s[0:1], v0, v9
	v_addc_co_u32_e64 v1, s[0:1], 0, v1, s[0:1]
	;; [unrolled: 4-line block ×4, first 2 shown]
	s_waitcnt lgkmcnt(0)
	v_cmp_gt_i32_e64 s[0:1], v8, v14
	v_cndmask_b32_e64 v9, 0, 1, s[0:1]
	v_add_co_u32_e64 v0, s[0:1], v0, v9
	v_addc_co_u32_e64 v1, s[0:1], 0, v1, s[0:1]
	v_cmp_gt_i32_e64 s[0:1], v8, v15
	v_cndmask_b32_e64 v9, 0, 1, s[0:1]
	v_add_co_u32_e64 v0, s[0:1], v0, v9
	v_addc_co_u32_e64 v1, s[0:1], 0, v1, s[0:1]
	;; [unrolled: 4-line block ×4, first 2 shown]
	v_add_u32_e32 v10, s38, v8
	v_lshlrev_b64 v[8:9], 2, v[0:1]
	v_mov_b32_e32 v11, s15
	v_add_co_u32_e64 v8, s[0:1], s14, v8
	v_addc_co_u32_e64 v9, s[0:1], v11, v9, s[0:1]
	global_store_dword v[8:9], v10, off
	s_and_b64 exec, exec, vcc
	s_cbranch_execz .LBB220_67
; %bb.70:                               ;   in Loop: Header=BB220_68 Depth=1
	v_mad_u64_u32 v[8:9], s[0:1], v0, s6, 0
	v_mov_b32_e32 v0, v9
	v_mad_u64_u32 v[0:1], s[0:1], v1, s6, v[0:1]
	v_mov_b32_e32 v9, v0
	v_lshlrev_b64 v[0:1], 3, v[8:9]
	ds_read_b64 v[8:9], v4
	v_add_co_u32_e64 v0, s[0:1], v2, v0
	v_addc_co_u32_e64 v1, s[0:1], v3, v1, s[0:1]
	s_waitcnt lgkmcnt(0)
	global_store_dwordx2 v[0:1], v[8:9], off
	s_branch .LBB220_67
.LBB220_71:
	s_endpgm
	.section	.rodata,"a",@progbits
	.p2align	6, 0x0
	.amdhsa_kernel _ZN9rocsparseL23bsrgemm_fill_wf_per_rowILj256ELj64ELj8ELj137ELj8Eli21rocsparse_complex_numIfEEEv20rocsparse_direction_T5_S4_S4_PKS4_S6_NS_24const_host_device_scalarIT6_EEPKT4_S6_PKS8_SC_S6_SE_S9_SC_S6_SE_SC_PS4_PS8_21rocsparse_index_base_SH_SH_SH_bbb
		.amdhsa_group_segment_fixed_size 16512
		.amdhsa_private_segment_fixed_size 0
		.amdhsa_kernarg_size 164
		.amdhsa_user_sgpr_count 6
		.amdhsa_user_sgpr_private_segment_buffer 1
		.amdhsa_user_sgpr_dispatch_ptr 0
		.amdhsa_user_sgpr_queue_ptr 0
		.amdhsa_user_sgpr_kernarg_segment_ptr 1
		.amdhsa_user_sgpr_dispatch_id 0
		.amdhsa_user_sgpr_flat_scratch_init 0
		.amdhsa_user_sgpr_kernarg_preload_length 0
		.amdhsa_user_sgpr_kernarg_preload_offset 0
		.amdhsa_user_sgpr_private_segment_size 0
		.amdhsa_uses_dynamic_stack 0
		.amdhsa_system_sgpr_private_segment_wavefront_offset 0
		.amdhsa_system_sgpr_workgroup_id_x 1
		.amdhsa_system_sgpr_workgroup_id_y 0
		.amdhsa_system_sgpr_workgroup_id_z 0
		.amdhsa_system_sgpr_workgroup_info 0
		.amdhsa_system_vgpr_workitem_id 0
		.amdhsa_next_free_vgpr 44
		.amdhsa_next_free_sgpr 68
		.amdhsa_accum_offset 44
		.amdhsa_reserve_vcc 1
		.amdhsa_reserve_flat_scratch 0
		.amdhsa_float_round_mode_32 0
		.amdhsa_float_round_mode_16_64 0
		.amdhsa_float_denorm_mode_32 3
		.amdhsa_float_denorm_mode_16_64 3
		.amdhsa_dx10_clamp 1
		.amdhsa_ieee_mode 1
		.amdhsa_fp16_overflow 0
		.amdhsa_tg_split 0
		.amdhsa_exception_fp_ieee_invalid_op 0
		.amdhsa_exception_fp_denorm_src 0
		.amdhsa_exception_fp_ieee_div_zero 0
		.amdhsa_exception_fp_ieee_overflow 0
		.amdhsa_exception_fp_ieee_underflow 0
		.amdhsa_exception_fp_ieee_inexact 0
		.amdhsa_exception_int_div_zero 0
	.end_amdhsa_kernel
	.section	.text._ZN9rocsparseL23bsrgemm_fill_wf_per_rowILj256ELj64ELj8ELj137ELj8Eli21rocsparse_complex_numIfEEEv20rocsparse_direction_T5_S4_S4_PKS4_S6_NS_24const_host_device_scalarIT6_EEPKT4_S6_PKS8_SC_S6_SE_S9_SC_S6_SE_SC_PS4_PS8_21rocsparse_index_base_SH_SH_SH_bbb,"axG",@progbits,_ZN9rocsparseL23bsrgemm_fill_wf_per_rowILj256ELj64ELj8ELj137ELj8Eli21rocsparse_complex_numIfEEEv20rocsparse_direction_T5_S4_S4_PKS4_S6_NS_24const_host_device_scalarIT6_EEPKT4_S6_PKS8_SC_S6_SE_S9_SC_S6_SE_SC_PS4_PS8_21rocsparse_index_base_SH_SH_SH_bbb,comdat
.Lfunc_end220:
	.size	_ZN9rocsparseL23bsrgemm_fill_wf_per_rowILj256ELj64ELj8ELj137ELj8Eli21rocsparse_complex_numIfEEEv20rocsparse_direction_T5_S4_S4_PKS4_S6_NS_24const_host_device_scalarIT6_EEPKT4_S6_PKS8_SC_S6_SE_S9_SC_S6_SE_SC_PS4_PS8_21rocsparse_index_base_SH_SH_SH_bbb, .Lfunc_end220-_ZN9rocsparseL23bsrgemm_fill_wf_per_rowILj256ELj64ELj8ELj137ELj8Eli21rocsparse_complex_numIfEEEv20rocsparse_direction_T5_S4_S4_PKS4_S6_NS_24const_host_device_scalarIT6_EEPKT4_S6_PKS8_SC_S6_SE_S9_SC_S6_SE_SC_PS4_PS8_21rocsparse_index_base_SH_SH_SH_bbb
                                        ; -- End function
	.section	.AMDGPU.csdata,"",@progbits
; Kernel info:
; codeLenInByte = 2908
; NumSgprs: 72
; NumVgprs: 44
; NumAgprs: 0
; TotalNumVgprs: 44
; ScratchSize: 0
; MemoryBound: 0
; FloatMode: 240
; IeeeMode: 1
; LDSByteSize: 16512 bytes/workgroup (compile time only)
; SGPRBlocks: 8
; VGPRBlocks: 5
; NumSGPRsForWavesPerEU: 72
; NumVGPRsForWavesPerEU: 44
; AccumOffset: 44
; Occupancy: 3
; WaveLimiterHint : 1
; COMPUTE_PGM_RSRC2:SCRATCH_EN: 0
; COMPUTE_PGM_RSRC2:USER_SGPR: 6
; COMPUTE_PGM_RSRC2:TRAP_HANDLER: 0
; COMPUTE_PGM_RSRC2:TGID_X_EN: 1
; COMPUTE_PGM_RSRC2:TGID_Y_EN: 0
; COMPUTE_PGM_RSRC2:TGID_Z_EN: 0
; COMPUTE_PGM_RSRC2:TIDIG_COMP_CNT: 0
; COMPUTE_PGM_RSRC3_GFX90A:ACCUM_OFFSET: 10
; COMPUTE_PGM_RSRC3_GFX90A:TG_SPLIT: 0
	.section	.text._ZN9rocsparseL38bsrgemm_block_per_row_atomic_multipassILj256ELj16ELj8Eli21rocsparse_complex_numIfEEEv20rocsparse_direction_T3_S4_PKS4_S6_NS_24const_host_device_scalarIT4_EEPKT2_S6_PKS8_SC_S6_SE_S9_SC_S6_SE_SC_PS4_PS8_PSA_21rocsparse_index_base_SI_SI_SI_bbb,"axG",@progbits,_ZN9rocsparseL38bsrgemm_block_per_row_atomic_multipassILj256ELj16ELj8Eli21rocsparse_complex_numIfEEEv20rocsparse_direction_T3_S4_PKS4_S6_NS_24const_host_device_scalarIT4_EEPKT2_S6_PKS8_SC_S6_SE_S9_SC_S6_SE_SC_PS4_PS8_PSA_21rocsparse_index_base_SI_SI_SI_bbb,comdat
	.globl	_ZN9rocsparseL38bsrgemm_block_per_row_atomic_multipassILj256ELj16ELj8Eli21rocsparse_complex_numIfEEEv20rocsparse_direction_T3_S4_PKS4_S6_NS_24const_host_device_scalarIT4_EEPKT2_S6_PKS8_SC_S6_SE_S9_SC_S6_SE_SC_PS4_PS8_PSA_21rocsparse_index_base_SI_SI_SI_bbb ; -- Begin function _ZN9rocsparseL38bsrgemm_block_per_row_atomic_multipassILj256ELj16ELj8Eli21rocsparse_complex_numIfEEEv20rocsparse_direction_T3_S4_PKS4_S6_NS_24const_host_device_scalarIT4_EEPKT2_S6_PKS8_SC_S6_SE_S9_SC_S6_SE_SC_PS4_PS8_PSA_21rocsparse_index_base_SI_SI_SI_bbb
	.p2align	8
	.type	_ZN9rocsparseL38bsrgemm_block_per_row_atomic_multipassILj256ELj16ELj8Eli21rocsparse_complex_numIfEEEv20rocsparse_direction_T3_S4_PKS4_S6_NS_24const_host_device_scalarIT4_EEPKT2_S6_PKS8_SC_S6_SE_S9_SC_S6_SE_SC_PS4_PS8_PSA_21rocsparse_index_base_SI_SI_SI_bbb,@function
_ZN9rocsparseL38bsrgemm_block_per_row_atomic_multipassILj256ELj16ELj8Eli21rocsparse_complex_numIfEEEv20rocsparse_direction_T3_S4_PKS4_S6_NS_24const_host_device_scalarIT4_EEPKT2_S6_PKS8_SC_S6_SE_S9_SC_S6_SE_SC_PS4_PS8_PSA_21rocsparse_index_base_SI_SI_SI_bbb: ; @_ZN9rocsparseL38bsrgemm_block_per_row_atomic_multipassILj256ELj16ELj8Eli21rocsparse_complex_numIfEEEv20rocsparse_direction_T3_S4_PKS4_S6_NS_24const_host_device_scalarIT4_EEPKT2_S6_PKS8_SC_S6_SE_S9_SC_S6_SE_SC_PS4_PS8_PSA_21rocsparse_index_base_SI_SI_SI_bbb
; %bb.0:
	s_load_dwordx8 s[24:31], s[4:5], 0x88
	s_load_dword s2, s[4:5], 0xa8
	s_load_dwordx8 s[36:43], s[4:5], 0x68
	s_load_dwordx8 s[44:51], s[4:5], 0x48
	s_load_dwordx4 s[8:11], s[4:5], 0x10
	s_load_dwordx8 s[52:59], s[4:5], 0x28
	s_waitcnt lgkmcnt(0)
	s_bitcmp1_b32 s2, 0
	s_cselect_b64 s[12:13], -1, 0
	s_bitcmp1_b32 s2, 16
	s_cselect_b64 s[0:1], -1, 0
	s_xor_b64 s[0:1], s[0:1], -1
	v_cndmask_b32_e64 v1, 0, 1, s[0:1]
	s_mov_b32 s35, 0
	s_bitcmp0_b32 s2, 0
	v_cmp_ne_u32_e64 s[0:1], 1, v1
	s_mov_b32 s33, 0
	s_cbranch_scc1 .LBB221_5
; %bb.1:
	s_load_dwordx2 s[34:35], s[4:5], 0x20
	s_and_b64 vcc, exec, s[0:1]
	s_waitcnt lgkmcnt(0)
	s_mov_b32 s33, s34
	s_cbranch_vccnz .LBB221_3
; %bb.2:
	s_load_dword s33, s[34:35], 0x0
.LBB221_3:
	s_and_b64 vcc, exec, s[0:1]
	s_cbranch_vccnz .LBB221_5
; %bb.4:
	s_load_dword s35, s[34:35], 0x4
.LBB221_5:
	s_bitcmp1_b32 s2, 8
	s_cselect_b64 s[64:65], -1, 0
	s_bfe_u32 s2, s2, 0x10008
	s_mov_b32 s86, 0
	s_cmp_eq_u32 s2, 0
	s_mov_b32 s34, 0
	s_cbranch_scc1 .LBB221_11
; %bb.6:
	s_and_b64 vcc, exec, s[0:1]
	s_mov_b32 s34, s48
	s_cbranch_vccnz .LBB221_8
; %bb.7:
	s_load_dword s34, s[48:49], 0x0
.LBB221_8:
	s_and_b64 vcc, exec, s[0:1]
	s_cbranch_vccnz .LBB221_10
; %bb.9:
	s_load_dword s49, s[48:49], 0x4
.LBB221_10:
	s_waitcnt lgkmcnt(0)
	s_mov_b32 s86, s49
.LBB221_11:
	s_cmp_eq_u64 s[10:11], 0
	s_mov_b64 s[48:49], 0
	s_cbranch_scc1 .LBB221_13
; %bb.12:
	s_load_dword s0, s[8:9], 0x0
	s_mov_b32 s1, 0
	s_waitcnt lgkmcnt(0)
	s_add_i32 s0, s0, s6
	s_lshl_b64 s[0:1], s[0:1], 2
	s_add_u32 s0, s10, s0
	s_addc_u32 s1, s11, s1
	s_load_dword s6, s[0:1], 0x0
.LBB221_13:
	v_cndmask_b32_e64 v1, 0, 1, s[12:13]
	v_cmp_ne_u32_e64 s[0:1], 1, v1
	s_andn2_b64 vcc, exec, s[12:13]
	s_cbranch_vccz .LBB221_16
; %bb.14:
	s_and_b64 vcc, exec, s[0:1]
	s_mov_b64 s[66:67], 0
	s_cbranch_vccz .LBB221_17
.LBB221_15:
	s_load_dwordx4 s[60:63], s[4:5], 0x0
	s_waitcnt lgkmcnt(0)
	s_cmp_lt_i32 s61, 1
	s_cbranch_scc0 .LBB221_18
	s_branch .LBB221_97
.LBB221_16:
	s_waitcnt lgkmcnt(0)
	s_ashr_i32 s7, s6, 31
	s_lshl_b64 s[2:3], s[6:7], 3
	s_add_u32 s2, s52, s2
	s_addc_u32 s3, s53, s3
	s_load_dwordx2 s[2:3], s[2:3], 0x0
	s_waitcnt lgkmcnt(0)
	s_sub_u32 s48, s2, s28
	s_subb_u32 s49, s3, 0
	s_and_b64 vcc, exec, s[0:1]
	s_mov_b64 s[66:67], 0
	s_cbranch_vccnz .LBB221_15
.LBB221_17:
	s_waitcnt lgkmcnt(0)
	s_ashr_i32 s7, s6, 31
	s_lshl_b64 s[0:1], s[6:7], 3
	s_add_u32 s0, s52, s0
	s_addc_u32 s1, s53, s1
	s_load_dwordx2 s[0:1], s[0:1], 0x8
	s_waitcnt lgkmcnt(0)
	s_sub_u32 s66, s0, s28
	s_subb_u32 s67, s1, 0
	s_load_dwordx4 s[60:63], s[4:5], 0x0
	s_waitcnt lgkmcnt(0)
	s_cmp_lt_i32 s61, 1
	s_cbranch_scc1 .LBB221_97
.LBB221_18:
	v_pk_mov_b32 v[4:5], s[66:67], s[66:67] op_sel:[0,1]
	v_bfe_u32 v3, v0, 3, 3
	v_cmp_lt_i64_e32 vcc, s[48:49], v[4:5]
	v_mov_b32_e32 v4, 0
	v_and_b32_e32 v7, 7, v0
	v_mul_lo_u32 v8, v3, s62
	v_mov_b32_e32 v9, v4
	s_ashr_i32 s7, s6, 31
	v_max_i32_e32 v5, v7, v3
	v_lshlrev_b64 v[8:9], 3, v[8:9]
	s_lshl_b64 s[10:11], s[6:7], 3
	v_cmp_gt_i32_e64 s[4:5], s62, v5
	v_cmp_le_i32_e64 s[6:7], s62, v5
	v_mov_b32_e32 v3, s57
	v_add_co_u32_e64 v5, s[8:9], s56, v8
	v_addc_co_u32_e64 v3, s[8:9], v3, v9, s[8:9]
	v_lshlrev_b32_e32 v12, 3, v7
	v_add_co_u32_e64 v34, s[8:9], v5, v12
	v_mul_lo_u32 v10, v7, s62
	v_mov_b32_e32 v11, v4
	v_addc_co_u32_e64 v35, s[8:9], 0, v3, s[8:9]
	v_lshlrev_b64 v[10:11], 3, v[10:11]
	v_mov_b32_e32 v3, s25
	v_add_co_u32_e64 v5, s[8:9], s24, v10
	v_and_b32_e32 v36, 56, v0
	v_addc_co_u32_e64 v6, s[8:9], v3, v11, s[8:9]
	v_add_co_u32_e64 v5, s[8:9], v5, v36
	v_addc_co_u32_e64 v6, s[8:9], 0, v6, s[8:9]
	v_add_co_u32_e64 v13, s[8:9], s24, v8
	v_addc_co_u32_e64 v3, s[8:9], v3, v9, s[8:9]
	s_add_u32 s0, s40, s10
	v_add_co_u32_e64 v13, s[8:9], v13, v12
	s_addc_u32 s1, s41, s11
	v_lshrrev_b32_e32 v2, 6, v0
	v_addc_co_u32_e64 v3, s[8:9], 0, v3, s[8:9]
	s_load_dwordx2 s[0:1], s[0:1], 0x0
	v_subrev_co_u32_e64 v37, s[8:9], s31, v2
	v_subb_co_u32_e64 v38, s[8:9], 0, 0, s[8:9]
	v_mov_b32_e32 v14, s39
	v_add_co_u32_e64 v15, s[8:9], s38, v10
	v_addc_co_u32_e64 v16, s[8:9], v14, v11, s[8:9]
	v_add_co_u32_e64 v15, s[8:9], v15, v36
	s_waitcnt lgkmcnt(0)
	s_sub_u32 s22, s0, s30
	v_addc_co_u32_e64 v16, s[8:9], 0, v16, s[8:9]
	s_subb_u32 s23, s1, 0
	v_add_co_u32_e64 v8, s[8:9], s38, v8
	s_cmp_eq_u32 s60, 0
	v_addc_co_u32_e64 v9, s[8:9], v14, v9, s[8:9]
	s_cselect_b64 s[20:21], -1, 0
	s_cmp_lg_u32 s60, 0
	v_add_co_u32_e64 v8, s[8:9], v8, v12
	v_and_b32_e32 v1, 63, v0
	s_cselect_b64 s[24:25], -1, 0
	s_cmp_gt_i32 s62, 0
	v_addc_co_u32_e64 v9, s[8:9], 0, v9, s[8:9]
	v_mov_b32_e32 v18, 0x2800
	v_cmp_gt_u32_e64 s[0:1], 16, v0
	v_cmp_eq_u32_e64 s[2:3], 0, v0
	v_lshlrev_b32_e32 v32, 3, v0
	s_movk_i32 s63, 0x2000
	s_cselect_b64 s[52:53], -1, 0
	s_add_u32 s50, s50, s10
	v_cmp_eq_u32_e64 s[8:9], 63, v1
	v_and_b32_e32 v1, 15, v0
	v_lshl_or_b32 v41, v0, 2, v18
	v_or_b32_e32 v45, 0xffffff00, v0
	v_lshlrev_b32_e32 v0, 9, v2
	s_addc_u32 s51, s51, s11
	v_lshlrev_b32_e32 v14, 2, v1
	v_add_co_u32_e64 v17, s[10:11], -1, v1
	s_and_b64 s[38:39], s[12:13], vcc
	v_cmp_ne_u32_e64 s[12:13], 0, v1
	v_cmp_lt_u32_e64 s[14:15], 1, v1
	v_cmp_lt_u32_e64 s[16:17], 3, v1
	;; [unrolled: 1-line block ×3, first 2 shown]
	v_cndmask_b32_e64 v1, v6, v3, s[20:21]
	v_cndmask_b32_e64 v6, v5, v13, s[20:21]
	;; [unrolled: 1-line block ×3, first 2 shown]
	v_or3_b32 v46, v0, v36, s63
	v_mov_b32_e32 v0, s47
	v_add_co_u32_e32 v8, vcc, s46, v10
	v_cndmask_b32_e64 v3, v16, v9, s[20:21]
	v_addc_co_u32_e32 v9, vcc, v11, v0, vcc
	v_add_co_u32_e32 v8, vcc, 4, v8
	v_addc_co_u32_e32 v9, vcc, 0, v9, vcc
	v_add_co_u32_e32 v10, vcc, s46, v12
	;; [unrolled: 2-line block ×3, first 2 shown]
	v_addc_co_u32_e32 v11, vcc, 0, v0, vcc
	s_add_u32 s89, s58, 8
	v_add_co_u32_e32 v12, vcc, 4, v5
	s_mov_b32 s41, 0
	s_addc_u32 s90, s59, 0
	v_addc_co_u32_e32 v13, vcc, 0, v3, vcc
	s_mul_i32 s40, s62, s62
	s_add_u32 s91, s42, -4
	s_mov_b32 s63, s41
	v_and_b32_e32 v0, 0x7c0, v32
	v_add_co_u32_e32 v48, vcc, 4, v37
	v_or_b32_e32 v33, 0x2000, v32
	s_mov_b32 s87, s29
	s_mov_b32 s88, s41
	;; [unrolled: 1-line block ×3, first 2 shown]
	v_or_b32_e32 v39, 0x2800, v14
	v_lshl_add_u32 v40, v17, 2, v18
	v_add_u32_e32 v42, 0x27f8, v14
	v_add_u32_e32 v43, 0x27f0, v14
	;; [unrolled: 1-line block ×3, first 2 shown]
	s_addc_u32 s92, s43, -1
	s_lshl_b64 s[42:43], s[40:41], 3
	s_lshl_b64 s[46:47], s[62:63], 3
	v_or_b32_e32 v47, 0x2000, v0
	s_lshl_b64 s[56:57], s[40:41], 5
	v_addc_co_u32_e32 v49, vcc, 0, v38, vcc
	v_lshl_or_b32 v50, v2, 2, v18
	v_mov_b32_e32 v0, 16
	v_pk_mov_b32 v[14:15], s[22:23], s[22:23] op_sel:[0,1]
	s_movk_i32 s63, 0x2ff
	v_mov_b32_e32 v51, 1
	v_mov_b32_e32 v5, v4
	s_branch .LBB221_20
.LBB221_19:                             ;   in Loop: Header=BB221_20 Depth=1
	s_or_b64 exec, exec, s[20:21]
	s_barrier
	ds_read_b32 v3, v4 offset:10304
	v_ashrrev_i32_e32 v0, 31, v16
	v_add_co_u32_e32 v14, vcc, v14, v16
	v_addc_co_u32_e32 v15, vcc, v15, v0, vcc
	s_waitcnt lgkmcnt(0)
	v_cmp_le_i32_e32 vcc, s61, v3
	v_readfirstlane_b32 s41, v3
	v_add_u32_e32 v0, 16, v3
	s_barrier
	s_cbranch_vccnz .LBB221_97
.LBB221_20:                             ; =>This Loop Header: Depth=1
                                        ;     Child Loop BB221_23 Depth 2
                                        ;     Child Loop BB221_29 Depth 2
                                        ;       Child Loop BB221_43 Depth 3
                                        ;         Child Loop BB221_52 Depth 4
                                        ;         Child Loop BB221_57 Depth 4
                                        ;     Child Loop BB221_68 Depth 2
                                        ;     Child Loop BB221_77 Depth 2
	;; [unrolled: 1-line block ×3, first 2 shown]
	s_and_saveexec_b64 s[20:21], s[0:1]
	s_cbranch_execz .LBB221_22
; %bb.21:                               ;   in Loop: Header=BB221_20 Depth=1
	ds_write_b32 v41, v4
.LBB221_22:                             ;   in Loop: Header=BB221_20 Depth=1
	s_or_b64 exec, exec, s[20:21]
	s_mov_b64 s[20:21], 0
	v_mov_b32_e32 v3, v32
	v_mov_b32_e32 v16, v45
.LBB221_23:                             ;   Parent Loop BB221_20 Depth=1
                                        ; =>  This Inner Loop Header: Depth=2
	v_add_u32_e32 v16, 0x100, v16
	v_cmp_lt_u32_e32 vcc, s63, v16
	ds_write_b64 v3, v[4:5]
	s_or_b64 s[20:21], vcc, s[20:21]
	v_add_u32_e32 v3, 0x800, v3
	s_andn2_b64 exec, exec, s[20:21]
	s_cbranch_execnz .LBB221_23
; %bb.24:                               ;   in Loop: Header=BB221_20 Depth=1
	s_or_b64 exec, exec, s[20:21]
	s_and_saveexec_b64 s[20:21], s[2:3]
	s_cbranch_execz .LBB221_26
; %bb.25:                               ;   in Loop: Header=BB221_20 Depth=1
	v_mov_b32_e32 v3, s61
	ds_write_b32 v4, v3 offset:10304
.LBB221_26:                             ;   in Loop: Header=BB221_20 Depth=1
	s_or_b64 exec, exec, s[20:21]
	s_andn2_b64 vcc, exec, s[38:39]
	v_mov_b32_e32 v3, s61
	s_waitcnt lgkmcnt(0)
	s_barrier
	s_cbranch_vccnz .LBB221_63
; %bb.27:                               ;   in Loop: Header=BB221_20 Depth=1
	s_cmp_lg_u32 s41, 0
	s_cselect_b64 s[68:69], -1, 0
	v_mov_b32_e32 v3, s61
	s_mov_b64 s[70:71], s[48:49]
	s_branch .LBB221_29
.LBB221_28:                             ;   in Loop: Header=BB221_29 Depth=2
	s_or_b64 exec, exec, s[22:23]
	s_add_u32 s70, s70, 4
	s_addc_u32 s71, s71, 0
	v_pk_mov_b32 v[16:17], s[66:67], s[66:67] op_sel:[0,1]
	v_cmp_lt_i64_e32 vcc, s[70:71], v[16:17]
	s_cbranch_vccz .LBB221_63
.LBB221_29:                             ;   Parent Loop BB221_20 Depth=1
                                        ; =>  This Loop Header: Depth=2
                                        ;       Child Loop BB221_43 Depth 3
                                        ;         Child Loop BB221_52 Depth 4
                                        ;         Child Loop BB221_57 Depth 4
	v_mov_b32_e32 v17, s71
	v_add_co_u32_e32 v16, vcc, s70, v2
	v_addc_co_u32_e32 v17, vcc, 0, v17, vcc
	v_cmp_gt_i64_e64 s[20:21], s[66:67], v[16:17]
	s_barrier
	s_and_saveexec_b64 s[22:23], s[20:21]
	s_cbranch_execz .LBB221_34
; %bb.30:                               ;   in Loop: Header=BB221_29 Depth=2
	s_and_saveexec_b64 s[72:73], s[6:7]
	s_xor_b64 s[72:73], exec, s[72:73]
	s_cbranch_execz .LBB221_32
; %bb.31:                               ;   in Loop: Header=BB221_29 Depth=2
	ds_write_b64 v33, v[4:5]
.LBB221_32:                             ;   in Loop: Header=BB221_29 Depth=2
	s_andn2_saveexec_b64 s[72:73], s[72:73]
	s_cbranch_execz .LBB221_34
; %bb.33:                               ;   in Loop: Header=BB221_29 Depth=2
	v_mad_u64_u32 v[18:19], s[72:73], v16, s40, 0
	v_mov_b32_e32 v20, v19
	v_mad_u64_u32 v[20:21], s[72:73], v17, s40, v[20:21]
	v_mov_b32_e32 v19, v20
	v_lshlrev_b64 v[18:19], 3, v[18:19]
	v_add_co_u32_e32 v18, vcc, v34, v18
	v_addc_co_u32_e32 v19, vcc, v35, v19, vcc
	global_load_dwordx2 v[18:19], v[18:19], off
	s_waitcnt vmcnt(0)
	ds_write_b64 v33, v[18:19]
.LBB221_34:                             ;   in Loop: Header=BB221_29 Depth=2
	s_or_b64 exec, exec, s[22:23]
	v_pk_mov_b32 v[18:19], 0, 0
	s_waitcnt lgkmcnt(0)
	s_barrier
	s_and_saveexec_b64 s[72:73], s[20:21]
	s_cbranch_execz .LBB221_60
; %bb.35:                               ;   in Loop: Header=BB221_29 Depth=2
	v_lshlrev_b64 v[18:19], 2, v[16:17]
	v_mov_b32_e32 v20, s55
	v_add_co_u32_e32 v18, vcc, s54, v18
	v_addc_co_u32_e32 v19, vcc, v20, v19, vcc
	global_load_dword v18, v[18:19], off
	s_and_b64 vcc, exec, s[68:69]
	s_waitcnt vmcnt(0)
	v_subrev_u32_e32 v20, s28, v18
	v_ashrrev_i32_e32 v21, 31, v20
	s_cbranch_vccz .LBB221_62
; %bb.36:                               ;   in Loop: Header=BB221_29 Depth=2
	v_lshlrev_b64 v[18:19], 3, v[16:17]
	v_mov_b32_e32 v22, s27
	v_add_co_u32_e32 v18, vcc, s26, v18
	v_addc_co_u32_e32 v19, vcc, v22, v19, vcc
	global_load_dwordx2 v[18:19], v[18:19], off
	s_cbranch_execnz .LBB221_38
.LBB221_37:                             ;   in Loop: Header=BB221_29 Depth=2
	s_waitcnt vmcnt(0)
	v_lshlrev_b64 v[18:19], 3, v[20:21]
	v_mov_b32_e32 v22, s59
	v_add_co_u32_e32 v18, vcc, s58, v18
	v_addc_co_u32_e32 v19, vcc, v22, v19, vcc
	global_load_dwordx2 v[18:19], v[18:19], off
	v_mov_b32_e32 v22, s88
	s_waitcnt vmcnt(0)
	v_subrev_co_u32_e32 v18, vcc, s87, v18
	v_subb_co_u32_e32 v19, vcc, v19, v22, vcc
.LBB221_38:                             ;   in Loop: Header=BB221_29 Depth=2
	v_lshlrev_b64 v[20:21], 3, v[20:21]
	v_mov_b32_e32 v22, s90
	v_add_co_u32_e32 v20, vcc, s89, v20
	v_addc_co_u32_e32 v21, vcc, v22, v21, vcc
	global_load_dwordx2 v[20:21], v[20:21], off
	v_mov_b32_e32 v22, s88
	s_waitcnt vmcnt(0)
	v_subrev_co_u32_e32 v20, vcc, s87, v20
	v_subb_co_u32_e32 v21, vcc, v21, v22, vcc
	v_cmp_lt_i64_e32 vcc, v[18:19], v[20:21]
	s_and_saveexec_b64 s[74:75], vcc
	s_cbranch_execz .LBB221_59
; %bb.39:                               ;   in Loop: Header=BB221_29 Depth=2
	v_mad_u64_u32 v[22:23], s[22:23], s42, v18, v[8:9]
	v_mul_lo_u32 v26, s42, v19
	v_mul_lo_u32 v27, s43, v18
	v_mad_u64_u32 v[24:25], s[22:23], s42, v18, v[10:11]
	v_add3_u32 v23, v27, v23, v26
	v_add3_u32 v25, v27, v25, v26
	s_mov_b64 s[76:77], 0
	v_pk_mov_b32 v[26:27], v[18:19], v[18:19] op_sel:[0,1]
	s_branch .LBB221_43
.LBB221_40:                             ;   in Loop: Header=BB221_43 Depth=3
	v_lshlrev_b32_e32 v30, 6, v52
	v_or3_b32 v30, v30, v36, v7
	v_mul_f32_e64 v31, v29, -s35
	v_lshlrev_b32_e32 v30, 3, v30
	v_fmac_f32_e32 v31, s33, v28
	v_mul_f32_e32 v29, s33, v29
	v_fmac_f32_e32 v29, s35, v28
	ds_add_f32 v30, v31
	ds_add_f32 v30, v29 offset:4
.LBB221_41:                             ;   in Loop: Header=BB221_43 Depth=3
	s_or_b64 exec, exec, s[82:83]
	s_or_b64 s[78:79], s[78:79], exec
.LBB221_42:                             ;   in Loop: Header=BB221_43 Depth=3
	s_or_b64 exec, exec, s[80:81]
	v_add_co_u32_e32 v26, vcc, 1, v26
	v_addc_co_u32_e32 v27, vcc, 0, v27, vcc
	v_cmp_ge_i64_e32 vcc, v[26:27], v[20:21]
	s_xor_b64 s[22:23], s[78:79], -1
	s_or_b64 s[22:23], s[22:23], vcc
	v_mov_b32_e32 v28, s43
	v_add_co_u32_e32 v22, vcc, s42, v22
	v_addc_co_u32_e32 v23, vcc, v23, v28, vcc
	s_and_b64 s[22:23], exec, s[22:23]
	v_add_co_u32_e32 v24, vcc, s42, v24
	s_or_b64 s[76:77], s[22:23], s[76:77]
	v_addc_co_u32_e32 v25, vcc, v25, v28, vcc
	s_andn2_b64 exec, exec, s[76:77]
	s_cbranch_execz .LBB221_58
.LBB221_43:                             ;   Parent Loop BB221_20 Depth=1
                                        ;     Parent Loop BB221_29 Depth=2
                                        ; =>    This Loop Header: Depth=3
                                        ;         Child Loop BB221_52 Depth 4
                                        ;         Child Loop BB221_57 Depth 4
	v_lshlrev_b64 v[28:29], 2, v[26:27]
	v_mov_b32_e32 v30, s45
	v_add_co_u32_e32 v28, vcc, s44, v28
	v_addc_co_u32_e32 v29, vcc, v30, v29, vcc
	global_load_dword v28, v[28:29], off
                                        ; implicit-def: $sgpr78_sgpr79
	s_waitcnt vmcnt(0)
	v_subrev_u32_e32 v28, s29, v28
	v_cmp_gt_i32_e64 s[22:23], s41, v28
	v_cmp_ge_i32_e32 vcc, v28, v0
	s_or_b64 s[22:23], s[22:23], vcc
	s_and_saveexec_b64 s[80:81], s[22:23]
	s_xor_b64 s[22:23], exec, s[80:81]
	s_cbranch_execz .LBB221_47
; %bb.44:                               ;   in Loop: Header=BB221_43 Depth=3
	s_mov_b64 s[78:79], -1
	s_and_saveexec_b64 s[80:81], vcc
; %bb.45:                               ;   in Loop: Header=BB221_43 Depth=3
	v_min_i32_e32 v3, v28, v3
	s_xor_b64 s[78:79], exec, -1
	v_pk_mov_b32 v[18:19], v[26:27], v[26:27] op_sel:[0,1]
; %bb.46:                               ;   in Loop: Header=BB221_43 Depth=3
	s_or_b64 exec, exec, s[80:81]
	s_and_b64 s[78:79], s[78:79], exec
                                        ; implicit-def: $vgpr28
.LBB221_47:                             ;   in Loop: Header=BB221_43 Depth=3
	s_andn2_saveexec_b64 s[80:81], s[22:23]
	s_cbranch_execz .LBB221_42
; %bb.48:                               ;   in Loop: Header=BB221_43 Depth=3
	v_subrev_u32_e32 v52, s41, v28
	v_lshlrev_b32_e32 v28, 2, v52
	ds_write_b32 v28, v51 offset:10240
	s_and_saveexec_b64 s[82:83], s[4:5]
	s_cbranch_execz .LBB221_41
; %bb.49:                               ;   in Loop: Header=BB221_43 Depth=3
	v_cndmask_b32_e64 v28, 0, 1, s[52:53]
	s_andn2_b64 vcc, exec, s[24:25]
	v_cmp_ne_u32_e64 s[22:23], 1, v28
	s_cbranch_vccnz .LBB221_54
; %bb.50:                               ;   in Loop: Header=BB221_43 Depth=3
	v_mov_b32_e32 v29, 0
	s_and_b64 vcc, exec, s[22:23]
	v_mov_b32_e32 v28, v29
	s_cbranch_vccnz .LBB221_53
; %bb.51:                               ;   in Loop: Header=BB221_43 Depth=3
	v_mov_b32_e32 v28, 0
	v_pk_mov_b32 v[30:31], v[22:23], v[22:23] op_sel:[0,1]
	s_mov_b32 s84, s62
	v_mov_b32_e32 v53, v46
	v_mov_b32_e32 v29, v28
.LBB221_52:                             ;   Parent Loop BB221_20 Depth=1
                                        ;     Parent Loop BB221_29 Depth=2
                                        ;       Parent Loop BB221_43 Depth=3
                                        ; =>      This Inner Loop Header: Depth=4
	global_load_dwordx2 v[54:55], v[30:31], off offset:-4
	ds_read_b64 v[56:57], v53
	s_add_i32 s84, s84, -1
	v_add_co_u32_e32 v30, vcc, 8, v30
	v_add_u32_e32 v53, 64, v53
	v_addc_co_u32_e32 v31, vcc, 0, v31, vcc
	s_cmp_lg_u32 s84, 0
	s_waitcnt vmcnt(0) lgkmcnt(0)
	v_pk_fma_f32 v[28:29], v[56:57], v[54:55], v[28:29] op_sel_hi:[1,0,1]
	v_pk_fma_f32 v[28:29], v[56:57], v[54:55], v[28:29] op_sel:[1,1,0] op_sel_hi:[0,1,1] neg_lo:[1,0,0]
	s_cbranch_scc1 .LBB221_52
.LBB221_53:                             ;   in Loop: Header=BB221_43 Depth=3
	s_cbranch_execnz .LBB221_40
	s_branch .LBB221_55
.LBB221_54:                             ;   in Loop: Header=BB221_43 Depth=3
                                        ; implicit-def: $vgpr29
.LBB221_55:                             ;   in Loop: Header=BB221_43 Depth=3
	v_mov_b32_e32 v29, 0
	s_and_b64 vcc, exec, s[22:23]
	v_mov_b32_e32 v28, v29
	s_cbranch_vccnz .LBB221_40
; %bb.56:                               ;   in Loop: Header=BB221_43 Depth=3
	v_mov_b32_e32 v28, 0
	v_mov_b32_e32 v53, v47
	v_pk_mov_b32 v[30:31], v[24:25], v[24:25] op_sel:[0,1]
	s_mov_b32 s22, s62
	v_mov_b32_e32 v29, v28
.LBB221_57:                             ;   Parent Loop BB221_20 Depth=1
                                        ;     Parent Loop BB221_29 Depth=2
                                        ;       Parent Loop BB221_43 Depth=3
                                        ; =>      This Inner Loop Header: Depth=4
	global_load_dwordx2 v[54:55], v[30:31], off offset:-4
	ds_read_b64 v[56:57], v53
	s_add_i32 s22, s22, -1
	v_mov_b32_e32 v58, s47
	v_add_co_u32_e32 v30, vcc, s46, v30
	v_add_u32_e32 v53, 8, v53
	v_addc_co_u32_e32 v31, vcc, v31, v58, vcc
	s_cmp_eq_u32 s22, 0
	s_waitcnt vmcnt(0) lgkmcnt(0)
	v_pk_fma_f32 v[28:29], v[56:57], v[54:55], v[28:29] op_sel_hi:[1,0,1]
	v_pk_fma_f32 v[28:29], v[56:57], v[54:55], v[28:29] op_sel:[1,1,0] op_sel_hi:[0,1,1] neg_lo:[1,0,0]
	s_cbranch_scc0 .LBB221_57
	s_branch .LBB221_40
.LBB221_58:                             ;   in Loop: Header=BB221_29 Depth=2
	s_or_b64 exec, exec, s[76:77]
.LBB221_59:                             ;   in Loop: Header=BB221_29 Depth=2
	s_or_b64 exec, exec, s[74:75]
.LBB221_60:                             ;   in Loop: Header=BB221_29 Depth=2
	s_or_b64 exec, exec, s[72:73]
	s_waitcnt lgkmcnt(0)
	s_barrier
	s_and_saveexec_b64 s[22:23], s[20:21]
	s_cbranch_execz .LBB221_28
; %bb.61:                               ;   in Loop: Header=BB221_29 Depth=2
	v_lshlrev_b64 v[16:17], 3, v[16:17]
	v_mov_b32_e32 v20, s27
	v_add_co_u32_e32 v16, vcc, s26, v16
	v_addc_co_u32_e32 v17, vcc, v20, v17, vcc
	global_store_dwordx2 v[16:17], v[18:19], off
	s_branch .LBB221_28
.LBB221_62:                             ;   in Loop: Header=BB221_29 Depth=2
                                        ; implicit-def: $vgpr18_vgpr19
	s_branch .LBB221_37
.LBB221_63:                             ;   in Loop: Header=BB221_20 Depth=1
	s_andn2_b64 vcc, exec, s[64:65]
	s_cbranch_vccnz .LBB221_75
; %bb.64:                               ;   in Loop: Header=BB221_20 Depth=1
	s_load_dwordx4 s[20:23], s[50:51], 0x0
	s_waitcnt lgkmcnt(0)
	s_sub_u32 s68, s22, s60
	v_mov_b32_e32 v16, s21
	v_add_co_u32_e32 v20, vcc, s20, v37
	s_subb_u32 s69, s23, 0
	v_addc_co_u32_e32 v21, vcc, v16, v38, vcc
	v_cmp_gt_i64_e32 vcc, s[68:69], v[20:21]
	s_and_saveexec_b64 s[70:71], vcc
	s_cbranch_execz .LBB221_74
; %bb.65:                               ;   in Loop: Header=BB221_20 Depth=1
	v_lshlrev_b64 v[16:17], 2, v[20:21]
	v_mov_b32_e32 v18, s37
	v_add_co_u32_e32 v16, vcc, s36, v16
	v_addc_co_u32_e32 v17, vcc, v18, v17, vcc
	v_mad_u64_u32 v[18:19], s[22:23], s42, v20, v[12:13]
	v_mul_lo_u32 v21, s42, v21
	v_mul_lo_u32 v20, s43, v20
	v_add3_u32 v19, v20, v19, v21
	v_mov_b32_e32 v21, s21
	v_add_co_u32_e32 v20, vcc, s20, v48
	v_addc_co_u32_e32 v21, vcc, v49, v21, vcc
	s_mov_b64 s[72:73], 0
	s_branch .LBB221_68
.LBB221_66:                             ;   in Loop: Header=BB221_68 Depth=2
	s_or_b64 exec, exec, s[74:75]
	s_or_b64 s[20:21], s[20:21], exec
.LBB221_67:                             ;   in Loop: Header=BB221_68 Depth=2
	s_or_b64 exec, exec, s[22:23]
	v_cmp_le_i64_e32 vcc, s[68:69], v[20:21]
	s_xor_b64 s[20:21], s[20:21], -1
	s_or_b64 s[20:21], s[20:21], vcc
	v_add_co_u32_e32 v16, vcc, 16, v16
	v_addc_co_u32_e32 v17, vcc, 0, v17, vcc
	v_mov_b32_e32 v22, s57
	v_add_co_u32_e32 v18, vcc, s56, v18
	v_addc_co_u32_e32 v19, vcc, v19, v22, vcc
	s_and_b64 s[20:21], exec, s[20:21]
	v_add_co_u32_e32 v20, vcc, 4, v20
	s_or_b64 s[72:73], s[20:21], s[72:73]
	v_addc_co_u32_e32 v21, vcc, 0, v21, vcc
	s_andn2_b64 exec, exec, s[72:73]
	s_cbranch_execz .LBB221_73
.LBB221_68:                             ;   Parent Loop BB221_20 Depth=1
                                        ; =>  This Inner Loop Header: Depth=2
	global_load_dword v22, v[16:17], off
	s_waitcnt vmcnt(0)
	v_subrev_u32_e32 v22, s31, v22
	v_cmp_gt_i32_e64 s[20:21], s41, v22
	v_cmp_ge_i32_e64 s[22:23], v22, v0
	v_cmp_lt_i32_e32 vcc, v22, v0
	s_or_b64 s[22:23], s[20:21], s[22:23]
                                        ; implicit-def: $sgpr20_sgpr21
	s_and_saveexec_b64 s[74:75], s[22:23]
	s_xor_b64 s[22:23], exec, s[74:75]
; %bb.69:                               ;   in Loop: Header=BB221_68 Depth=2
	v_min_i32_e32 v22, v22, v3
	v_cndmask_b32_e32 v3, v22, v3, vcc
	s_and_b64 s[20:21], vcc, exec
                                        ; implicit-def: $vgpr22
; %bb.70:                               ;   in Loop: Header=BB221_68 Depth=2
	s_andn2_saveexec_b64 s[22:23], s[22:23]
	s_cbranch_execz .LBB221_67
; %bb.71:                               ;   in Loop: Header=BB221_68 Depth=2
	v_subrev_u32_e32 v22, s41, v22
	v_lshlrev_b32_e32 v23, 2, v22
	ds_write_b32 v23, v51 offset:10240
	s_and_saveexec_b64 s[74:75], s[4:5]
	s_cbranch_execz .LBB221_66
; %bb.72:                               ;   in Loop: Header=BB221_68 Depth=2
	global_load_dwordx2 v[24:25], v[18:19], off offset:-4
	v_lshlrev_b32_e32 v22, 6, v22
	v_or3_b32 v22, v22, v36, v7
	v_lshlrev_b32_e32 v22, 3, v22
	s_waitcnt vmcnt(0)
	v_mul_f32_e64 v23, v25, -s86
	v_mul_f32_e32 v25, s34, v25
	v_fmac_f32_e32 v23, s34, v24
	v_fmac_f32_e32 v25, s86, v24
	ds_add_f32 v22, v23
	ds_add_f32 v22, v25 offset:4
	s_branch .LBB221_66
.LBB221_73:                             ;   in Loop: Header=BB221_20 Depth=1
	s_or_b64 exec, exec, s[72:73]
.LBB221_74:                             ;   in Loop: Header=BB221_20 Depth=1
	s_or_b64 exec, exec, s[70:71]
.LBB221_75:                             ;   in Loop: Header=BB221_20 Depth=1
	s_and_saveexec_b64 s[20:21], s[8:9]
	s_cbranch_execz .LBB221_80
; %bb.76:                               ;   in Loop: Header=BB221_20 Depth=1
	s_mov_b64 s[22:23], exec
	s_brev_b32 s68, -2
.LBB221_77:                             ;   Parent Loop BB221_20 Depth=1
                                        ; =>  This Inner Loop Header: Depth=2
	s_ff1_i32_b64 s69, s[22:23]
	v_readlane_b32 s72, v3, s69
	s_lshl_b64 s[70:71], 1, s69
	s_min_i32 s68, s68, s72
	s_andn2_b64 s[22:23], s[22:23], s[70:71]
	s_cmp_lg_u64 s[22:23], 0
	s_cbranch_scc1 .LBB221_77
; %bb.78:                               ;   in Loop: Header=BB221_20 Depth=1
	v_mbcnt_lo_u32_b32 v0, exec_lo, 0
	v_mbcnt_hi_u32_b32 v0, exec_hi, v0
	v_cmp_eq_u32_e32 vcc, 0, v0
	s_and_saveexec_b64 s[22:23], vcc
	s_xor_b64 s[22:23], exec, s[22:23]
	s_cbranch_execz .LBB221_80
; %bb.79:                               ;   in Loop: Header=BB221_20 Depth=1
	v_mov_b32_e32 v0, s68
	ds_min_i32 v4, v0 offset:10304
.LBB221_80:                             ;   in Loop: Header=BB221_20 Depth=1
	s_or_b64 exec, exec, s[20:21]
	s_waitcnt lgkmcnt(0)
	s_barrier
	ds_read_b32 v0, v39
	s_waitcnt lgkmcnt(0)
	s_barrier
	s_and_saveexec_b64 s[20:21], s[12:13]
	s_cbranch_execz .LBB221_82
; %bb.81:                               ;   in Loop: Header=BB221_20 Depth=1
	ds_read_b32 v3, v40
	s_waitcnt lgkmcnt(0)
	v_add_u32_e32 v0, v3, v0
.LBB221_82:                             ;   in Loop: Header=BB221_20 Depth=1
	s_or_b64 exec, exec, s[20:21]
	s_barrier
	ds_write_b32 v39, v0
	s_waitcnt lgkmcnt(0)
	s_barrier
	s_and_saveexec_b64 s[20:21], s[14:15]
	s_cbranch_execz .LBB221_84
; %bb.83:                               ;   in Loop: Header=BB221_20 Depth=1
	ds_read_b32 v3, v42
	s_waitcnt lgkmcnt(0)
	v_add_u32_e32 v0, v3, v0
.LBB221_84:                             ;   in Loop: Header=BB221_20 Depth=1
	s_or_b64 exec, exec, s[20:21]
	s_barrier
	ds_write_b32 v39, v0
	;; [unrolled: 12-line block ×4, first 2 shown]
	s_waitcnt lgkmcnt(0)
	s_barrier
	ds_read_b32 v16, v4 offset:10300
	v_mov_b32_e32 v3, 0
	s_and_saveexec_b64 s[20:21], s[10:11]
	s_cbranch_execz .LBB221_90
; %bb.89:                               ;   in Loop: Header=BB221_20 Depth=1
	ds_read_b32 v3, v40
.LBB221_90:                             ;   in Loop: Header=BB221_20 Depth=1
	s_or_b64 exec, exec, s[20:21]
	s_waitcnt lgkmcnt(0)
	v_cmp_eq_u32_e32 vcc, v0, v3
	s_and_b64 s[22:23], s[10:11], vcc
	s_barrier
	s_and_saveexec_b64 s[20:21], s[22:23]
	s_cbranch_execz .LBB221_92
; %bb.91:                               ;   in Loop: Header=BB221_20 Depth=1
	ds_write_b32 v39, v4
.LBB221_92:                             ;   in Loop: Header=BB221_20 Depth=1
	s_or_b64 exec, exec, s[20:21]
	v_add_co_u32_e32 v17, vcc, -1, v14
	v_addc_co_u32_e32 v18, vcc, -1, v15, vcc
	s_add_i32 s41, s30, s41
	s_mov_b64 s[20:21], 0
	v_mov_b32_e32 v19, v50
	v_mov_b32_e32 v20, v32
	;; [unrolled: 1-line block ×3, first 2 shown]
	s_waitcnt lgkmcnt(0)
	s_barrier
	s_branch .LBB221_94
.LBB221_93:                             ;   in Loop: Header=BB221_94 Depth=2
	s_or_b64 exec, exec, s[22:23]
	v_add_u32_e32 v0, 4, v21
	v_cmp_lt_u32_e32 vcc, 11, v21
	v_add_u32_e32 v20, 0x800, v20
	v_add_u32_e32 v19, 16, v19
	s_or_b64 s[20:21], vcc, s[20:21]
	v_mov_b32_e32 v21, v0
	s_andn2_b64 exec, exec, s[20:21]
	s_cbranch_execz .LBB221_19
.LBB221_94:                             ;   Parent Loop BB221_20 Depth=1
                                        ; =>  This Inner Loop Header: Depth=2
	ds_read_b32 v0, v19
	s_waitcnt lgkmcnt(0)
	v_cmp_ne_u32_e32 vcc, 0, v0
	s_and_saveexec_b64 s[22:23], vcc
	s_cbranch_execz .LBB221_93
; %bb.95:                               ;   in Loop: Header=BB221_94 Depth=2
	v_ashrrev_i32_e32 v3, 31, v0
	v_add_co_u32_e32 v22, vcc, v14, v0
	v_addc_co_u32_e32 v23, vcc, v15, v3, vcc
	v_lshlrev_b64 v[22:23], 2, v[22:23]
	v_mov_b32_e32 v25, s92
	v_add_co_u32_e32 v22, vcc, s91, v22
	v_add_u32_e32 v24, s41, v21
	v_addc_co_u32_e32 v23, vcc, v25, v23, vcc
	global_store_dword v[22:23], v24, off
	s_and_b64 exec, exec, s[4:5]
	s_cbranch_execz .LBB221_93
; %bb.96:                               ;   in Loop: Header=BB221_94 Depth=2
	v_add_co_u32_e32 v0, vcc, v17, v0
	v_mad_u64_u32 v[22:23], s[68:69], v0, s40, 0
	v_addc_co_u32_e32 v3, vcc, v18, v3, vcc
	v_mov_b32_e32 v0, v23
	v_mad_u64_u32 v[24:25], s[68:69], v3, s40, v[0:1]
	v_mov_b32_e32 v23, v24
	ds_read_b64 v[24:25], v20
	v_lshlrev_b64 v[22:23], 3, v[22:23]
	v_add_co_u32_e32 v22, vcc, v6, v22
	v_addc_co_u32_e32 v23, vcc, v1, v23, vcc
	s_waitcnt lgkmcnt(0)
	global_store_dwordx2 v[22:23], v[24:25], off
	s_branch .LBB221_93
.LBB221_97:
	s_endpgm
	.section	.rodata,"a",@progbits
	.p2align	6, 0x0
	.amdhsa_kernel _ZN9rocsparseL38bsrgemm_block_per_row_atomic_multipassILj256ELj16ELj8Eli21rocsparse_complex_numIfEEEv20rocsparse_direction_T3_S4_PKS4_S6_NS_24const_host_device_scalarIT4_EEPKT2_S6_PKS8_SC_S6_SE_S9_SC_S6_SE_SC_PS4_PS8_PSA_21rocsparse_index_base_SI_SI_SI_bbb
		.amdhsa_group_segment_fixed_size 10308
		.amdhsa_private_segment_fixed_size 0
		.amdhsa_kernarg_size 172
		.amdhsa_user_sgpr_count 6
		.amdhsa_user_sgpr_private_segment_buffer 1
		.amdhsa_user_sgpr_dispatch_ptr 0
		.amdhsa_user_sgpr_queue_ptr 0
		.amdhsa_user_sgpr_kernarg_segment_ptr 1
		.amdhsa_user_sgpr_dispatch_id 0
		.amdhsa_user_sgpr_flat_scratch_init 0
		.amdhsa_user_sgpr_kernarg_preload_length 0
		.amdhsa_user_sgpr_kernarg_preload_offset 0
		.amdhsa_user_sgpr_private_segment_size 0
		.amdhsa_uses_dynamic_stack 0
		.amdhsa_system_sgpr_private_segment_wavefront_offset 0
		.amdhsa_system_sgpr_workgroup_id_x 1
		.amdhsa_system_sgpr_workgroup_id_y 0
		.amdhsa_system_sgpr_workgroup_id_z 0
		.amdhsa_system_sgpr_workgroup_info 0
		.amdhsa_system_vgpr_workitem_id 0
		.amdhsa_next_free_vgpr 59
		.amdhsa_next_free_sgpr 93
		.amdhsa_accum_offset 60
		.amdhsa_reserve_vcc 1
		.amdhsa_reserve_flat_scratch 0
		.amdhsa_float_round_mode_32 0
		.amdhsa_float_round_mode_16_64 0
		.amdhsa_float_denorm_mode_32 3
		.amdhsa_float_denorm_mode_16_64 3
		.amdhsa_dx10_clamp 1
		.amdhsa_ieee_mode 1
		.amdhsa_fp16_overflow 0
		.amdhsa_tg_split 0
		.amdhsa_exception_fp_ieee_invalid_op 0
		.amdhsa_exception_fp_denorm_src 0
		.amdhsa_exception_fp_ieee_div_zero 0
		.amdhsa_exception_fp_ieee_overflow 0
		.amdhsa_exception_fp_ieee_underflow 0
		.amdhsa_exception_fp_ieee_inexact 0
		.amdhsa_exception_int_div_zero 0
	.end_amdhsa_kernel
	.section	.text._ZN9rocsparseL38bsrgemm_block_per_row_atomic_multipassILj256ELj16ELj8Eli21rocsparse_complex_numIfEEEv20rocsparse_direction_T3_S4_PKS4_S6_NS_24const_host_device_scalarIT4_EEPKT2_S6_PKS8_SC_S6_SE_S9_SC_S6_SE_SC_PS4_PS8_PSA_21rocsparse_index_base_SI_SI_SI_bbb,"axG",@progbits,_ZN9rocsparseL38bsrgemm_block_per_row_atomic_multipassILj256ELj16ELj8Eli21rocsparse_complex_numIfEEEv20rocsparse_direction_T3_S4_PKS4_S6_NS_24const_host_device_scalarIT4_EEPKT2_S6_PKS8_SC_S6_SE_S9_SC_S6_SE_SC_PS4_PS8_PSA_21rocsparse_index_base_SI_SI_SI_bbb,comdat
.Lfunc_end221:
	.size	_ZN9rocsparseL38bsrgemm_block_per_row_atomic_multipassILj256ELj16ELj8Eli21rocsparse_complex_numIfEEEv20rocsparse_direction_T3_S4_PKS4_S6_NS_24const_host_device_scalarIT4_EEPKT2_S6_PKS8_SC_S6_SE_S9_SC_S6_SE_SC_PS4_PS8_PSA_21rocsparse_index_base_SI_SI_SI_bbb, .Lfunc_end221-_ZN9rocsparseL38bsrgemm_block_per_row_atomic_multipassILj256ELj16ELj8Eli21rocsparse_complex_numIfEEEv20rocsparse_direction_T3_S4_PKS4_S6_NS_24const_host_device_scalarIT4_EEPKT2_S6_PKS8_SC_S6_SE_S9_SC_S6_SE_SC_PS4_PS8_PSA_21rocsparse_index_base_SI_SI_SI_bbb
                                        ; -- End function
	.section	.AMDGPU.csdata,"",@progbits
; Kernel info:
; codeLenInByte = 3308
; NumSgprs: 97
; NumVgprs: 59
; NumAgprs: 0
; TotalNumVgprs: 59
; ScratchSize: 0
; MemoryBound: 0
; FloatMode: 240
; IeeeMode: 1
; LDSByteSize: 10308 bytes/workgroup (compile time only)
; SGPRBlocks: 12
; VGPRBlocks: 7
; NumSGPRsForWavesPerEU: 97
; NumVGPRsForWavesPerEU: 59
; AccumOffset: 60
; Occupancy: 6
; WaveLimiterHint : 1
; COMPUTE_PGM_RSRC2:SCRATCH_EN: 0
; COMPUTE_PGM_RSRC2:USER_SGPR: 6
; COMPUTE_PGM_RSRC2:TRAP_HANDLER: 0
; COMPUTE_PGM_RSRC2:TGID_X_EN: 1
; COMPUTE_PGM_RSRC2:TGID_Y_EN: 0
; COMPUTE_PGM_RSRC2:TGID_Z_EN: 0
; COMPUTE_PGM_RSRC2:TIDIG_COMP_CNT: 0
; COMPUTE_PGM_RSRC3_GFX90A:ACCUM_OFFSET: 14
; COMPUTE_PGM_RSRC3_GFX90A:TG_SPLIT: 0
	.section	.text._ZN9rocsparseL38bsrgemm_block_per_row_atomic_multipassILj256ELj32ELj8Eli21rocsparse_complex_numIfEEEv20rocsparse_direction_T3_S4_PKS4_S6_NS_24const_host_device_scalarIT4_EEPKT2_S6_PKS8_SC_S6_SE_S9_SC_S6_SE_SC_PS4_PS8_PSA_21rocsparse_index_base_SI_SI_SI_bbb,"axG",@progbits,_ZN9rocsparseL38bsrgemm_block_per_row_atomic_multipassILj256ELj32ELj8Eli21rocsparse_complex_numIfEEEv20rocsparse_direction_T3_S4_PKS4_S6_NS_24const_host_device_scalarIT4_EEPKT2_S6_PKS8_SC_S6_SE_S9_SC_S6_SE_SC_PS4_PS8_PSA_21rocsparse_index_base_SI_SI_SI_bbb,comdat
	.globl	_ZN9rocsparseL38bsrgemm_block_per_row_atomic_multipassILj256ELj32ELj8Eli21rocsparse_complex_numIfEEEv20rocsparse_direction_T3_S4_PKS4_S6_NS_24const_host_device_scalarIT4_EEPKT2_S6_PKS8_SC_S6_SE_S9_SC_S6_SE_SC_PS4_PS8_PSA_21rocsparse_index_base_SI_SI_SI_bbb ; -- Begin function _ZN9rocsparseL38bsrgemm_block_per_row_atomic_multipassILj256ELj32ELj8Eli21rocsparse_complex_numIfEEEv20rocsparse_direction_T3_S4_PKS4_S6_NS_24const_host_device_scalarIT4_EEPKT2_S6_PKS8_SC_S6_SE_S9_SC_S6_SE_SC_PS4_PS8_PSA_21rocsparse_index_base_SI_SI_SI_bbb
	.p2align	8
	.type	_ZN9rocsparseL38bsrgemm_block_per_row_atomic_multipassILj256ELj32ELj8Eli21rocsparse_complex_numIfEEEv20rocsparse_direction_T3_S4_PKS4_S6_NS_24const_host_device_scalarIT4_EEPKT2_S6_PKS8_SC_S6_SE_S9_SC_S6_SE_SC_PS4_PS8_PSA_21rocsparse_index_base_SI_SI_SI_bbb,@function
_ZN9rocsparseL38bsrgemm_block_per_row_atomic_multipassILj256ELj32ELj8Eli21rocsparse_complex_numIfEEEv20rocsparse_direction_T3_S4_PKS4_S6_NS_24const_host_device_scalarIT4_EEPKT2_S6_PKS8_SC_S6_SE_S9_SC_S6_SE_SC_PS4_PS8_PSA_21rocsparse_index_base_SI_SI_SI_bbb: ; @_ZN9rocsparseL38bsrgemm_block_per_row_atomic_multipassILj256ELj32ELj8Eli21rocsparse_complex_numIfEEEv20rocsparse_direction_T3_S4_PKS4_S6_NS_24const_host_device_scalarIT4_EEPKT2_S6_PKS8_SC_S6_SE_S9_SC_S6_SE_SC_PS4_PS8_PSA_21rocsparse_index_base_SI_SI_SI_bbb
; %bb.0:
	s_load_dwordx8 s[36:43], s[4:5], 0x88
	s_load_dword s2, s[4:5], 0xa8
	s_load_dwordx8 s[8:15], s[4:5], 0x68
                                        ; implicit-def: $vgpr61 : SGPR spill to VGPR lane
	s_mov_b32 s35, 0
	s_mov_b32 s33, 0
	s_waitcnt lgkmcnt(0)
	s_bitcmp1_b32 s2, 0
	v_writelane_b32 v61, s8, 0
	v_writelane_b32 v61, s9, 1
	;; [unrolled: 1-line block ×8, first 2 shown]
	s_load_dwordx8 s[52:59], s[4:5], 0x48
	s_load_dwordx4 s[8:11], s[4:5], 0x10
	s_load_dwordx8 s[60:67], s[4:5], 0x28
	s_cselect_b64 s[12:13], -1, 0
	s_bitcmp1_b32 s2, 16
	s_cselect_b64 s[0:1], -1, 0
	s_xor_b64 s[0:1], s[0:1], -1
	v_cndmask_b32_e64 v1, 0, 1, s[0:1]
	s_bitcmp0_b32 s2, 0
	v_cmp_ne_u32_e64 s[0:1], 1, v1
	s_cbranch_scc1 .LBB222_5
; %bb.1:
	s_load_dwordx2 s[34:35], s[4:5], 0x20
	s_and_b64 vcc, exec, s[0:1]
	s_waitcnt lgkmcnt(0)
	s_mov_b32 s33, s34
	s_cbranch_vccnz .LBB222_3
; %bb.2:
	s_load_dword s33, s[34:35], 0x0
.LBB222_3:
	s_and_b64 vcc, exec, s[0:1]
	s_cbranch_vccnz .LBB222_5
; %bb.4:
	s_load_dword s35, s[34:35], 0x4
.LBB222_5:
	s_bitcmp1_b32 s2, 8
	s_cselect_b64 s[72:73], -1, 0
	s_bfe_u32 s2, s2, 0x10008
	s_mov_b32 s92, 0
	s_cmp_eq_u32 s2, 0
	s_mov_b32 s34, 0
	s_cbranch_scc1 .LBB222_11
; %bb.6:
	s_and_b64 vcc, exec, s[0:1]
	s_waitcnt lgkmcnt(0)
	s_mov_b32 s34, s56
	s_cbranch_vccnz .LBB222_8
; %bb.7:
	s_load_dword s34, s[56:57], 0x0
.LBB222_8:
	s_and_b64 vcc, exec, s[0:1]
	s_cbranch_vccnz .LBB222_10
; %bb.9:
	s_load_dword s57, s[56:57], 0x4
.LBB222_10:
	s_waitcnt lgkmcnt(0)
	s_mov_b32 s92, s57
.LBB222_11:
	s_waitcnt lgkmcnt(0)
	s_cmp_eq_u64 s[10:11], 0
	s_mov_b64 s[56:57], 0
	s_cbranch_scc1 .LBB222_13
; %bb.12:
	s_load_dword s0, s[8:9], 0x0
	s_mov_b32 s1, 0
	s_waitcnt lgkmcnt(0)
	s_add_i32 s0, s0, s6
	s_lshl_b64 s[0:1], s[0:1], 2
	s_add_u32 s0, s10, s0
	s_addc_u32 s1, s11, s1
	s_load_dword s6, s[0:1], 0x0
.LBB222_13:
	v_cndmask_b32_e64 v1, 0, 1, s[12:13]
	v_cmp_ne_u32_e64 s[0:1], 1, v1
	s_andn2_b64 vcc, exec, s[12:13]
	s_cbranch_vccz .LBB222_16
; %bb.14:
	s_and_b64 vcc, exec, s[0:1]
	s_mov_b64 s[74:75], 0
	s_cbranch_vccz .LBB222_17
.LBB222_15:
	s_load_dwordx4 s[68:71], s[4:5], 0x0
	s_waitcnt lgkmcnt(0)
	s_cmp_lt_i32 s69, 1
	s_cbranch_scc0 .LBB222_18
	s_branch .LBB222_103
.LBB222_16:
	s_waitcnt lgkmcnt(0)
	s_ashr_i32 s7, s6, 31
	s_lshl_b64 s[2:3], s[6:7], 3
	s_add_u32 s2, s60, s2
	s_addc_u32 s3, s61, s3
	s_load_dwordx2 s[2:3], s[2:3], 0x0
	s_waitcnt lgkmcnt(0)
	s_sub_u32 s56, s2, s40
	s_subb_u32 s57, s3, 0
	s_and_b64 vcc, exec, s[0:1]
	s_mov_b64 s[74:75], 0
	s_cbranch_vccnz .LBB222_15
.LBB222_17:
	s_waitcnt lgkmcnt(0)
	s_ashr_i32 s7, s6, 31
	s_lshl_b64 s[0:1], s[6:7], 3
	s_add_u32 s0, s60, s0
	s_addc_u32 s1, s61, s1
	s_load_dwordx2 s[0:1], s[0:1], 0x8
	s_waitcnt lgkmcnt(0)
	s_sub_u32 s74, s0, s40
	s_subb_u32 s75, s1, 0
	s_load_dwordx4 s[68:71], s[4:5], 0x0
	s_waitcnt lgkmcnt(0)
	s_cmp_lt_i32 s69, 1
	s_cbranch_scc1 .LBB222_103
.LBB222_18:
	v_pk_mov_b32 v[4:5], s[74:75], s[74:75] op_sel:[0,1]
	v_bfe_u32 v3, v0, 3, 3
	v_cmp_lt_i64_e32 vcc, s[56:57], v[4:5]
	v_mov_b32_e32 v4, 0
	v_and_b32_e32 v7, 7, v0
	v_mul_lo_u32 v8, v3, s70
	v_mov_b32_e32 v9, v4
	s_ashr_i32 s7, s6, 31
	v_max_i32_e32 v5, v7, v3
	v_lshlrev_b64 v[8:9], 3, v[8:9]
	s_lshl_b64 s[10:11], s[6:7], 3
	v_cmp_gt_i32_e64 s[4:5], s70, v5
	v_cmp_le_i32_e64 s[6:7], s70, v5
	v_mov_b32_e32 v3, s65
	v_add_co_u32_e64 v5, s[8:9], s64, v8
	v_addc_co_u32_e64 v3, s[8:9], v3, v9, s[8:9]
	v_lshlrev_b32_e32 v12, 3, v7
	v_add_co_u32_e64 v36, s[8:9], v5, v12
	v_mul_lo_u32 v10, v7, s70
	v_mov_b32_e32 v11, v4
	v_addc_co_u32_e64 v37, s[8:9], 0, v3, s[8:9]
	v_lshlrev_b64 v[10:11], 3, v[10:11]
	v_mov_b32_e32 v3, s37
	v_add_co_u32_e64 v5, s[8:9], s36, v10
	v_and_b32_e32 v38, 56, v0
	v_addc_co_u32_e64 v6, s[8:9], v3, v11, s[8:9]
	v_add_co_u32_e64 v5, s[8:9], v5, v38
	v_addc_co_u32_e64 v6, s[8:9], 0, v6, s[8:9]
	v_readlane_b32 s44, v61, 0
	v_add_co_u32_e64 v13, s[8:9], s36, v8
	v_readlane_b32 s48, v61, 4
	v_addc_co_u32_e64 v3, s[8:9], v3, v9, s[8:9]
	v_readlane_b32 s49, v61, 5
	s_add_u32 s0, s48, s10
	v_add_co_u32_e64 v13, s[8:9], v13, v12
	s_addc_u32 s1, s49, s11
	v_lshrrev_b32_e32 v2, 6, v0
	v_addc_co_u32_e64 v3, s[8:9], 0, v3, s[8:9]
	s_load_dwordx2 s[0:1], s[0:1], 0x0
	v_subrev_co_u32_e64 v39, s[8:9], s43, v2
	v_readlane_b32 s46, v61, 2
	v_readlane_b32 s47, v61, 3
	v_subb_co_u32_e64 v40, s[8:9], 0, 0, s[8:9]
	v_mov_b32_e32 v14, s47
	v_add_co_u32_e64 v15, s[8:9], s46, v10
	v_addc_co_u32_e64 v16, s[8:9], v14, v11, s[8:9]
	v_add_co_u32_e64 v15, s[8:9], v15, v38
	s_waitcnt lgkmcnt(0)
	s_sub_u32 s28, s0, s42
	v_addc_co_u32_e64 v16, s[8:9], 0, v16, s[8:9]
	s_subb_u32 s29, s1, 0
	v_add_co_u32_e64 v8, s[8:9], s46, v8
	s_cmp_eq_u32 s68, 0
	v_addc_co_u32_e64 v9, s[8:9], v14, v9, s[8:9]
	s_cselect_b64 s[22:23], -1, 0
	s_cmp_lg_u32 s68, 0
	v_add_co_u32_e64 v8, s[8:9], v8, v12
	v_and_b32_e32 v1, 63, v0
	s_cselect_b64 s[36:37], -1, 0
	s_cmp_gt_i32 s70, 0
	v_addc_co_u32_e64 v9, s[8:9], 0, v9, s[8:9]
	v_readlane_b32 s45, v61, 1
	s_cselect_b64 s[30:31], -1, 0
	s_add_u32 s58, s58, s10
	v_cmp_eq_u32_e64 s[8:9], 63, v1
	v_and_b32_e32 v1, 31, v0
	v_mov_b32_e32 v18, 0x4800
	s_movk_i32 s24, 0x200
	s_movk_i32 s26, 0x100
	v_cmp_gt_u32_e64 s[0:1], 32, v0
	v_cmp_eq_u32_e64 s[2:3], 0, v0
	v_lshlrev_b32_e32 v34, 3, v0
	s_movk_i32 s45, 0x4000
	s_addc_u32 s59, s59, s11
	v_lshlrev_b32_e32 v14, 2, v1
	v_add_co_u32_e64 v17, s[10:11], -1, v1
	v_lshl_or_b32 v43, v0, 2, v18
	s_and_b64 s[46:47], s[12:13], vcc
	v_cmp_ne_u32_e64 s[12:13], 0, v1
	v_cmp_lt_u32_e64 s[14:15], 1, v1
	v_cmp_lt_u32_e64 s[16:17], 3, v1
	;; [unrolled: 1-line block ×4, first 2 shown]
	v_cndmask_b32_e64 v1, v6, v3, s[22:23]
	v_cndmask_b32_e64 v6, v5, v13, s[22:23]
	;; [unrolled: 1-line block ×4, first 2 shown]
	v_or_b32_e32 v8, 0x400, v0
	s_movk_i32 s22, 0x700
	v_cmp_gt_u32_e64 s[24:25], s24, v0
	v_cmp_gt_u32_e64 s[26:27], s26, v0
	v_lshlrev_b32_e32 v0, 9, v2
	v_cmp_gt_u32_e64 s[22:23], s22, v8
	v_or3_b32 v48, v0, v38, s45
	v_mov_b32_e32 v0, s55
	v_add_co_u32_e32 v8, vcc, s54, v10
	v_addc_co_u32_e32 v9, vcc, v11, v0, vcc
	v_add_co_u32_e32 v8, vcc, 4, v8
	v_addc_co_u32_e32 v9, vcc, 0, v9, vcc
	;; [unrolled: 2-line block ×4, first 2 shown]
	v_readlane_b32 s50, v61, 6
	v_readlane_b32 s51, v61, 7
	v_writelane_b32 v61, s26, 8
	s_add_u32 s95, s66, 8
	v_add_co_u32_e32 v12, vcc, 4, v5
	s_mov_b32 s49, 0
	v_writelane_b32 v61, s27, 9
	s_addc_u32 s26, s67, 0
	v_addc_co_u32_e32 v13, vcc, 0, v3, vcc
	s_mul_i32 s48, s70, s70
	v_or_b32_e32 v41, 0x4800, v14
	v_add_u32_e32 v44, 0x47f8, v14
	v_add_u32_e32 v45, 0x47f0, v14
	;; [unrolled: 1-line block ×4, first 2 shown]
	s_add_u32 s27, s50, -4
	s_mov_b32 s71, s49
	v_add_co_u32_e32 v49, vcc, 4, v39
	v_and_b32_e32 v0, 0x7c0, v34
	v_pk_mov_b32 v[14:15], s[28:29], s[28:29] op_sel:[0,1]
	s_mov_b32 s28, s49
	s_mov_b32 s29, s49
	v_or_b32_e32 v35, 0x4000, v34
	s_mov_b32 s93, s41
	s_mov_b32 s94, s49
	;; [unrolled: 1-line block ×3, first 2 shown]
	v_lshl_add_u32 v42, v17, 2, v18
	s_addc_u32 s44, s51, -1
	s_lshl_b64 s[50:51], s[48:49], 3
	v_addc_co_u32_e32 v50, vcc, 0, v40, vcc
	s_lshl_b64 s[54:55], s[70:71], 3
	v_or_b32_e32 v51, 0x4000, v0
	v_pk_mov_b32 v[16:17], s[28:29], s[28:29] op_sel:[0,1]
	s_lshl_b64 s[60:61], s[48:49], 5
	v_lshl_or_b32 v52, v2, 2, v18
	v_mov_b32_e32 v0, 32
	v_mov_b32_e32 v53, 1
	v_cndmask_b32_e64 v54, 0, 1, s[30:31]
	s_branch .LBB222_20
.LBB222_19:                             ;   in Loop: Header=BB222_20 Depth=1
	s_or_b64 exec, exec, s[28:29]
	s_barrier
	ds_read_b32 v3, v4 offset:18560
	v_ashrrev_i32_e32 v0, 31, v5
	v_add_co_u32_e32 v14, vcc, v14, v5
	v_addc_co_u32_e32 v15, vcc, v15, v0, vcc
	s_waitcnt lgkmcnt(0)
	v_cmp_le_i32_e32 vcc, s69, v3
	v_readfirstlane_b32 s49, v3
	v_add_u32_e32 v0, 32, v3
	s_barrier
	s_cbranch_vccnz .LBB222_103
.LBB222_20:                             ; =>This Loop Header: Depth=1
                                        ;     Child Loop BB222_33 Depth 2
                                        ;       Child Loop BB222_47 Depth 3
                                        ;         Child Loop BB222_56 Depth 4
                                        ;         Child Loop BB222_61 Depth 4
                                        ;     Child Loop BB222_72 Depth 2
                                        ;     Child Loop BB222_81 Depth 2
	;; [unrolled: 1-line block ×3, first 2 shown]
	s_and_saveexec_b64 s[28:29], s[0:1]
	s_cbranch_execz .LBB222_22
; %bb.21:                               ;   in Loop: Header=BB222_20 Depth=1
	ds_write_b32 v43, v4
.LBB222_22:                             ;   in Loop: Header=BB222_20 Depth=1
	s_or_b64 exec, exec, s[28:29]
	ds_write2st64_b64 v34, v[16:17], v[16:17] offset1:4
	ds_write2st64_b64 v34, v[16:17], v[16:17] offset0:8 offset1:12
	ds_write_b64 v34, v[16:17] offset:8192
	s_and_saveexec_b64 s[28:29], s[22:23]
	s_xor_b64 s[28:29], exec, s[28:29]
	s_cbranch_execz .LBB222_28
; %bb.23:                               ;   in Loop: Header=BB222_20 Depth=1
	v_mov_b32_e32 v5, v4
	ds_write_b64 v34, v[4:5] offset:10240
	s_and_saveexec_b64 s[30:31], s[24:25]
	s_xor_b64 s[30:31], exec, s[30:31]
	s_cbranch_execz .LBB222_27
; %bb.24:                               ;   in Loop: Header=BB222_20 Depth=1
	ds_write_b64 v34, v[4:5] offset:12288
	s_mov_b64 s[64:65], exec
	v_readlane_b32 s76, v61, 8
	v_readlane_b32 s77, v61, 9
	s_and_b64 s[76:77], s[64:65], s[76:77]
	s_xor_b64 s[64:65], s[76:77], s[64:65]
	s_mov_b64 exec, s[76:77]
	s_cbranch_execz .LBB222_26
; %bb.25:                               ;   in Loop: Header=BB222_20 Depth=1
	v_mov_b32_e32 v5, v4
	ds_write_b64 v34, v[4:5] offset:14336
.LBB222_26:                             ;   in Loop: Header=BB222_20 Depth=1
	s_or_b64 exec, exec, s[64:65]
.LBB222_27:                             ;   in Loop: Header=BB222_20 Depth=1
	s_or_b64 exec, exec, s[30:31]
.LBB222_28:                             ;   in Loop: Header=BB222_20 Depth=1
	s_or_b64 exec, exec, s[28:29]
	s_and_saveexec_b64 s[28:29], s[2:3]
	s_cbranch_execz .LBB222_30
; %bb.29:                               ;   in Loop: Header=BB222_20 Depth=1
	v_mov_b32_e32 v3, s69
	ds_write_b32 v4, v3 offset:18560
.LBB222_30:                             ;   in Loop: Header=BB222_20 Depth=1
	s_or_b64 exec, exec, s[28:29]
	s_andn2_b64 vcc, exec, s[46:47]
	v_mov_b32_e32 v3, s69
	s_waitcnt lgkmcnt(0)
	s_barrier
	s_cbranch_vccnz .LBB222_67
; %bb.31:                               ;   in Loop: Header=BB222_20 Depth=1
	s_cmp_lg_u32 s49, 0
	s_cselect_b64 s[64:65], -1, 0
	v_mov_b32_e32 v3, s69
	s_mov_b64 s[76:77], s[56:57]
	s_branch .LBB222_33
.LBB222_32:                             ;   in Loop: Header=BB222_33 Depth=2
	s_or_b64 exec, exec, s[30:31]
	s_add_u32 s76, s76, 4
	s_addc_u32 s77, s77, 0
	v_pk_mov_b32 v[18:19], s[74:75], s[74:75] op_sel:[0,1]
	v_cmp_lt_i64_e32 vcc, s[76:77], v[18:19]
	s_cbranch_vccz .LBB222_67
.LBB222_33:                             ;   Parent Loop BB222_20 Depth=1
                                        ; =>  This Loop Header: Depth=2
                                        ;       Child Loop BB222_47 Depth 3
                                        ;         Child Loop BB222_56 Depth 4
                                        ;         Child Loop BB222_61 Depth 4
	v_mov_b32_e32 v5, s77
	v_add_co_u32_e32 v18, vcc, s76, v2
	v_addc_co_u32_e32 v19, vcc, 0, v5, vcc
	v_cmp_gt_i64_e64 s[28:29], s[74:75], v[18:19]
	s_barrier
	s_and_saveexec_b64 s[30:31], s[28:29]
	s_cbranch_execz .LBB222_38
; %bb.34:                               ;   in Loop: Header=BB222_33 Depth=2
	s_and_saveexec_b64 s[78:79], s[6:7]
	s_xor_b64 s[78:79], exec, s[78:79]
	s_cbranch_execz .LBB222_36
; %bb.35:                               ;   in Loop: Header=BB222_33 Depth=2
	v_mov_b32_e32 v5, v4
	ds_write_b64 v35, v[4:5]
.LBB222_36:                             ;   in Loop: Header=BB222_33 Depth=2
	s_andn2_saveexec_b64 s[78:79], s[78:79]
	s_cbranch_execz .LBB222_38
; %bb.37:                               ;   in Loop: Header=BB222_33 Depth=2
	v_mad_u64_u32 v[20:21], s[78:79], v18, s48, 0
	v_mov_b32_e32 v22, v21
	v_mad_u64_u32 v[22:23], s[78:79], v19, s48, v[22:23]
	v_mov_b32_e32 v21, v22
	v_lshlrev_b64 v[20:21], 3, v[20:21]
	v_add_co_u32_e32 v20, vcc, v36, v20
	v_addc_co_u32_e32 v21, vcc, v37, v21, vcc
	global_load_dwordx2 v[20:21], v[20:21], off
	s_waitcnt vmcnt(0)
	ds_write_b64 v35, v[20:21]
.LBB222_38:                             ;   in Loop: Header=BB222_33 Depth=2
	s_or_b64 exec, exec, s[30:31]
	v_pk_mov_b32 v[20:21], 0, 0
	s_waitcnt lgkmcnt(0)
	s_barrier
	s_and_saveexec_b64 s[78:79], s[28:29]
	s_cbranch_execz .LBB222_64
; %bb.39:                               ;   in Loop: Header=BB222_33 Depth=2
	v_lshlrev_b64 v[20:21], 2, v[18:19]
	v_mov_b32_e32 v5, s63
	v_add_co_u32_e32 v20, vcc, s62, v20
	v_addc_co_u32_e32 v21, vcc, v5, v21, vcc
	global_load_dword v5, v[20:21], off
	s_and_b64 vcc, exec, s[64:65]
	s_waitcnt vmcnt(0)
	v_subrev_u32_e32 v22, s40, v5
	v_ashrrev_i32_e32 v23, 31, v22
	s_cbranch_vccz .LBB222_66
; %bb.40:                               ;   in Loop: Header=BB222_33 Depth=2
	v_lshlrev_b64 v[20:21], 3, v[18:19]
	v_mov_b32_e32 v5, s39
	v_add_co_u32_e32 v20, vcc, s38, v20
	v_addc_co_u32_e32 v21, vcc, v5, v21, vcc
	global_load_dwordx2 v[20:21], v[20:21], off
	s_cbranch_execnz .LBB222_42
.LBB222_41:                             ;   in Loop: Header=BB222_33 Depth=2
	s_waitcnt vmcnt(0)
	v_lshlrev_b64 v[20:21], 3, v[22:23]
	v_mov_b32_e32 v5, s67
	v_add_co_u32_e32 v20, vcc, s66, v20
	v_addc_co_u32_e32 v21, vcc, v5, v21, vcc
	global_load_dwordx2 v[20:21], v[20:21], off
	v_mov_b32_e32 v5, s94
	s_waitcnt vmcnt(0)
	v_subrev_co_u32_e32 v20, vcc, s93, v20
	v_subb_co_u32_e32 v21, vcc, v21, v5, vcc
.LBB222_42:                             ;   in Loop: Header=BB222_33 Depth=2
	v_lshlrev_b64 v[22:23], 3, v[22:23]
	v_mov_b32_e32 v5, s26
	v_add_co_u32_e32 v22, vcc, s95, v22
	v_addc_co_u32_e32 v23, vcc, v5, v23, vcc
	global_load_dwordx2 v[22:23], v[22:23], off
	v_mov_b32_e32 v5, s94
	s_waitcnt vmcnt(0)
	v_subrev_co_u32_e32 v22, vcc, s93, v22
	v_subb_co_u32_e32 v23, vcc, v23, v5, vcc
	v_cmp_lt_i64_e32 vcc, v[20:21], v[22:23]
	s_and_saveexec_b64 s[80:81], vcc
	s_cbranch_execz .LBB222_63
; %bb.43:                               ;   in Loop: Header=BB222_33 Depth=2
	v_mad_u64_u32 v[24:25], s[30:31], s50, v20, v[8:9]
	v_mul_lo_u32 v5, s50, v21
	v_mul_lo_u32 v28, s51, v20
	v_mad_u64_u32 v[26:27], s[30:31], s50, v20, v[10:11]
	v_add3_u32 v25, v28, v25, v5
	v_add3_u32 v27, v28, v27, v5
	s_mov_b64 s[82:83], 0
	v_pk_mov_b32 v[28:29], v[20:21], v[20:21] op_sel:[0,1]
	s_branch .LBB222_47
.LBB222_44:                             ;   in Loop: Header=BB222_47 Depth=3
	v_lshlrev_b32_e32 v5, 6, v5
	v_or3_b32 v5, v5, v38, v7
	v_mul_f32_e64 v32, v31, -s35
	v_lshlrev_b32_e32 v5, 3, v5
	v_fmac_f32_e32 v32, s33, v30
	v_mul_f32_e32 v31, s33, v31
	v_fmac_f32_e32 v31, s35, v30
	ds_add_f32 v5, v32
	ds_add_f32 v5, v31 offset:4
.LBB222_45:                             ;   in Loop: Header=BB222_47 Depth=3
	s_or_b64 exec, exec, s[88:89]
	s_or_b64 s[84:85], s[84:85], exec
.LBB222_46:                             ;   in Loop: Header=BB222_47 Depth=3
	s_or_b64 exec, exec, s[86:87]
	v_add_co_u32_e32 v28, vcc, 1, v28
	v_addc_co_u32_e32 v29, vcc, 0, v29, vcc
	v_cmp_ge_i64_e32 vcc, v[28:29], v[22:23]
	s_xor_b64 s[30:31], s[84:85], -1
	s_or_b64 s[30:31], s[30:31], vcc
	v_mov_b32_e32 v5, s51
	v_add_co_u32_e32 v24, vcc, s50, v24
	v_addc_co_u32_e32 v25, vcc, v25, v5, vcc
	s_and_b64 s[30:31], exec, s[30:31]
	v_add_co_u32_e32 v26, vcc, s50, v26
	s_or_b64 s[82:83], s[30:31], s[82:83]
	v_addc_co_u32_e32 v27, vcc, v27, v5, vcc
	s_andn2_b64 exec, exec, s[82:83]
	s_cbranch_execz .LBB222_62
.LBB222_47:                             ;   Parent Loop BB222_20 Depth=1
                                        ;     Parent Loop BB222_33 Depth=2
                                        ; =>    This Loop Header: Depth=3
                                        ;         Child Loop BB222_56 Depth 4
                                        ;         Child Loop BB222_61 Depth 4
	v_lshlrev_b64 v[30:31], 2, v[28:29]
	v_mov_b32_e32 v5, s53
	v_add_co_u32_e32 v30, vcc, s52, v30
	v_addc_co_u32_e32 v31, vcc, v5, v31, vcc
	global_load_dword v5, v[30:31], off
                                        ; implicit-def: $sgpr84_sgpr85
	s_waitcnt vmcnt(0)
	v_subrev_u32_e32 v5, s41, v5
	v_cmp_gt_i32_e64 s[30:31], s49, v5
	v_cmp_ge_i32_e32 vcc, v5, v0
	s_or_b64 s[30:31], s[30:31], vcc
	s_and_saveexec_b64 s[86:87], s[30:31]
	s_xor_b64 s[30:31], exec, s[86:87]
	s_cbranch_execz .LBB222_51
; %bb.48:                               ;   in Loop: Header=BB222_47 Depth=3
	s_mov_b64 s[84:85], -1
	s_and_saveexec_b64 s[86:87], vcc
; %bb.49:                               ;   in Loop: Header=BB222_47 Depth=3
	v_min_i32_e32 v3, v5, v3
	s_xor_b64 s[84:85], exec, -1
	v_pk_mov_b32 v[20:21], v[28:29], v[28:29] op_sel:[0,1]
; %bb.50:                               ;   in Loop: Header=BB222_47 Depth=3
	s_or_b64 exec, exec, s[86:87]
	s_and_b64 s[84:85], s[84:85], exec
                                        ; implicit-def: $vgpr5
.LBB222_51:                             ;   in Loop: Header=BB222_47 Depth=3
	s_andn2_saveexec_b64 s[86:87], s[30:31]
	s_cbranch_execz .LBB222_46
; %bb.52:                               ;   in Loop: Header=BB222_47 Depth=3
	v_subrev_u32_e32 v5, s49, v5
	v_lshlrev_b32_e32 v30, 2, v5
	ds_write_b32 v30, v53 offset:18432
	s_and_saveexec_b64 s[88:89], s[4:5]
	s_cbranch_execz .LBB222_45
; %bb.53:                               ;   in Loop: Header=BB222_47 Depth=3
	s_andn2_b64 vcc, exec, s[36:37]
	v_cmp_ne_u32_e64 s[30:31], 1, v54
	s_cbranch_vccnz .LBB222_58
; %bb.54:                               ;   in Loop: Header=BB222_47 Depth=3
	v_mov_b32_e32 v31, 0
	s_and_b64 vcc, exec, s[30:31]
	v_mov_b32_e32 v30, v31
	s_cbranch_vccnz .LBB222_57
; %bb.55:                               ;   in Loop: Header=BB222_47 Depth=3
	v_mov_b32_e32 v30, 0
	v_pk_mov_b32 v[32:33], v[24:25], v[24:25] op_sel:[0,1]
	s_mov_b32 s45, s70
	v_mov_b32_e32 v55, v48
	v_mov_b32_e32 v31, v30
.LBB222_56:                             ;   Parent Loop BB222_20 Depth=1
                                        ;     Parent Loop BB222_33 Depth=2
                                        ;       Parent Loop BB222_47 Depth=3
                                        ; =>      This Inner Loop Header: Depth=4
	global_load_dwordx2 v[56:57], v[32:33], off offset:-4
	ds_read_b64 v[58:59], v55
	s_add_i32 s45, s45, -1
	v_add_co_u32_e32 v32, vcc, 8, v32
	v_add_u32_e32 v55, 64, v55
	v_addc_co_u32_e32 v33, vcc, 0, v33, vcc
	s_cmp_lg_u32 s45, 0
	s_waitcnt vmcnt(0) lgkmcnt(0)
	v_pk_fma_f32 v[30:31], v[58:59], v[56:57], v[30:31] op_sel_hi:[1,0,1]
	v_pk_fma_f32 v[30:31], v[58:59], v[56:57], v[30:31] op_sel:[1,1,0] op_sel_hi:[0,1,1] neg_lo:[1,0,0]
	s_cbranch_scc1 .LBB222_56
.LBB222_57:                             ;   in Loop: Header=BB222_47 Depth=3
	s_cbranch_execnz .LBB222_44
	s_branch .LBB222_59
.LBB222_58:                             ;   in Loop: Header=BB222_47 Depth=3
                                        ; implicit-def: $vgpr31
.LBB222_59:                             ;   in Loop: Header=BB222_47 Depth=3
	v_mov_b32_e32 v31, 0
	s_and_b64 vcc, exec, s[30:31]
	v_mov_b32_e32 v30, v31
	s_cbranch_vccnz .LBB222_44
; %bb.60:                               ;   in Loop: Header=BB222_47 Depth=3
	v_mov_b32_e32 v30, 0
	v_mov_b32_e32 v55, v51
	v_pk_mov_b32 v[32:33], v[26:27], v[26:27] op_sel:[0,1]
	s_mov_b32 s30, s70
	v_mov_b32_e32 v31, v30
.LBB222_61:                             ;   Parent Loop BB222_20 Depth=1
                                        ;     Parent Loop BB222_33 Depth=2
                                        ;       Parent Loop BB222_47 Depth=3
                                        ; =>      This Inner Loop Header: Depth=4
	global_load_dwordx2 v[56:57], v[32:33], off offset:-4
	ds_read_b64 v[58:59], v55
	s_add_i32 s30, s30, -1
	v_mov_b32_e32 v60, s55
	v_add_co_u32_e32 v32, vcc, s54, v32
	v_add_u32_e32 v55, 8, v55
	v_addc_co_u32_e32 v33, vcc, v33, v60, vcc
	s_cmp_eq_u32 s30, 0
	s_waitcnt vmcnt(0) lgkmcnt(0)
	v_pk_fma_f32 v[30:31], v[58:59], v[56:57], v[30:31] op_sel_hi:[1,0,1]
	v_pk_fma_f32 v[30:31], v[58:59], v[56:57], v[30:31] op_sel:[1,1,0] op_sel_hi:[0,1,1] neg_lo:[1,0,0]
	s_cbranch_scc0 .LBB222_61
	s_branch .LBB222_44
.LBB222_62:                             ;   in Loop: Header=BB222_33 Depth=2
	s_or_b64 exec, exec, s[82:83]
.LBB222_63:                             ;   in Loop: Header=BB222_33 Depth=2
	s_or_b64 exec, exec, s[80:81]
.LBB222_64:                             ;   in Loop: Header=BB222_33 Depth=2
	s_or_b64 exec, exec, s[78:79]
	s_waitcnt lgkmcnt(0)
	s_barrier
	s_and_saveexec_b64 s[30:31], s[28:29]
	s_cbranch_execz .LBB222_32
; %bb.65:                               ;   in Loop: Header=BB222_33 Depth=2
	v_lshlrev_b64 v[18:19], 3, v[18:19]
	v_mov_b32_e32 v5, s39
	v_add_co_u32_e32 v18, vcc, s38, v18
	v_addc_co_u32_e32 v19, vcc, v5, v19, vcc
	global_store_dwordx2 v[18:19], v[20:21], off
	s_branch .LBB222_32
.LBB222_66:                             ;   in Loop: Header=BB222_33 Depth=2
                                        ; implicit-def: $vgpr20_vgpr21
	s_branch .LBB222_41
.LBB222_67:                             ;   in Loop: Header=BB222_20 Depth=1
	s_andn2_b64 vcc, exec, s[72:73]
	s_cbranch_vccnz .LBB222_79
; %bb.68:                               ;   in Loop: Header=BB222_20 Depth=1
	s_load_dwordx4 s[28:31], s[58:59], 0x0
	s_waitcnt lgkmcnt(0)
	s_sub_u32 s64, s30, s68
	v_mov_b32_e32 v5, s29
	v_add_co_u32_e32 v22, vcc, s28, v39
	s_subb_u32 s65, s31, 0
	v_addc_co_u32_e32 v23, vcc, v5, v40, vcc
	v_cmp_gt_i64_e32 vcc, s[64:65], v[22:23]
	s_and_saveexec_b64 s[76:77], vcc
	s_cbranch_execz .LBB222_78
; %bb.69:                               ;   in Loop: Header=BB222_20 Depth=1
	v_readlane_b32 s80, v61, 0
	v_lshlrev_b64 v[18:19], 2, v[22:23]
	v_readlane_b32 s81, v61, 1
	v_mov_b32_e32 v5, s81
	v_add_co_u32_e32 v18, vcc, s80, v18
	v_addc_co_u32_e32 v19, vcc, v5, v19, vcc
	v_mad_u64_u32 v[20:21], s[30:31], s50, v22, v[12:13]
	v_mul_lo_u32 v5, s50, v23
	v_mul_lo_u32 v22, s51, v22
	v_add3_u32 v21, v22, v21, v5
	v_mov_b32_e32 v5, s29
	v_add_co_u32_e32 v22, vcc, s28, v49
	v_addc_co_u32_e32 v23, vcc, v50, v5, vcc
	s_mov_b64 s[78:79], 0
	v_readlane_b32 s82, v61, 2
	v_readlane_b32 s83, v61, 3
	;; [unrolled: 1-line block ×6, first 2 shown]
	s_branch .LBB222_72
.LBB222_70:                             ;   in Loop: Header=BB222_72 Depth=2
	s_or_b64 exec, exec, s[80:81]
	s_or_b64 s[28:29], s[28:29], exec
.LBB222_71:                             ;   in Loop: Header=BB222_72 Depth=2
	s_or_b64 exec, exec, s[30:31]
	v_cmp_le_i64_e32 vcc, s[64:65], v[22:23]
	s_xor_b64 s[28:29], s[28:29], -1
	s_or_b64 s[28:29], s[28:29], vcc
	v_add_co_u32_e32 v18, vcc, 16, v18
	v_addc_co_u32_e32 v19, vcc, 0, v19, vcc
	v_mov_b32_e32 v5, s61
	v_add_co_u32_e32 v20, vcc, s60, v20
	v_addc_co_u32_e32 v21, vcc, v21, v5, vcc
	s_and_b64 s[28:29], exec, s[28:29]
	v_add_co_u32_e32 v22, vcc, 4, v22
	s_or_b64 s[78:79], s[28:29], s[78:79]
	v_addc_co_u32_e32 v23, vcc, 0, v23, vcc
	s_andn2_b64 exec, exec, s[78:79]
	s_cbranch_execz .LBB222_77
.LBB222_72:                             ;   Parent Loop BB222_20 Depth=1
                                        ; =>  This Inner Loop Header: Depth=2
	global_load_dword v5, v[18:19], off
	s_waitcnt vmcnt(0)
	v_subrev_u32_e32 v5, s43, v5
	v_cmp_gt_i32_e64 s[28:29], s49, v5
	v_cmp_ge_i32_e64 s[30:31], v5, v0
	v_cmp_lt_i32_e32 vcc, v5, v0
	s_or_b64 s[30:31], s[28:29], s[30:31]
                                        ; implicit-def: $sgpr28_sgpr29
	s_and_saveexec_b64 s[80:81], s[30:31]
	s_xor_b64 s[30:31], exec, s[80:81]
; %bb.73:                               ;   in Loop: Header=BB222_72 Depth=2
	v_min_i32_e32 v5, v5, v3
	v_cndmask_b32_e32 v3, v5, v3, vcc
	s_and_b64 s[28:29], vcc, exec
                                        ; implicit-def: $vgpr5
; %bb.74:                               ;   in Loop: Header=BB222_72 Depth=2
	s_andn2_saveexec_b64 s[30:31], s[30:31]
	s_cbranch_execz .LBB222_71
; %bb.75:                               ;   in Loop: Header=BB222_72 Depth=2
	v_subrev_u32_e32 v5, s49, v5
	v_lshlrev_b32_e32 v24, 2, v5
	ds_write_b32 v24, v53 offset:18432
	s_and_saveexec_b64 s[80:81], s[4:5]
	s_cbranch_execz .LBB222_70
; %bb.76:                               ;   in Loop: Header=BB222_72 Depth=2
	global_load_dwordx2 v[24:25], v[20:21], off offset:-4
	v_lshlrev_b32_e32 v5, 6, v5
	v_or3_b32 v5, v5, v38, v7
	v_lshlrev_b32_e32 v5, 3, v5
	s_waitcnt vmcnt(0)
	v_mul_f32_e64 v26, v25, -s92
	v_mul_f32_e32 v25, s34, v25
	v_fmac_f32_e32 v26, s34, v24
	v_fmac_f32_e32 v25, s92, v24
	ds_add_f32 v5, v26
	ds_add_f32 v5, v25 offset:4
	s_branch .LBB222_70
.LBB222_77:                             ;   in Loop: Header=BB222_20 Depth=1
	s_or_b64 exec, exec, s[78:79]
.LBB222_78:                             ;   in Loop: Header=BB222_20 Depth=1
	s_or_b64 exec, exec, s[76:77]
.LBB222_79:                             ;   in Loop: Header=BB222_20 Depth=1
	s_and_saveexec_b64 s[28:29], s[8:9]
	s_cbranch_execz .LBB222_84
; %bb.80:                               ;   in Loop: Header=BB222_20 Depth=1
	s_mov_b64 s[30:31], exec
	s_brev_b32 s45, -2
.LBB222_81:                             ;   Parent Loop BB222_20 Depth=1
                                        ; =>  This Inner Loop Header: Depth=2
	s_ff1_i32_b64 s64, s[30:31]
	v_readlane_b32 s71, v3, s64
	s_lshl_b64 s[64:65], 1, s64
	s_min_i32 s45, s45, s71
	s_andn2_b64 s[30:31], s[30:31], s[64:65]
	s_cmp_lg_u64 s[30:31], 0
	s_cbranch_scc1 .LBB222_81
; %bb.82:                               ;   in Loop: Header=BB222_20 Depth=1
	v_mbcnt_lo_u32_b32 v0, exec_lo, 0
	v_mbcnt_hi_u32_b32 v0, exec_hi, v0
	v_cmp_eq_u32_e32 vcc, 0, v0
	s_and_saveexec_b64 s[30:31], vcc
	s_xor_b64 s[30:31], exec, s[30:31]
	s_cbranch_execz .LBB222_84
; %bb.83:                               ;   in Loop: Header=BB222_20 Depth=1
	v_mov_b32_e32 v0, s45
	ds_min_i32 v4, v0 offset:18560
.LBB222_84:                             ;   in Loop: Header=BB222_20 Depth=1
	s_or_b64 exec, exec, s[28:29]
	s_waitcnt lgkmcnt(0)
	s_barrier
	ds_read_b32 v0, v41
	s_waitcnt lgkmcnt(0)
	s_barrier
	s_and_saveexec_b64 s[28:29], s[12:13]
	s_cbranch_execz .LBB222_86
; %bb.85:                               ;   in Loop: Header=BB222_20 Depth=1
	ds_read_b32 v3, v42
	s_waitcnt lgkmcnt(0)
	v_add_u32_e32 v0, v3, v0
.LBB222_86:                             ;   in Loop: Header=BB222_20 Depth=1
	s_or_b64 exec, exec, s[28:29]
	s_barrier
	ds_write_b32 v41, v0
	s_waitcnt lgkmcnt(0)
	s_barrier
	s_and_saveexec_b64 s[28:29], s[14:15]
	s_cbranch_execz .LBB222_88
; %bb.87:                               ;   in Loop: Header=BB222_20 Depth=1
	ds_read_b32 v3, v44
	s_waitcnt lgkmcnt(0)
	v_add_u32_e32 v0, v3, v0
.LBB222_88:                             ;   in Loop: Header=BB222_20 Depth=1
	s_or_b64 exec, exec, s[28:29]
	s_barrier
	ds_write_b32 v41, v0
	;; [unrolled: 12-line block ×5, first 2 shown]
	s_waitcnt lgkmcnt(0)
	s_barrier
	ds_read_b32 v5, v4 offset:18556
	v_mov_b32_e32 v3, 0
	s_and_saveexec_b64 s[28:29], s[10:11]
	s_cbranch_execz .LBB222_96
; %bb.95:                               ;   in Loop: Header=BB222_20 Depth=1
	ds_read_b32 v3, v42
.LBB222_96:                             ;   in Loop: Header=BB222_20 Depth=1
	s_or_b64 exec, exec, s[28:29]
	s_waitcnt lgkmcnt(0)
	v_cmp_eq_u32_e32 vcc, v0, v3
	s_and_b64 s[30:31], s[10:11], vcc
	s_barrier
	s_and_saveexec_b64 s[28:29], s[30:31]
	s_cbranch_execz .LBB222_98
; %bb.97:                               ;   in Loop: Header=BB222_20 Depth=1
	ds_write_b32 v41, v4
.LBB222_98:                             ;   in Loop: Header=BB222_20 Depth=1
	s_or_b64 exec, exec, s[28:29]
	v_add_co_u32_e32 v18, vcc, -1, v14
	v_addc_co_u32_e32 v19, vcc, -1, v15, vcc
	s_add_i32 s45, s42, s49
	s_mov_b64 s[28:29], 0
	v_mov_b32_e32 v20, v52
	v_mov_b32_e32 v21, v34
	;; [unrolled: 1-line block ×3, first 2 shown]
	s_waitcnt lgkmcnt(0)
	s_barrier
	s_branch .LBB222_100
.LBB222_99:                             ;   in Loop: Header=BB222_100 Depth=2
	s_or_b64 exec, exec, s[30:31]
	v_add_u32_e32 v0, 4, v22
	v_cmp_lt_u32_e32 vcc, 27, v22
	v_add_u32_e32 v21, 0x800, v21
	v_add_u32_e32 v20, 16, v20
	s_or_b64 s[28:29], vcc, s[28:29]
	v_mov_b32_e32 v22, v0
	s_andn2_b64 exec, exec, s[28:29]
	s_cbranch_execz .LBB222_19
.LBB222_100:                            ;   Parent Loop BB222_20 Depth=1
                                        ; =>  This Inner Loop Header: Depth=2
	ds_read_b32 v0, v20
	s_waitcnt lgkmcnt(0)
	v_cmp_ne_u32_e32 vcc, 0, v0
	s_and_saveexec_b64 s[30:31], vcc
	s_cbranch_execz .LBB222_99
; %bb.101:                              ;   in Loop: Header=BB222_100 Depth=2
	v_ashrrev_i32_e32 v3, 31, v0
	v_add_co_u32_e32 v24, vcc, v14, v0
	v_addc_co_u32_e32 v25, vcc, v15, v3, vcc
	v_lshlrev_b64 v[24:25], 2, v[24:25]
	v_mov_b32_e32 v26, s44
	v_add_co_u32_e32 v24, vcc, s27, v24
	v_add_u32_e32 v23, s45, v22
	v_addc_co_u32_e32 v25, vcc, v26, v25, vcc
	global_store_dword v[24:25], v23, off
	s_and_b64 exec, exec, s[4:5]
	s_cbranch_execz .LBB222_99
; %bb.102:                              ;   in Loop: Header=BB222_100 Depth=2
	v_add_co_u32_e32 v0, vcc, v18, v0
	v_mad_u64_u32 v[24:25], s[64:65], v0, s48, 0
	v_addc_co_u32_e32 v3, vcc, v19, v3, vcc
	v_mov_b32_e32 v0, v25
	v_mad_u64_u32 v[26:27], s[64:65], v3, s48, v[0:1]
	v_mov_b32_e32 v25, v26
	ds_read_b64 v[26:27], v21
	v_lshlrev_b64 v[24:25], 3, v[24:25]
	v_add_co_u32_e32 v24, vcc, v6, v24
	v_addc_co_u32_e32 v25, vcc, v1, v25, vcc
	s_waitcnt lgkmcnt(0)
	global_store_dwordx2 v[24:25], v[26:27], off
	s_branch .LBB222_99
.LBB222_103:
	s_endpgm
	.section	.rodata,"a",@progbits
	.p2align	6, 0x0
	.amdhsa_kernel _ZN9rocsparseL38bsrgemm_block_per_row_atomic_multipassILj256ELj32ELj8Eli21rocsparse_complex_numIfEEEv20rocsparse_direction_T3_S4_PKS4_S6_NS_24const_host_device_scalarIT4_EEPKT2_S6_PKS8_SC_S6_SE_S9_SC_S6_SE_SC_PS4_PS8_PSA_21rocsparse_index_base_SI_SI_SI_bbb
		.amdhsa_group_segment_fixed_size 18564
		.amdhsa_private_segment_fixed_size 0
		.amdhsa_kernarg_size 172
		.amdhsa_user_sgpr_count 6
		.amdhsa_user_sgpr_private_segment_buffer 1
		.amdhsa_user_sgpr_dispatch_ptr 0
		.amdhsa_user_sgpr_queue_ptr 0
		.amdhsa_user_sgpr_kernarg_segment_ptr 1
		.amdhsa_user_sgpr_dispatch_id 0
		.amdhsa_user_sgpr_flat_scratch_init 0
		.amdhsa_user_sgpr_kernarg_preload_length 0
		.amdhsa_user_sgpr_kernarg_preload_offset 0
		.amdhsa_user_sgpr_private_segment_size 0
		.amdhsa_uses_dynamic_stack 0
		.amdhsa_system_sgpr_private_segment_wavefront_offset 0
		.amdhsa_system_sgpr_workgroup_id_x 1
		.amdhsa_system_sgpr_workgroup_id_y 0
		.amdhsa_system_sgpr_workgroup_id_z 0
		.amdhsa_system_sgpr_workgroup_info 0
		.amdhsa_system_vgpr_workitem_id 0
		.amdhsa_next_free_vgpr 62
		.amdhsa_next_free_sgpr 96
		.amdhsa_accum_offset 64
		.amdhsa_reserve_vcc 1
		.amdhsa_reserve_flat_scratch 0
		.amdhsa_float_round_mode_32 0
		.amdhsa_float_round_mode_16_64 0
		.amdhsa_float_denorm_mode_32 3
		.amdhsa_float_denorm_mode_16_64 3
		.amdhsa_dx10_clamp 1
		.amdhsa_ieee_mode 1
		.amdhsa_fp16_overflow 0
		.amdhsa_tg_split 0
		.amdhsa_exception_fp_ieee_invalid_op 0
		.amdhsa_exception_fp_denorm_src 0
		.amdhsa_exception_fp_ieee_div_zero 0
		.amdhsa_exception_fp_ieee_overflow 0
		.amdhsa_exception_fp_ieee_underflow 0
		.amdhsa_exception_fp_ieee_inexact 0
		.amdhsa_exception_int_div_zero 0
	.end_amdhsa_kernel
	.section	.text._ZN9rocsparseL38bsrgemm_block_per_row_atomic_multipassILj256ELj32ELj8Eli21rocsparse_complex_numIfEEEv20rocsparse_direction_T3_S4_PKS4_S6_NS_24const_host_device_scalarIT4_EEPKT2_S6_PKS8_SC_S6_SE_S9_SC_S6_SE_SC_PS4_PS8_PSA_21rocsparse_index_base_SI_SI_SI_bbb,"axG",@progbits,_ZN9rocsparseL38bsrgemm_block_per_row_atomic_multipassILj256ELj32ELj8Eli21rocsparse_complex_numIfEEEv20rocsparse_direction_T3_S4_PKS4_S6_NS_24const_host_device_scalarIT4_EEPKT2_S6_PKS8_SC_S6_SE_S9_SC_S6_SE_SC_PS4_PS8_PSA_21rocsparse_index_base_SI_SI_SI_bbb,comdat
.Lfunc_end222:
	.size	_ZN9rocsparseL38bsrgemm_block_per_row_atomic_multipassILj256ELj32ELj8Eli21rocsparse_complex_numIfEEEv20rocsparse_direction_T3_S4_PKS4_S6_NS_24const_host_device_scalarIT4_EEPKT2_S6_PKS8_SC_S6_SE_S9_SC_S6_SE_SC_PS4_PS8_PSA_21rocsparse_index_base_SI_SI_SI_bbb, .Lfunc_end222-_ZN9rocsparseL38bsrgemm_block_per_row_atomic_multipassILj256ELj32ELj8Eli21rocsparse_complex_numIfEEEv20rocsparse_direction_T3_S4_PKS4_S6_NS_24const_host_device_scalarIT4_EEPKT2_S6_PKS8_SC_S6_SE_S9_SC_S6_SE_SC_PS4_PS8_PSA_21rocsparse_index_base_SI_SI_SI_bbb
                                        ; -- End function
	.section	.AMDGPU.csdata,"",@progbits
; Kernel info:
; codeLenInByte = 3708
; NumSgprs: 100
; NumVgprs: 62
; NumAgprs: 0
; TotalNumVgprs: 62
; ScratchSize: 0
; MemoryBound: 0
; FloatMode: 240
; IeeeMode: 1
; LDSByteSize: 18564 bytes/workgroup (compile time only)
; SGPRBlocks: 12
; VGPRBlocks: 7
; NumSGPRsForWavesPerEU: 100
; NumVGPRsForWavesPerEU: 62
; AccumOffset: 64
; Occupancy: 3
; WaveLimiterHint : 1
; COMPUTE_PGM_RSRC2:SCRATCH_EN: 0
; COMPUTE_PGM_RSRC2:USER_SGPR: 6
; COMPUTE_PGM_RSRC2:TRAP_HANDLER: 0
; COMPUTE_PGM_RSRC2:TGID_X_EN: 1
; COMPUTE_PGM_RSRC2:TGID_Y_EN: 0
; COMPUTE_PGM_RSRC2:TGID_Z_EN: 0
; COMPUTE_PGM_RSRC2:TIDIG_COMP_CNT: 0
; COMPUTE_PGM_RSRC3_GFX90A:ACCUM_OFFSET: 15
; COMPUTE_PGM_RSRC3_GFX90A:TG_SPLIT: 0
	.section	.text._ZN9rocsparseL31bsrgemm_block_per_row_multipassILj256ELj8ELj16Eli21rocsparse_complex_numIfEEEv20rocsparse_direction_T3_S4_PKS4_S6_NS_24const_host_device_scalarIT4_EEPKT2_S6_PKS8_SC_S6_SE_S9_SC_S6_SE_SC_PS4_PS8_PSA_21rocsparse_index_base_SI_SI_SI_bbb,"axG",@progbits,_ZN9rocsparseL31bsrgemm_block_per_row_multipassILj256ELj8ELj16Eli21rocsparse_complex_numIfEEEv20rocsparse_direction_T3_S4_PKS4_S6_NS_24const_host_device_scalarIT4_EEPKT2_S6_PKS8_SC_S6_SE_S9_SC_S6_SE_SC_PS4_PS8_PSA_21rocsparse_index_base_SI_SI_SI_bbb,comdat
	.globl	_ZN9rocsparseL31bsrgemm_block_per_row_multipassILj256ELj8ELj16Eli21rocsparse_complex_numIfEEEv20rocsparse_direction_T3_S4_PKS4_S6_NS_24const_host_device_scalarIT4_EEPKT2_S6_PKS8_SC_S6_SE_S9_SC_S6_SE_SC_PS4_PS8_PSA_21rocsparse_index_base_SI_SI_SI_bbb ; -- Begin function _ZN9rocsparseL31bsrgemm_block_per_row_multipassILj256ELj8ELj16Eli21rocsparse_complex_numIfEEEv20rocsparse_direction_T3_S4_PKS4_S6_NS_24const_host_device_scalarIT4_EEPKT2_S6_PKS8_SC_S6_SE_S9_SC_S6_SE_SC_PS4_PS8_PSA_21rocsparse_index_base_SI_SI_SI_bbb
	.p2align	8
	.type	_ZN9rocsparseL31bsrgemm_block_per_row_multipassILj256ELj8ELj16Eli21rocsparse_complex_numIfEEEv20rocsparse_direction_T3_S4_PKS4_S6_NS_24const_host_device_scalarIT4_EEPKT2_S6_PKS8_SC_S6_SE_S9_SC_S6_SE_SC_PS4_PS8_PSA_21rocsparse_index_base_SI_SI_SI_bbb,@function
_ZN9rocsparseL31bsrgemm_block_per_row_multipassILj256ELj8ELj16Eli21rocsparse_complex_numIfEEEv20rocsparse_direction_T3_S4_PKS4_S6_NS_24const_host_device_scalarIT4_EEPKT2_S6_PKS8_SC_S6_SE_S9_SC_S6_SE_SC_PS4_PS8_PSA_21rocsparse_index_base_SI_SI_SI_bbb: ; @_ZN9rocsparseL31bsrgemm_block_per_row_multipassILj256ELj8ELj16Eli21rocsparse_complex_numIfEEEv20rocsparse_direction_T3_S4_PKS4_S6_NS_24const_host_device_scalarIT4_EEPKT2_S6_PKS8_SC_S6_SE_S9_SC_S6_SE_SC_PS4_PS8_PSA_21rocsparse_index_base_SI_SI_SI_bbb
; %bb.0:
	s_load_dwordx8 s[8:15], s[4:5], 0x88
	s_load_dword s7, s[4:5], 0xa8
	s_load_dwordx8 s[16:23], s[4:5], 0x68
	s_load_dwordx8 s[24:31], s[4:5], 0x48
	s_load_dwordx4 s[44:47], s[4:5], 0x10
	s_load_dwordx8 s[36:43], s[4:5], 0x28
	s_waitcnt lgkmcnt(0)
	s_bitcmp1_b32 s7, 0
	s_cselect_b64 s[62:63], -1, 0
	s_bitcmp1_b32 s7, 16
	s_cselect_b64 s[0:1], -1, 0
	s_xor_b64 s[2:3], s[0:1], -1
	s_mov_b32 s35, 0
	s_bitcmp0_b32 s7, 0
	s_mov_b32 s34, s35
	s_cbranch_scc1 .LBB223_6
; %bb.1:
	s_load_dwordx2 s[48:49], s[4:5], 0x20
	v_cndmask_b32_e64 v1, 0, 1, s[2:3]
	v_cmp_ne_u32_e64 s[0:1], 1, v1
	s_andn2_b64 vcc, exec, s[2:3]
	s_waitcnt lgkmcnt(0)
	s_mov_b32 s34, s48
	s_cbranch_vccnz .LBB223_3
; %bb.2:
	s_load_dword s34, s[48:49], 0x0
.LBB223_3:
	s_and_b64 vcc, exec, s[0:1]
	s_cbranch_vccnz .LBB223_5
; %bb.4:
	s_load_dword s49, s[48:49], 0x4
.LBB223_5:
	s_waitcnt lgkmcnt(0)
	s_mov_b32 s35, s49
.LBB223_6:
	s_bitcmp1_b32 s7, 8
	s_mov_b32 s51, 0
	s_cselect_b64 s[48:49], -1, 0
	s_bfe_u32 s0, s7, 0x10008
	s_cmp_eq_u32 s0, 0
	s_mov_b32 s50, s51
	s_cbranch_scc1 .LBB223_12
; %bb.7:
	v_cndmask_b32_e64 v1, 0, 1, s[2:3]
	v_cmp_ne_u32_e64 s[0:1], 1, v1
	s_andn2_b64 vcc, exec, s[2:3]
	s_mov_b32 s50, s28
	s_cbranch_vccnz .LBB223_9
; %bb.8:
	s_load_dword s50, s[28:29], 0x0
.LBB223_9:
	s_and_b64 vcc, exec, s[0:1]
	s_cbranch_vccnz .LBB223_11
; %bb.10:
	s_load_dword s29, s[28:29], 0x4
.LBB223_11:
	s_waitcnt lgkmcnt(0)
	s_mov_b32 s51, s29
.LBB223_12:
	s_cmp_eq_u64 s[46:47], 0
	s_mov_b64 s[28:29], 0
	s_cbranch_scc1 .LBB223_14
; %bb.13:
	s_load_dword s0, s[44:45], 0x0
	s_mov_b32 s1, 0
	s_waitcnt lgkmcnt(0)
	s_add_i32 s0, s0, s6
	s_lshl_b64 s[0:1], s[0:1], 2
	s_add_u32 s0, s46, s0
	s_addc_u32 s1, s47, s1
	s_load_dword s6, s[0:1], 0x0
.LBB223_14:
	v_cndmask_b32_e64 v1, 0, 1, s[62:63]
	v_cmp_ne_u32_e64 s[0:1], 1, v1
	s_andn2_b64 vcc, exec, s[62:63]
	s_cbranch_vccz .LBB223_17
; %bb.15:
	s_and_b64 vcc, exec, s[0:1]
	s_mov_b64 s[2:3], 0
	s_cbranch_vccz .LBB223_18
.LBB223_16:
	s_load_dwordx4 s[44:47], s[4:5], 0x0
	s_waitcnt lgkmcnt(0)
	s_cmp_lt_i32 s45, 1
	s_cbranch_scc0 .LBB223_19
	s_branch .LBB223_106
.LBB223_17:
	s_waitcnt lgkmcnt(0)
	s_ashr_i32 s7, s6, 31
	s_lshl_b64 s[2:3], s[6:7], 3
	s_add_u32 s2, s36, s2
	s_addc_u32 s3, s37, s3
	s_load_dwordx2 s[2:3], s[2:3], 0x0
	s_waitcnt lgkmcnt(0)
	s_sub_u32 s28, s2, s12
	s_subb_u32 s29, s3, 0
	s_and_b64 vcc, exec, s[0:1]
	s_mov_b64 s[2:3], 0
	s_cbranch_vccnz .LBB223_16
.LBB223_18:
	s_waitcnt lgkmcnt(0)
	s_ashr_i32 s7, s6, 31
	s_lshl_b64 s[0:1], s[6:7], 3
	s_add_u32 s0, s36, s0
	s_addc_u32 s1, s37, s1
	s_load_dwordx2 s[0:1], s[0:1], 0x8
	s_waitcnt lgkmcnt(0)
	s_sub_u32 s2, s0, s12
	s_subb_u32 s3, s1, 0
	s_load_dwordx4 s[44:47], s[4:5], 0x0
	s_waitcnt lgkmcnt(0)
	s_cmp_lt_i32 s45, 1
	s_cbranch_scc1 .LBB223_106
.LBB223_19:
	s_ashr_i32 s7, s6, 31
	s_lshl_b64 s[6:7], s[6:7], 3
	s_add_u32 s0, s20, s6
	s_addc_u32 s1, s21, s7
	s_load_dwordx2 s[0:1], s[0:1], 0x0
	v_and_b32_e32 v7, 15, v0
	v_mov_b32_e32 v4, 0
	v_lshrrev_b32_e32 v1, 4, v0
	v_mul_lo_u32 v8, v7, s46
	v_mov_b32_e32 v9, v4
	s_waitcnt lgkmcnt(0)
	s_sub_u32 s66, s0, s14
	v_pk_mov_b32 v[2:3], s[2:3], s[2:3] op_sel:[0,1]
	v_cmp_gt_u32_e64 s[2:3], s46, v7
	v_cmp_gt_i32_e64 s[4:5], s46, v1
	v_lshlrev_b64 v[8:9], 3, v[8:9]
	s_subb_u32 s67, s1, 0
	s_and_b64 s[36:37], s[2:3], s[4:5]
	v_mov_b32_e32 v5, s19
	v_add_co_u32_e64 v6, s[2:3], s18, v8
	v_addc_co_u32_e64 v12, s[2:3], v5, v9, s[2:3]
	v_lshlrev_b32_e32 v13, 3, v1
	v_mul_lo_u32 v10, v1, s46
	v_mov_b32_e32 v11, v4
	v_add_co_u32_e64 v1, s[2:3], v6, v13
	v_addc_co_u32_e64 v6, s[2:3], 0, v12, s[2:3]
	v_lshlrev_b64 v[14:15], 3, v[10:11]
	v_add_co_u32_e64 v10, s[2:3], s18, v14
	v_addc_co_u32_e64 v5, s[2:3], v5, v15, s[2:3]
	v_lshlrev_b32_e32 v12, 3, v7
	v_add_co_u32_e64 v10, s[2:3], v10, v12
	s_cmp_eq_u32 s44, 0
	v_addc_co_u32_e64 v5, s[2:3], 0, v5, s[2:3]
	s_cselect_b64 s[2:3], -1, 0
	s_cmp_lg_u32 s44, 0
	s_cselect_b64 s[52:53], -1, 0
	s_cmp_gt_i32 s46, 0
	s_cselect_b64 s[18:19], -1, 0
	s_xor_b32 s56, s35, 0x80000000
	v_cmp_lt_i64_e32 vcc, s[28:29], v[2:3]
	s_add_u32 s30, s30, s6
	v_mov_b32_e32 v11, s9
	v_add_co_u32_e64 v16, s[4:5], s8, v8
	s_addc_u32 s31, s31, s7
	s_xor_b32 s60, s51, 0x80000000
	v_addc_co_u32_e64 v17, s[4:5], v11, v9, s[4:5]
	s_and_b64 s[62:63], s[62:63], vcc
	v_add_co_u32_e64 v39, s[4:5], v16, v13
	s_add_u32 s44, s42, 8
	s_mul_i32 s54, s46, s46
	v_addc_co_u32_e64 v40, s[4:5], 0, v17, s[4:5]
	s_addc_u32 s74, s43, 0
	s_mov_b32 s21, 0
	v_add_co_u32_e64 v16, s[4:5], s8, v14
	s_add_u32 s75, s22, -4
	s_mul_i32 s8, s29, s54
	s_mul_hi_u32 s9, s28, s54
	s_mov_b32 s55, s21
	v_addc_co_u32_e64 v11, s[4:5], v11, v15, s[4:5]
	s_addc_u32 s76, s23, -1
	v_mov_b32_e32 v17, s27
	v_add_co_u32_e32 v8, vcc, s26, v8
	s_add_i32 s9, s9, s8
	s_mul_i32 s8, s28, s54
	v_add_co_u32_e64 v41, s[4:5], v16, v12
	v_addc_co_u32_e32 v9, vcc, v9, v17, vcc
	s_lshl_b64 s[64:65], s[54:55], 3
	s_lshl_b64 s[8:9], s[8:9], 3
	v_and_b32_e32 v38, 0xf0, v0
	v_addc_co_u32_e64 v42, s[4:5], 0, v11, s[4:5]
	v_add_co_u32_e32 v8, vcc, 4, v8
	s_add_u32 s8, s40, s8
	v_or_b32_e32 v11, v38, v7
	v_cndmask_b32_e64 v5, v6, v5, s[2:3]
	v_cndmask_b32_e64 v16, v1, v10, s[2:3]
	;; [unrolled: 1-line block ×4, first 2 shown]
	v_or_b32_e32 v10, 0x400, v0
	s_movk_i32 s2, 0x700
	v_addc_co_u32_e32 v9, vcc, 0, v9, vcc
	s_addc_u32 s9, s41, s9
	v_lshlrev_b32_e32 v44, 3, v11
	v_cmp_gt_u32_e64 s[2:3], s2, v10
	v_mov_b32_e32 v11, s9
	v_add_co_u32_e32 v10, vcc, s8, v13
	v_addc_co_u32_e32 v11, vcc, 0, v11, vcc
	v_add_co_u32_e32 v12, vcc, s26, v12
	v_addc_co_u32_e32 v13, vcc, 0, v17, vcc
	v_add_co_u32_e32 v12, vcc, 4, v12
	s_mov_b32 s58, s15
	s_mov_b32 s59, s21
	s_mov_b32 s47, s21
	v_addc_co_u32_e32 v13, vcc, 0, v13, vcc
	s_lshl_b64 s[40:41], s[46:47], 3
	v_mov_b32_e32 v17, s9
	v_add_co_u32_e32 v14, vcc, s8, v14
	s_lshl_b64 s[8:9], s[58:59], 2
	s_sub_u32 s47, s16, s8
	v_addc_co_u32_e32 v15, vcc, v17, v15, vcc
	s_subb_u32 s55, s17, s9
	s_movk_i32 s4, 0x200
	s_movk_i32 s6, 0x100
	v_add_co_u32_e32 v16, vcc, 4, v16
	s_sub_u32 s59, 1, s15
	s_mov_b32 s20, s21
	s_mov_b32 s78, 8
	v_cmp_gt_u32_e64 s[0:1], 8, v0
	s_mov_b32 s33, s13
	v_lshlrev_b32_e32 v43, 3, v0
	v_cmp_gt_u32_e64 s[4:5], s4, v0
	v_cmp_gt_u32_e64 s[6:7], s6, v0
	s_mov_b32 s57, s34
	s_mov_b32 s61, s50
	v_addc_co_u32_e32 v17, vcc, 0, v5, vcc
	s_subb_u32 s77, 0, 0
	v_pk_mov_b32 v[20:21], s[66:67], s[66:67] op_sel:[0,1]
	v_pk_mov_b32 v[18:19], s[20:21], s[20:21] op_sel:[0,1]
	v_cndmask_b32_e64 v45, 0, 1, s[18:19]
	v_mov_b32_e32 v46, s41
	v_mov_b32_e32 v47, 1
	;; [unrolled: 1-line block ×3, first 2 shown]
	s_mov_b32 s41, 0
	s_branch .LBB223_22
.LBB223_20:                             ;   in Loop: Header=BB223_22 Depth=1
	s_or_b64 exec, exec, s[8:9]
.LBB223_21:                             ;   in Loop: Header=BB223_22 Depth=1
	s_min_i32 s41, s20, s45
	s_add_i32 s78, s41, 8
	s_cmp_lt_i32 s20, s45
	s_waitcnt lgkmcnt(0)
	v_pk_mov_b32 v[20:21], v[22:23], v[22:23] op_sel:[0,1]
	s_barrier
	s_barrier
	s_cbranch_scc0 .LBB223_106
.LBB223_22:                             ; =>This Loop Header: Depth=1
                                        ;     Child Loop BB223_32 Depth 2
                                        ;       Child Loop BB223_37 Depth 3
                                        ;         Child Loop BB223_46 Depth 4
                                        ;         Child Loop BB223_51 Depth 4
                                        ;     Child Loop BB223_65 Depth 2
	s_and_saveexec_b64 s[8:9], s[0:1]
	s_cbranch_execz .LBB223_24
; %bb.23:                               ;   in Loop: Header=BB223_22 Depth=1
	ds_write_b8 v0, v4 offset:16384
.LBB223_24:                             ;   in Loop: Header=BB223_22 Depth=1
	s_or_b64 exec, exec, s[8:9]
	ds_write2st64_b64 v43, v[18:19], v[18:19] offset1:4
	ds_write2st64_b64 v43, v[18:19], v[18:19] offset0:8 offset1:12
	ds_write_b64 v43, v[18:19] offset:8192
	s_and_saveexec_b64 s[8:9], s[2:3]
	s_xor_b64 s[8:9], exec, s[8:9]
	s_cbranch_execz .LBB223_30
; %bb.25:                               ;   in Loop: Header=BB223_22 Depth=1
	v_mov_b32_e32 v5, v4
	ds_write_b64 v43, v[4:5] offset:10240
	s_and_saveexec_b64 s[16:17], s[4:5]
	s_xor_b64 s[16:17], exec, s[16:17]
	s_cbranch_execz .LBB223_29
; %bb.26:                               ;   in Loop: Header=BB223_22 Depth=1
	ds_write_b64 v43, v[4:5] offset:12288
	s_and_saveexec_b64 s[18:19], s[6:7]
	s_xor_b64 s[18:19], exec, s[18:19]
	s_cbranch_execz .LBB223_28
; %bb.27:                               ;   in Loop: Header=BB223_22 Depth=1
	v_mov_b32_e32 v5, v4
	ds_write_b64 v43, v[4:5] offset:14336
.LBB223_28:                             ;   in Loop: Header=BB223_22 Depth=1
	s_or_b64 exec, exec, s[18:19]
.LBB223_29:                             ;   in Loop: Header=BB223_22 Depth=1
	s_or_b64 exec, exec, s[16:17]
.LBB223_30:                             ;   in Loop: Header=BB223_22 Depth=1
	s_or_b64 exec, exec, s[8:9]
	s_andn2_b64 vcc, exec, s[62:63]
	s_mov_b32 s20, s45
	s_waitcnt lgkmcnt(0)
	s_barrier
	s_cbranch_vccnz .LBB223_60
; %bb.31:                               ;   in Loop: Header=BB223_22 Depth=1
	s_cmp_lg_u32 s41, 0
	s_cselect_b64 s[16:17], -1, 0
	v_pk_mov_b32 v[22:23], v[14:15], v[14:15] op_sel:[0,1]
	v_pk_mov_b32 v[24:25], v[10:11], v[10:11] op_sel:[0,1]
	s_mov_b32 s79, s45
	s_mov_b64 s[18:19], s[28:29]
.LBB223_32:                             ;   Parent Loop BB223_22 Depth=1
                                        ; =>  This Loop Header: Depth=2
                                        ;       Child Loop BB223_37 Depth 3
                                        ;         Child Loop BB223_46 Depth 4
                                        ;         Child Loop BB223_51 Depth 4
	s_lshl_b64 s[8:9], s[18:19], 2
	s_add_u32 s8, s38, s8
	s_addc_u32 s9, s39, s9
	s_load_dword s8, s[8:9], 0x0
	s_and_b64 vcc, exec, s[16:17]
	s_waitcnt lgkmcnt(0)
	s_sub_i32 s8, s8, s12
	s_cbranch_vccz .LBB223_59
; %bb.33:                               ;   in Loop: Header=BB223_32 Depth=2
	s_lshl_b64 s[26:27], s[18:19], 3
	s_add_u32 s26, s10, s26
	s_addc_u32 s27, s11, s27
	global_load_dwordx2 v[26:27], v4, s[26:27]
	s_ashr_i32 s9, s8, 31
	s_waitcnt vmcnt(0)
	v_readfirstlane_b32 s26, v26
	v_readfirstlane_b32 s27, v27
	s_cbranch_execnz .LBB223_35
.LBB223_34:                             ;   in Loop: Header=BB223_32 Depth=2
	s_ashr_i32 s9, s8, 31
	s_lshl_b64 s[26:27], s[8:9], 3
	s_add_u32 s26, s42, s26
	s_addc_u32 s27, s43, s27
	s_load_dwordx2 s[26:27], s[26:27], 0x0
	s_waitcnt lgkmcnt(0)
	s_sub_u32 s26, s26, s33
	s_subb_u32 s27, s27, 0
.LBB223_35:                             ;   in Loop: Header=BB223_32 Depth=2
	s_lshl_b64 s[8:9], s[8:9], 3
	s_add_u32 s8, s44, s8
	s_addc_u32 s9, s74, s9
	s_load_dwordx2 s[8:9], s[8:9], 0x0
	s_waitcnt lgkmcnt(0)
	s_sub_u32 s8, s8, s33
	s_subb_u32 s9, s9, 0
	v_pk_mov_b32 v[26:27], s[8:9], s[8:9] op_sel:[0,1]
	v_cmp_ge_i64_e32 vcc, s[26:27], v[26:27]
	s_cbranch_vccnz .LBB223_56
; %bb.36:                               ;   in Loop: Header=BB223_32 Depth=2
	v_mov_b32_e32 v5, s26
	v_mad_u64_u32 v[26:27], s[66:67], s64, v5, v[8:9]
	s_mul_i32 s20, s65, s26
	s_mul_i32 s66, s64, s27
	s_add_i32 s20, s66, s20
	v_mad_u64_u32 v[28:29], s[66:67], s64, v5, v[12:13]
	v_add_u32_e32 v27, s20, v27
	v_add_u32_e32 v29, s20, v29
	v_pk_mov_b32 v[30:31], s[8:9], s[8:9] op_sel:[0,1]
	s_mov_b64 s[66:67], s[26:27]
.LBB223_37:                             ;   Parent Loop BB223_22 Depth=1
                                        ;     Parent Loop BB223_32 Depth=2
                                        ; =>    This Loop Header: Depth=3
                                        ;         Child Loop BB223_46 Depth 4
                                        ;         Child Loop BB223_51 Depth 4
	s_lshl_b64 s[8:9], s[66:67], 2
	s_add_u32 s8, s24, s8
	s_addc_u32 s9, s25, s9
	s_load_dword s8, s[8:9], 0x0
	s_mov_b64 s[70:71], -1
                                        ; implicit-def: $sgpr20
                                        ; implicit-def: $sgpr68_sgpr69
	s_waitcnt lgkmcnt(0)
	s_sub_i32 s80, s8, s13
	s_cmp_lt_i32 s80, s41
	s_cselect_b64 s[8:9], -1, 0
	s_cmp_ge_i32 s80, s78
	s_cselect_b64 s[72:73], -1, 0
	s_or_b64 s[8:9], s[8:9], s[72:73]
	s_and_b64 vcc, exec, s[8:9]
                                        ; implicit-def: $sgpr8_sgpr9
	s_cbranch_vccz .LBB223_41
; %bb.38:                               ;   in Loop: Header=BB223_37 Depth=3
	s_mov_b64 s[68:69], -1
	s_andn2_b64 vcc, exec, s[72:73]
	s_mov_b32 s20, s79
	s_mov_b64 s[8:9], s[26:27]
	s_cbranch_vccnz .LBB223_40
; %bb.39:                               ;   in Loop: Header=BB223_37 Depth=3
	s_min_i32 s20, s80, s79
	s_mov_b64 s[68:69], 0
	s_mov_b64 s[8:9], s[66:67]
.LBB223_40:                             ;   in Loop: Header=BB223_37 Depth=3
	s_mov_b64 s[70:71], 0
.LBB223_41:                             ;   in Loop: Header=BB223_37 Depth=3
	s_andn2_b64 vcc, exec, s[70:71]
	s_cbranch_vccnz .LBB223_54
; %bb.42:                               ;   in Loop: Header=BB223_37 Depth=3
	s_sub_i32 s20, s80, s41
	v_mov_b32_e32 v5, s20
	ds_write_b8 v5, v47 offset:16384
	s_and_saveexec_b64 s[68:69], s[36:37]
	s_cbranch_execz .LBB223_53
; %bb.43:                               ;   in Loop: Header=BB223_37 Depth=3
	s_andn2_b64 vcc, exec, s[52:53]
	v_cmp_ne_u32_e64 s[8:9], 1, v45
	s_cbranch_vccnz .LBB223_48
; %bb.44:                               ;   in Loop: Header=BB223_37 Depth=3
	v_mov_b32_e32 v33, 0
	s_and_b64 vcc, exec, s[8:9]
	v_mov_b32_e32 v32, v33
	s_cbranch_vccnz .LBB223_47
; %bb.45:                               ;   in Loop: Header=BB223_37 Depth=3
	v_mov_b32_e32 v32, 0
	v_pk_mov_b32 v[34:35], v[24:25], v[24:25] op_sel:[0,1]
	v_pk_mov_b32 v[36:37], v[26:27], v[26:27] op_sel:[0,1]
	s_mov_b32 s70, s46
	v_mov_b32_e32 v33, v32
.LBB223_46:                             ;   Parent Loop BB223_22 Depth=1
                                        ;     Parent Loop BB223_32 Depth=2
                                        ;       Parent Loop BB223_37 Depth=3
                                        ; =>      This Inner Loop Header: Depth=4
	global_load_dwordx2 v[50:51], v[36:37], off offset:-4
	global_load_dwordx2 v[52:53], v[34:35], off
	v_add_co_u32_e32 v36, vcc, 8, v36
	v_addc_co_u32_e32 v37, vcc, 0, v37, vcc
	s_add_i32 s70, s70, -1
	v_add_co_u32_e32 v34, vcc, s40, v34
	v_addc_co_u32_e32 v35, vcc, v35, v46, vcc
	s_cmp_lg_u32 s70, 0
	s_waitcnt vmcnt(0)
	v_pk_fma_f32 v[32:33], v[52:53], v[50:51], v[32:33] op_sel_hi:[1,0,1]
	v_pk_fma_f32 v[32:33], v[52:53], v[50:51], v[32:33] op_sel:[1,1,0] op_sel_hi:[0,1,1] neg_lo:[1,0,0]
	s_cbranch_scc1 .LBB223_46
.LBB223_47:                             ;   in Loop: Header=BB223_37 Depth=3
	s_cbranch_execz .LBB223_49
	s_branch .LBB223_52
.LBB223_48:                             ;   in Loop: Header=BB223_37 Depth=3
                                        ; implicit-def: $vgpr33
.LBB223_49:                             ;   in Loop: Header=BB223_37 Depth=3
	v_mov_b32_e32 v33, 0
	s_and_b64 vcc, exec, s[8:9]
	v_mov_b32_e32 v32, v33
	s_cbranch_vccnz .LBB223_52
; %bb.50:                               ;   in Loop: Header=BB223_37 Depth=3
	v_mov_b32_e32 v32, 0
	v_pk_mov_b32 v[34:35], v[22:23], v[22:23] op_sel:[0,1]
	v_pk_mov_b32 v[36:37], v[28:29], v[28:29] op_sel:[0,1]
	s_mov_b32 s8, s46
	v_mov_b32_e32 v33, v32
.LBB223_51:                             ;   Parent Loop BB223_22 Depth=1
                                        ;     Parent Loop BB223_32 Depth=2
                                        ;       Parent Loop BB223_37 Depth=3
                                        ; =>      This Inner Loop Header: Depth=4
	global_load_dwordx2 v[50:51], v[36:37], off offset:-4
	global_load_dwordx2 v[52:53], v[34:35], off
	v_add_co_u32_e32 v36, vcc, s40, v36
	v_addc_co_u32_e32 v37, vcc, v37, v46, vcc
	s_add_i32 s8, s8, -1
	v_add_co_u32_e32 v34, vcc, 8, v34
	v_addc_co_u32_e32 v35, vcc, 0, v35, vcc
	s_cmp_eq_u32 s8, 0
	s_waitcnt vmcnt(0)
	v_pk_fma_f32 v[32:33], v[52:53], v[50:51], v[32:33] op_sel_hi:[1,0,1]
	v_pk_fma_f32 v[32:33], v[52:53], v[50:51], v[32:33] op_sel:[1,1,0] op_sel_hi:[0,1,1] neg_lo:[1,0,0]
	s_cbranch_scc0 .LBB223_51
.LBB223_52:                             ;   in Loop: Header=BB223_37 Depth=3
	s_lshl_b32 s8, s20, 8
	v_or3_b32 v5, s8, v38, v7
	v_lshlrev_b32_e32 v5, 3, v5
	ds_read_b64 v[34:35], v5
	s_waitcnt lgkmcnt(0)
	v_pk_fma_f32 v[34:35], s[34:35], v[32:33], v[34:35] op_sel_hi:[1,0,1]
	v_mov_b32_e32 v32, v33
	v_pk_fma_f32 v[32:33], s[56:57], v[32:33], v[34:35] op_sel_hi:[1,0,1]
	ds_write_b64 v5, v[32:33]
.LBB223_53:                             ;   in Loop: Header=BB223_37 Depth=3
	s_or_b64 exec, exec, s[68:69]
	s_mov_b64 s[68:69], -1
	s_mov_b32 s20, s79
	s_mov_b64 s[8:9], s[26:27]
	s_waitcnt lgkmcnt(0)
	s_barrier
.LBB223_54:                             ;   in Loop: Header=BB223_37 Depth=3
	s_add_u32 s66, s66, 1
	s_addc_u32 s67, s67, 0
	v_cmp_lt_i64_e32 vcc, s[66:67], v[30:31]
	s_and_b64 s[26:27], s[68:69], vcc
	v_add_co_u32_e32 v26, vcc, s64, v26
	v_addc_co_u32_e32 v27, vcc, v27, v48, vcc
	v_add_co_u32_e32 v28, vcc, s64, v28
	v_addc_co_u32_e32 v29, vcc, v29, v48, vcc
	s_and_b64 vcc, exec, s[26:27]
	s_cbranch_vccz .LBB223_57
; %bb.55:                               ;   in Loop: Header=BB223_37 Depth=3
	s_mov_b32 s79, s20
	s_mov_b64 s[26:27], s[8:9]
	s_branch .LBB223_37
.LBB223_56:                             ;   in Loop: Header=BB223_32 Depth=2
	s_mov_b32 s20, s79
	s_mov_b64 s[8:9], s[26:27]
.LBB223_57:                             ;   in Loop: Header=BB223_32 Depth=2
	s_lshl_b64 s[26:27], s[18:19], 3
	s_add_u32 s26, s10, s26
	v_add_co_u32_e32 v24, vcc, s64, v24
	s_addc_u32 s27, s11, s27
	v_addc_co_u32_e32 v25, vcc, v25, v48, vcc
	s_add_u32 s18, s18, 1
	v_add_co_u32_e32 v22, vcc, s64, v22
	s_addc_u32 s19, s19, 0
	v_addc_co_u32_e32 v23, vcc, v23, v48, vcc
	v_cmp_lt_i64_e32 vcc, s[18:19], v[2:3]
	v_pk_mov_b32 v[26:27], s[8:9], s[8:9] op_sel:[0,1]
	global_store_dwordx2 v4, v[26:27], s[26:27]
	s_cbranch_vccz .LBB223_60
; %bb.58:                               ;   in Loop: Header=BB223_32 Depth=2
	s_mov_b32 s79, s20
	s_branch .LBB223_32
.LBB223_59:                             ;   in Loop: Header=BB223_32 Depth=2
                                        ; implicit-def: $sgpr26_sgpr27
	s_branch .LBB223_34
.LBB223_60:                             ;   in Loop: Header=BB223_22 Depth=1
	s_andn2_b64 vcc, exec, s[48:49]
	s_cbranch_vccnz .LBB223_70
; %bb.61:                               ;   in Loop: Header=BB223_22 Depth=1
	s_load_dwordx4 s[16:19], s[30:31], 0x0
	s_waitcnt lgkmcnt(0)
	v_pk_mov_b32 v[22:23], s[18:19], s[18:19] op_sel:[0,1]
	v_cmp_ge_i64_e32 vcc, s[16:17], v[22:23]
	s_cbranch_vccnz .LBB223_70
; %bb.62:                               ;   in Loop: Header=BB223_22 Depth=1
	s_sub_u32 s18, s18, s58
	s_subb_u32 s19, s19, 0
	s_sub_u32 s26, s16, s58
	s_subb_u32 s27, s17, 0
	s_lshl_b64 s[8:9], s[16:17], 2
	s_add_u32 s8, s47, s8
	s_mul_i32 s66, s65, s26
	s_mul_i32 s27, s64, s27
	s_addc_u32 s9, s55, s9
	s_add_i32 s66, s27, s66
	v_mov_b32_e32 v5, s26
	v_mad_u64_u32 v[22:23], s[26:27], s64, v5, v[16:17]
	s_add_u32 s16, s59, s16
	v_add_u32_e32 v23, s66, v23
	s_addc_u32 s17, s77, s17
	v_pk_mov_b32 v[24:25], s[18:19], s[18:19] op_sel:[0,1]
	s_branch .LBB223_65
.LBB223_63:                             ;   in Loop: Header=BB223_65 Depth=2
	s_or_b64 exec, exec, s[18:19]
	s_mov_b64 s[18:19], -1
	s_mov_b32 s66, s20
	s_waitcnt lgkmcnt(0)
	s_barrier
.LBB223_64:                             ;   in Loop: Header=BB223_65 Depth=2
	v_cmp_lt_i64_e32 vcc, s[16:17], v[24:25]
	s_and_b64 s[18:19], s[18:19], vcc
	s_add_u32 s8, s8, 4
	s_addc_u32 s9, s9, 0
	v_add_co_u32_e32 v22, vcc, s64, v22
	v_addc_co_u32_e32 v23, vcc, v23, v48, vcc
	s_add_u32 s16, s16, 1
	s_addc_u32 s17, s17, 0
	s_mov_b32 s20, s66
	s_and_b64 vcc, exec, s[18:19]
	s_cbranch_vccz .LBB223_70
.LBB223_65:                             ;   Parent Loop BB223_22 Depth=1
                                        ; =>  This Inner Loop Header: Depth=2
	s_load_dword s18, s[8:9], 0x0
                                        ; implicit-def: $sgpr66
	s_waitcnt lgkmcnt(0)
	s_sub_i32 s67, s18, s15
	s_cmp_lt_i32 s67, s41
	s_cselect_b64 s[26:27], -1, 0
	s_cmp_lt_i32 s67, s78
	s_cselect_b64 s[18:19], -1, 0
	s_cmp_ge_i32 s67, s78
	s_cselect_b64 s[68:69], -1, 0
	s_or_b64 s[68:69], s[26:27], s[68:69]
	s_mov_b64 s[26:27], -1
	s_and_b64 vcc, exec, s[68:69]
	s_cbranch_vccz .LBB223_67
; %bb.66:                               ;   in Loop: Header=BB223_65 Depth=2
	s_min_i32 s66, s67, s20
	s_and_b64 s[26:27], s[18:19], exec
	s_cselect_b32 s66, s20, s66
	s_mov_b64 s[26:27], 0
.LBB223_67:                             ;   in Loop: Header=BB223_65 Depth=2
	s_andn2_b64 vcc, exec, s[26:27]
	s_cbranch_vccnz .LBB223_64
; %bb.68:                               ;   in Loop: Header=BB223_65 Depth=2
	s_sub_i32 s26, s67, s41
	v_mov_b32_e32 v5, s26
	ds_write_b8 v5, v47 offset:16384
	s_and_saveexec_b64 s[18:19], s[36:37]
	s_cbranch_execz .LBB223_63
; %bb.69:                               ;   in Loop: Header=BB223_65 Depth=2
	global_load_dwordx2 v[26:27], v[22:23], off offset:-4
	s_lshl_b32 s26, s26, 8
	v_or3_b32 v5, s26, v38, v7
	v_lshlrev_b32_e32 v5, 3, v5
	ds_read_b64 v[28:29], v5
	s_waitcnt vmcnt(0) lgkmcnt(0)
	v_pk_fma_f32 v[28:29], s[50:51], v[26:27], v[28:29] op_sel_hi:[1,0,1]
	v_pk_fma_f32 v[26:27], s[60:61], v[26:27], v[28:29] op_sel:[0,1,0]
	ds_write_b64 v5, v[26:27]
	s_branch .LBB223_63
.LBB223_70:                             ;   in Loop: Header=BB223_22 Depth=1
	s_barrier
	ds_read_u8 v5, v4 offset:16384
	s_add_i32 s16, s41, s14
	s_mov_b32 s17, 0
	s_waitcnt lgkmcnt(0)
	v_cmp_eq_u32_e32 vcc, 0, v5
	s_cbranch_vccnz .LBB223_74
; %bb.71:                               ;   in Loop: Header=BB223_22 Depth=1
	v_lshlrev_b64 v[22:23], 2, v[20:21]
	v_mov_b32_e32 v5, s23
	v_add_co_u32_e32 v22, vcc, s22, v22
	v_addc_co_u32_e32 v23, vcc, v5, v23, vcc
	v_mov_b32_e32 v5, s16
	global_store_dword v[22:23], v5, off
	s_and_saveexec_b64 s[8:9], s[36:37]
	s_cbranch_execz .LBB223_73
; %bb.72:                               ;   in Loop: Header=BB223_22 Depth=1
	v_mad_u64_u32 v[22:23], s[18:19], v20, s54, 0
	v_mov_b32_e32 v24, v23
	v_mad_u64_u32 v[24:25], s[18:19], v21, s54, v[24:25]
	v_mov_b32_e32 v23, v24
	ds_read_b64 v[24:25], v43
	v_lshlrev_b64 v[22:23], 3, v[22:23]
	v_add_co_u32_e32 v22, vcc, v6, v22
	v_addc_co_u32_e32 v23, vcc, v1, v23, vcc
	s_waitcnt lgkmcnt(0)
	global_store_dwordx2 v[22:23], v[24:25], off
.LBB223_73:                             ;   in Loop: Header=BB223_22 Depth=1
	s_or_b64 exec, exec, s[8:9]
	s_mov_b32 s17, 1
.LBB223_74:                             ;   in Loop: Header=BB223_22 Depth=1
	ds_read_u8 v5, v4 offset:16385
	s_waitcnt lgkmcnt(0)
	v_cmp_eq_u32_e32 vcc, 0, v5
	v_add_co_u32_e64 v5, s[8:9], -1, v20
	v_addc_co_u32_e64 v24, s[8:9], -1, v21, s[8:9]
	s_cbranch_vccz .LBB223_80
; %bb.75:                               ;   in Loop: Header=BB223_22 Depth=1
	ds_read_u8 v22, v4 offset:16386
	s_waitcnt lgkmcnt(0)
	v_cmp_eq_u32_e32 vcc, 0, v22
	s_cbranch_vccz .LBB223_83
.LBB223_76:                             ;   in Loop: Header=BB223_22 Depth=1
	ds_read_u8 v22, v4 offset:16387
	s_waitcnt lgkmcnt(0)
	v_cmp_eq_u32_e32 vcc, 0, v22
	s_cbranch_vccz .LBB223_86
.LBB223_77:                             ;   in Loop: Header=BB223_22 Depth=1
	ds_read_u8 v22, v4 offset:16388
	s_waitcnt lgkmcnt(0)
	v_cmp_eq_u32_e32 vcc, 0, v22
	s_cbranch_vccz .LBB223_89
.LBB223_78:                             ;   in Loop: Header=BB223_22 Depth=1
	ds_read_u8 v22, v4 offset:16389
	s_waitcnt lgkmcnt(0)
	v_cmp_eq_u32_e32 vcc, 0, v22
	s_cbranch_vccz .LBB223_92
.LBB223_79:                             ;   in Loop: Header=BB223_22 Depth=1
	ds_read_u8 v22, v4 offset:16390
	s_waitcnt lgkmcnt(0)
	v_cmp_eq_u32_e32 vcc, 0, v22
	s_cbranch_vccz .LBB223_95
	s_branch .LBB223_98
.LBB223_80:                             ;   in Loop: Header=BB223_22 Depth=1
	s_add_i32 s17, s17, 1
	v_add_co_u32_e32 v22, vcc, s17, v20
	v_addc_co_u32_e32 v23, vcc, 0, v21, vcc
	v_lshlrev_b64 v[22:23], 2, v[22:23]
	s_add_i32 s8, s16, 1
	v_mov_b32_e32 v25, s76
	v_add_co_u32_e32 v22, vcc, s75, v22
	v_addc_co_u32_e32 v23, vcc, v25, v23, vcc
	v_mov_b32_e32 v25, s8
	global_store_dword v[22:23], v25, off
	s_and_saveexec_b64 s[8:9], s[36:37]
	s_cbranch_execz .LBB223_82
; %bb.81:                               ;   in Loop: Header=BB223_22 Depth=1
	v_mov_b32_e32 v22, s21
	v_add_co_u32_e32 v23, vcc, s17, v5
	v_addc_co_u32_e32 v25, vcc, v24, v22, vcc
	v_mad_u64_u32 v[22:23], s[18:19], v23, s54, 0
	v_mov_b32_e32 v26, v23
	v_mad_u64_u32 v[26:27], s[18:19], v25, s54, v[26:27]
	v_mov_b32_e32 v23, v26
	ds_read_b64 v[26:27], v44 offset:2048
	v_lshlrev_b64 v[22:23], 3, v[22:23]
	v_add_co_u32_e32 v22, vcc, v6, v22
	v_addc_co_u32_e32 v23, vcc, v1, v23, vcc
	s_waitcnt lgkmcnt(0)
	global_store_dwordx2 v[22:23], v[26:27], off
.LBB223_82:                             ;   in Loop: Header=BB223_22 Depth=1
	s_or_b64 exec, exec, s[8:9]
	ds_read_u8 v22, v4 offset:16386
	s_waitcnt lgkmcnt(0)
	v_cmp_eq_u32_e32 vcc, 0, v22
	s_cbranch_vccnz .LBB223_76
.LBB223_83:                             ;   in Loop: Header=BB223_22 Depth=1
	s_add_i32 s17, s17, 1
	v_add_co_u32_e32 v22, vcc, s17, v20
	v_addc_co_u32_e32 v23, vcc, 0, v21, vcc
	v_lshlrev_b64 v[22:23], 2, v[22:23]
	s_add_i32 s8, s16, 2
	v_mov_b32_e32 v25, s76
	v_add_co_u32_e32 v22, vcc, s75, v22
	v_addc_co_u32_e32 v23, vcc, v25, v23, vcc
	v_mov_b32_e32 v25, s8
	global_store_dword v[22:23], v25, off
	s_and_saveexec_b64 s[8:9], s[36:37]
	s_cbranch_execz .LBB223_85
; %bb.84:                               ;   in Loop: Header=BB223_22 Depth=1
	v_mov_b32_e32 v22, s21
	v_add_co_u32_e32 v23, vcc, s17, v5
	v_addc_co_u32_e32 v25, vcc, v24, v22, vcc
	v_mad_u64_u32 v[22:23], s[18:19], v23, s54, 0
	v_mov_b32_e32 v26, v23
	v_mad_u64_u32 v[26:27], s[18:19], v25, s54, v[26:27]
	v_mov_b32_e32 v23, v26
	ds_read_b64 v[26:27], v44 offset:4096
	v_lshlrev_b64 v[22:23], 3, v[22:23]
	v_add_co_u32_e32 v22, vcc, v6, v22
	v_addc_co_u32_e32 v23, vcc, v1, v23, vcc
	s_waitcnt lgkmcnt(0)
	global_store_dwordx2 v[22:23], v[26:27], off
.LBB223_85:                             ;   in Loop: Header=BB223_22 Depth=1
	s_or_b64 exec, exec, s[8:9]
	ds_read_u8 v22, v4 offset:16387
	s_waitcnt lgkmcnt(0)
	v_cmp_eq_u32_e32 vcc, 0, v22
	s_cbranch_vccnz .LBB223_77
.LBB223_86:                             ;   in Loop: Header=BB223_22 Depth=1
	s_add_i32 s17, s17, 1
	v_add_co_u32_e32 v22, vcc, s17, v20
	v_addc_co_u32_e32 v23, vcc, 0, v21, vcc
	v_lshlrev_b64 v[22:23], 2, v[22:23]
	s_add_i32 s8, s16, 3
	v_mov_b32_e32 v25, s76
	v_add_co_u32_e32 v22, vcc, s75, v22
	v_addc_co_u32_e32 v23, vcc, v25, v23, vcc
	v_mov_b32_e32 v25, s8
	global_store_dword v[22:23], v25, off
	s_and_saveexec_b64 s[8:9], s[36:37]
	s_cbranch_execz .LBB223_88
; %bb.87:                               ;   in Loop: Header=BB223_22 Depth=1
	v_mov_b32_e32 v22, s21
	v_add_co_u32_e32 v23, vcc, s17, v5
	v_addc_co_u32_e32 v25, vcc, v24, v22, vcc
	v_mad_u64_u32 v[22:23], s[18:19], v23, s54, 0
	v_mov_b32_e32 v26, v23
	v_mad_u64_u32 v[26:27], s[18:19], v25, s54, v[26:27]
	v_mov_b32_e32 v23, v26
	ds_read_b64 v[26:27], v44 offset:6144
	v_lshlrev_b64 v[22:23], 3, v[22:23]
	v_add_co_u32_e32 v22, vcc, v6, v22
	v_addc_co_u32_e32 v23, vcc, v1, v23, vcc
	s_waitcnt lgkmcnt(0)
	global_store_dwordx2 v[22:23], v[26:27], off
.LBB223_88:                             ;   in Loop: Header=BB223_22 Depth=1
	s_or_b64 exec, exec, s[8:9]
	ds_read_u8 v22, v4 offset:16388
	s_waitcnt lgkmcnt(0)
	v_cmp_eq_u32_e32 vcc, 0, v22
	s_cbranch_vccnz .LBB223_78
.LBB223_89:                             ;   in Loop: Header=BB223_22 Depth=1
	s_add_i32 s17, s17, 1
	v_add_co_u32_e32 v22, vcc, s17, v20
	v_addc_co_u32_e32 v23, vcc, 0, v21, vcc
	v_lshlrev_b64 v[22:23], 2, v[22:23]
	s_add_i32 s8, s16, 4
	v_mov_b32_e32 v25, s76
	v_add_co_u32_e32 v22, vcc, s75, v22
	v_addc_co_u32_e32 v23, vcc, v25, v23, vcc
	v_mov_b32_e32 v25, s8
	global_store_dword v[22:23], v25, off
	s_and_saveexec_b64 s[8:9], s[36:37]
	s_cbranch_execz .LBB223_91
; %bb.90:                               ;   in Loop: Header=BB223_22 Depth=1
	v_mov_b32_e32 v22, s21
	v_add_co_u32_e32 v23, vcc, s17, v5
	v_addc_co_u32_e32 v25, vcc, v24, v22, vcc
	v_mad_u64_u32 v[22:23], s[18:19], v23, s54, 0
	v_mov_b32_e32 v26, v23
	v_mad_u64_u32 v[26:27], s[18:19], v25, s54, v[26:27]
	v_mov_b32_e32 v23, v26
	ds_read_b64 v[26:27], v43 offset:8192
	v_lshlrev_b64 v[22:23], 3, v[22:23]
	v_add_co_u32_e32 v22, vcc, v6, v22
	v_addc_co_u32_e32 v23, vcc, v1, v23, vcc
	s_waitcnt lgkmcnt(0)
	global_store_dwordx2 v[22:23], v[26:27], off
.LBB223_91:                             ;   in Loop: Header=BB223_22 Depth=1
	s_or_b64 exec, exec, s[8:9]
	ds_read_u8 v22, v4 offset:16389
	s_waitcnt lgkmcnt(0)
	v_cmp_eq_u32_e32 vcc, 0, v22
	s_cbranch_vccnz .LBB223_79
.LBB223_92:                             ;   in Loop: Header=BB223_22 Depth=1
	s_add_i32 s17, s17, 1
	v_add_co_u32_e32 v22, vcc, s17, v20
	v_addc_co_u32_e32 v23, vcc, 0, v21, vcc
	v_lshlrev_b64 v[22:23], 2, v[22:23]
	s_add_i32 s8, s16, 5
	v_mov_b32_e32 v25, s76
	v_add_co_u32_e32 v22, vcc, s75, v22
	v_addc_co_u32_e32 v23, vcc, v25, v23, vcc
	v_mov_b32_e32 v25, s8
	global_store_dword v[22:23], v25, off
	s_and_saveexec_b64 s[8:9], s[36:37]
	s_cbranch_execz .LBB223_94
; %bb.93:                               ;   in Loop: Header=BB223_22 Depth=1
	v_mov_b32_e32 v22, s21
	v_add_co_u32_e32 v23, vcc, s17, v5
	v_addc_co_u32_e32 v25, vcc, v24, v22, vcc
	v_mad_u64_u32 v[22:23], s[18:19], v23, s54, 0
	v_mov_b32_e32 v26, v23
	v_mad_u64_u32 v[26:27], s[18:19], v25, s54, v[26:27]
	v_mov_b32_e32 v23, v26
	ds_read_b64 v[26:27], v44 offset:10240
	v_lshlrev_b64 v[22:23], 3, v[22:23]
	v_add_co_u32_e32 v22, vcc, v6, v22
	v_addc_co_u32_e32 v23, vcc, v1, v23, vcc
	s_waitcnt lgkmcnt(0)
	global_store_dwordx2 v[22:23], v[26:27], off
.LBB223_94:                             ;   in Loop: Header=BB223_22 Depth=1
	s_or_b64 exec, exec, s[8:9]
	ds_read_u8 v22, v4 offset:16390
	s_waitcnt lgkmcnt(0)
	v_cmp_eq_u32_e32 vcc, 0, v22
	s_cbranch_vccnz .LBB223_98
.LBB223_95:                             ;   in Loop: Header=BB223_22 Depth=1
	s_add_i32 s17, s17, 1
	v_add_co_u32_e32 v22, vcc, s17, v20
	v_addc_co_u32_e32 v23, vcc, 0, v21, vcc
	v_lshlrev_b64 v[22:23], 2, v[22:23]
	s_add_i32 s8, s16, 6
	v_mov_b32_e32 v25, s76
	v_add_co_u32_e32 v22, vcc, s75, v22
	v_addc_co_u32_e32 v23, vcc, v25, v23, vcc
	v_mov_b32_e32 v25, s8
	global_store_dword v[22:23], v25, off
	s_and_saveexec_b64 s[8:9], s[36:37]
	s_cbranch_execz .LBB223_97
; %bb.96:                               ;   in Loop: Header=BB223_22 Depth=1
	v_mov_b32_e32 v22, s21
	v_add_co_u32_e32 v23, vcc, s17, v5
	v_addc_co_u32_e32 v25, vcc, v24, v22, vcc
	v_mad_u64_u32 v[22:23], s[18:19], v23, s54, 0
	v_mov_b32_e32 v26, v23
	v_mad_u64_u32 v[26:27], s[18:19], v25, s54, v[26:27]
	v_mov_b32_e32 v23, v26
	ds_read_b64 v[26:27], v44 offset:12288
	v_lshlrev_b64 v[22:23], 3, v[22:23]
	v_add_co_u32_e32 v22, vcc, v6, v22
	v_addc_co_u32_e32 v23, vcc, v1, v23, vcc
	s_waitcnt lgkmcnt(0)
	global_store_dwordx2 v[22:23], v[26:27], off
.LBB223_97:                             ;   in Loop: Header=BB223_22 Depth=1
	s_or_b64 exec, exec, s[8:9]
.LBB223_98:                             ;   in Loop: Header=BB223_22 Depth=1
	ds_read_u8 v22, v4 offset:16391
	s_waitcnt lgkmcnt(0)
	v_readfirstlane_b32 s8, v22
	s_bitcmp1_b32 s8, 0
	s_cselect_b64 s[8:9], -1, 0
	s_and_b64 vcc, exec, s[8:9]
	s_cbranch_vccnz .LBB223_100
; %bb.99:                               ;   in Loop: Header=BB223_22 Depth=1
	v_add_co_u32_e32 v22, vcc, s17, v20
	v_addc_co_u32_e32 v23, vcc, 0, v21, vcc
	s_cbranch_execnz .LBB223_21
	s_branch .LBB223_101
.LBB223_100:                            ;   in Loop: Header=BB223_22 Depth=1
                                        ; implicit-def: $vgpr22_vgpr23
.LBB223_101:                            ;   in Loop: Header=BB223_22 Depth=1
	s_add_i32 s17, s17, 1
	v_add_co_u32_e32 v22, vcc, s17, v20
	v_addc_co_u32_e32 v23, vcc, 0, v21, vcc
	v_lshlrev_b64 v[20:21], 2, v[22:23]
	s_add_i32 s8, s16, 7
	v_mov_b32_e32 v25, s76
	v_add_co_u32_e32 v20, vcc, s75, v20
	v_addc_co_u32_e32 v21, vcc, v25, v21, vcc
	v_mov_b32_e32 v25, s8
	global_store_dword v[20:21], v25, off
	s_and_saveexec_b64 s[8:9], s[36:37]
	s_cbranch_execz .LBB223_20
; %bb.102:                              ;   in Loop: Header=BB223_22 Depth=1
	v_mov_b32_e32 v20, s21
	v_add_co_u32_e32 v5, vcc, s17, v5
	v_addc_co_u32_e32 v21, vcc, v24, v20, vcc
	v_mad_u64_u32 v[24:25], s[16:17], v5, s54, 0
	v_mov_b32_e32 v20, v25
	v_mad_u64_u32 v[26:27], s[16:17], v21, s54, v[20:21]
	ds_read_b64 v[20:21], v44 offset:14336
	v_mov_b32_e32 v25, v26
	s_andn2_b64 vcc, exec, s[52:53]
	v_lshlrev_b64 v[24:25], 3, v[24:25]
	s_cbranch_vccnz .LBB223_104
; %bb.103:                              ;   in Loop: Header=BB223_22 Depth=1
	v_add_co_u32_e32 v26, vcc, v39, v24
	v_addc_co_u32_e32 v27, vcc, v40, v25, vcc
	s_waitcnt lgkmcnt(0)
	global_store_dwordx2 v[26:27], v[20:21], off
	s_cbranch_execnz .LBB223_20
	s_branch .LBB223_105
.LBB223_104:                            ;   in Loop: Header=BB223_22 Depth=1
.LBB223_105:                            ;   in Loop: Header=BB223_22 Depth=1
	v_add_co_u32_e32 v24, vcc, v41, v24
	v_addc_co_u32_e32 v25, vcc, v42, v25, vcc
	s_waitcnt lgkmcnt(0)
	global_store_dwordx2 v[24:25], v[20:21], off
	s_branch .LBB223_20
.LBB223_106:
	s_endpgm
	.section	.rodata,"a",@progbits
	.p2align	6, 0x0
	.amdhsa_kernel _ZN9rocsparseL31bsrgemm_block_per_row_multipassILj256ELj8ELj16Eli21rocsparse_complex_numIfEEEv20rocsparse_direction_T3_S4_PKS4_S6_NS_24const_host_device_scalarIT4_EEPKT2_S6_PKS8_SC_S6_SE_S9_SC_S6_SE_SC_PS4_PS8_PSA_21rocsparse_index_base_SI_SI_SI_bbb
		.amdhsa_group_segment_fixed_size 16392
		.amdhsa_private_segment_fixed_size 0
		.amdhsa_kernarg_size 172
		.amdhsa_user_sgpr_count 6
		.amdhsa_user_sgpr_private_segment_buffer 1
		.amdhsa_user_sgpr_dispatch_ptr 0
		.amdhsa_user_sgpr_queue_ptr 0
		.amdhsa_user_sgpr_kernarg_segment_ptr 1
		.amdhsa_user_sgpr_dispatch_id 0
		.amdhsa_user_sgpr_flat_scratch_init 0
		.amdhsa_user_sgpr_kernarg_preload_length 0
		.amdhsa_user_sgpr_kernarg_preload_offset 0
		.amdhsa_user_sgpr_private_segment_size 0
		.amdhsa_uses_dynamic_stack 0
		.amdhsa_system_sgpr_private_segment_wavefront_offset 0
		.amdhsa_system_sgpr_workgroup_id_x 1
		.amdhsa_system_sgpr_workgroup_id_y 0
		.amdhsa_system_sgpr_workgroup_id_z 0
		.amdhsa_system_sgpr_workgroup_info 0
		.amdhsa_system_vgpr_workitem_id 0
		.amdhsa_next_free_vgpr 54
		.amdhsa_next_free_sgpr 81
		.amdhsa_accum_offset 56
		.amdhsa_reserve_vcc 1
		.amdhsa_reserve_flat_scratch 0
		.amdhsa_float_round_mode_32 0
		.amdhsa_float_round_mode_16_64 0
		.amdhsa_float_denorm_mode_32 3
		.amdhsa_float_denorm_mode_16_64 3
		.amdhsa_dx10_clamp 1
		.amdhsa_ieee_mode 1
		.amdhsa_fp16_overflow 0
		.amdhsa_tg_split 0
		.amdhsa_exception_fp_ieee_invalid_op 0
		.amdhsa_exception_fp_denorm_src 0
		.amdhsa_exception_fp_ieee_div_zero 0
		.amdhsa_exception_fp_ieee_overflow 0
		.amdhsa_exception_fp_ieee_underflow 0
		.amdhsa_exception_fp_ieee_inexact 0
		.amdhsa_exception_int_div_zero 0
	.end_amdhsa_kernel
	.section	.text._ZN9rocsparseL31bsrgemm_block_per_row_multipassILj256ELj8ELj16Eli21rocsparse_complex_numIfEEEv20rocsparse_direction_T3_S4_PKS4_S6_NS_24const_host_device_scalarIT4_EEPKT2_S6_PKS8_SC_S6_SE_S9_SC_S6_SE_SC_PS4_PS8_PSA_21rocsparse_index_base_SI_SI_SI_bbb,"axG",@progbits,_ZN9rocsparseL31bsrgemm_block_per_row_multipassILj256ELj8ELj16Eli21rocsparse_complex_numIfEEEv20rocsparse_direction_T3_S4_PKS4_S6_NS_24const_host_device_scalarIT4_EEPKT2_S6_PKS8_SC_S6_SE_S9_SC_S6_SE_SC_PS4_PS8_PSA_21rocsparse_index_base_SI_SI_SI_bbb,comdat
.Lfunc_end223:
	.size	_ZN9rocsparseL31bsrgemm_block_per_row_multipassILj256ELj8ELj16Eli21rocsparse_complex_numIfEEEv20rocsparse_direction_T3_S4_PKS4_S6_NS_24const_host_device_scalarIT4_EEPKT2_S6_PKS8_SC_S6_SE_S9_SC_S6_SE_SC_PS4_PS8_PSA_21rocsparse_index_base_SI_SI_SI_bbb, .Lfunc_end223-_ZN9rocsparseL31bsrgemm_block_per_row_multipassILj256ELj8ELj16Eli21rocsparse_complex_numIfEEEv20rocsparse_direction_T3_S4_PKS4_S6_NS_24const_host_device_scalarIT4_EEPKT2_S6_PKS8_SC_S6_SE_S9_SC_S6_SE_SC_PS4_PS8_PSA_21rocsparse_index_base_SI_SI_SI_bbb
                                        ; -- End function
	.section	.AMDGPU.csdata,"",@progbits
; Kernel info:
; codeLenInByte = 3868
; NumSgprs: 85
; NumVgprs: 54
; NumAgprs: 0
; TotalNumVgprs: 54
; ScratchSize: 0
; MemoryBound: 1
; FloatMode: 240
; IeeeMode: 1
; LDSByteSize: 16392 bytes/workgroup (compile time only)
; SGPRBlocks: 10
; VGPRBlocks: 6
; NumSGPRsForWavesPerEU: 85
; NumVGPRsForWavesPerEU: 54
; AccumOffset: 56
; Occupancy: 3
; WaveLimiterHint : 1
; COMPUTE_PGM_RSRC2:SCRATCH_EN: 0
; COMPUTE_PGM_RSRC2:USER_SGPR: 6
; COMPUTE_PGM_RSRC2:TRAP_HANDLER: 0
; COMPUTE_PGM_RSRC2:TGID_X_EN: 1
; COMPUTE_PGM_RSRC2:TGID_Y_EN: 0
; COMPUTE_PGM_RSRC2:TGID_Z_EN: 0
; COMPUTE_PGM_RSRC2:TIDIG_COMP_CNT: 0
; COMPUTE_PGM_RSRC3_GFX90A:ACCUM_OFFSET: 13
; COMPUTE_PGM_RSRC3_GFX90A:TG_SPLIT: 0
	.section	.text._ZN9rocsparseL31bsrgemm_block_per_row_multipassILj256ELj2ELj32Eli21rocsparse_complex_numIfEEEv20rocsparse_direction_T3_S4_PKS4_S6_NS_24const_host_device_scalarIT4_EEPKT2_S6_PKS8_SC_S6_SE_S9_SC_S6_SE_SC_PS4_PS8_PSA_21rocsparse_index_base_SI_SI_SI_bbb,"axG",@progbits,_ZN9rocsparseL31bsrgemm_block_per_row_multipassILj256ELj2ELj32Eli21rocsparse_complex_numIfEEEv20rocsparse_direction_T3_S4_PKS4_S6_NS_24const_host_device_scalarIT4_EEPKT2_S6_PKS8_SC_S6_SE_S9_SC_S6_SE_SC_PS4_PS8_PSA_21rocsparse_index_base_SI_SI_SI_bbb,comdat
	.globl	_ZN9rocsparseL31bsrgemm_block_per_row_multipassILj256ELj2ELj32Eli21rocsparse_complex_numIfEEEv20rocsparse_direction_T3_S4_PKS4_S6_NS_24const_host_device_scalarIT4_EEPKT2_S6_PKS8_SC_S6_SE_S9_SC_S6_SE_SC_PS4_PS8_PSA_21rocsparse_index_base_SI_SI_SI_bbb ; -- Begin function _ZN9rocsparseL31bsrgemm_block_per_row_multipassILj256ELj2ELj32Eli21rocsparse_complex_numIfEEEv20rocsparse_direction_T3_S4_PKS4_S6_NS_24const_host_device_scalarIT4_EEPKT2_S6_PKS8_SC_S6_SE_S9_SC_S6_SE_SC_PS4_PS8_PSA_21rocsparse_index_base_SI_SI_SI_bbb
	.p2align	8
	.type	_ZN9rocsparseL31bsrgemm_block_per_row_multipassILj256ELj2ELj32Eli21rocsparse_complex_numIfEEEv20rocsparse_direction_T3_S4_PKS4_S6_NS_24const_host_device_scalarIT4_EEPKT2_S6_PKS8_SC_S6_SE_S9_SC_S6_SE_SC_PS4_PS8_PSA_21rocsparse_index_base_SI_SI_SI_bbb,@function
_ZN9rocsparseL31bsrgemm_block_per_row_multipassILj256ELj2ELj32Eli21rocsparse_complex_numIfEEEv20rocsparse_direction_T3_S4_PKS4_S6_NS_24const_host_device_scalarIT4_EEPKT2_S6_PKS8_SC_S6_SE_S9_SC_S6_SE_SC_PS4_PS8_PSA_21rocsparse_index_base_SI_SI_SI_bbb: ; @_ZN9rocsparseL31bsrgemm_block_per_row_multipassILj256ELj2ELj32Eli21rocsparse_complex_numIfEEEv20rocsparse_direction_T3_S4_PKS4_S6_NS_24const_host_device_scalarIT4_EEPKT2_S6_PKS8_SC_S6_SE_S9_SC_S6_SE_SC_PS4_PS8_PSA_21rocsparse_index_base_SI_SI_SI_bbb
; %bb.0:
	s_load_dwordx8 s[12:19], s[4:5], 0x88
	s_load_dword s7, s[4:5], 0xa8
	s_load_dwordx8 s[20:27], s[4:5], 0x68
	s_load_dwordx8 s[36:43], s[4:5], 0x48
	s_load_dwordx4 s[8:11], s[4:5], 0x10
	s_load_dwordx8 s[44:51], s[4:5], 0x28
	s_waitcnt lgkmcnt(0)
	s_bitcmp1_b32 s7, 0
	s_cselect_b64 s[70:71], -1, 0
	s_bitcmp1_b32 s7, 16
	s_cselect_b64 s[0:1], -1, 0
	s_xor_b64 s[2:3], s[0:1], -1
	s_mov_b32 s35, 0
	s_bitcmp0_b32 s7, 0
	s_mov_b32 s34, s35
	s_cbranch_scc1 .LBB224_6
; %bb.1:
	s_load_dwordx2 s[28:29], s[4:5], 0x20
	v_cndmask_b32_e64 v1, 0, 1, s[2:3]
	v_cmp_ne_u32_e64 s[0:1], 1, v1
	s_andn2_b64 vcc, exec, s[2:3]
	s_waitcnt lgkmcnt(0)
	s_mov_b32 s34, s28
	s_cbranch_vccnz .LBB224_3
; %bb.2:
	s_load_dword s34, s[28:29], 0x0
.LBB224_3:
	s_and_b64 vcc, exec, s[0:1]
	s_cbranch_vccnz .LBB224_5
; %bb.4:
	s_load_dword s29, s[28:29], 0x4
.LBB224_5:
	s_waitcnt lgkmcnt(0)
	s_mov_b32 s35, s29
.LBB224_6:
	s_bitcmp1_b32 s7, 8
	s_mov_b32 s55, 0
	s_cselect_b64 s[52:53], -1, 0
	s_bfe_u32 s0, s7, 0x10008
	s_cmp_eq_u32 s0, 0
	s_mov_b32 s54, s55
	s_cbranch_scc1 .LBB224_12
; %bb.7:
	v_cndmask_b32_e64 v1, 0, 1, s[2:3]
	v_cmp_ne_u32_e64 s[0:1], 1, v1
	s_andn2_b64 vcc, exec, s[2:3]
	s_mov_b32 s54, s40
	s_cbranch_vccnz .LBB224_9
; %bb.8:
	s_load_dword s54, s[40:41], 0x0
.LBB224_9:
	s_and_b64 vcc, exec, s[0:1]
	s_cbranch_vccnz .LBB224_11
; %bb.10:
	s_load_dword s41, s[40:41], 0x4
.LBB224_11:
	s_waitcnt lgkmcnt(0)
	s_mov_b32 s55, s41
.LBB224_12:
	s_cmp_eq_u64 s[10:11], 0
	s_mov_b64 s[56:57], 0
	s_cbranch_scc1 .LBB224_14
; %bb.13:
	s_load_dword s0, s[8:9], 0x0
	s_mov_b32 s1, 0
	s_waitcnt lgkmcnt(0)
	s_add_i32 s0, s0, s6
	s_lshl_b64 s[0:1], s[0:1], 2
	s_add_u32 s0, s10, s0
	s_addc_u32 s1, s11, s1
	s_load_dword s6, s[0:1], 0x0
.LBB224_14:
	v_cndmask_b32_e64 v1, 0, 1, s[70:71]
	v_cmp_ne_u32_e64 s[0:1], 1, v1
	s_andn2_b64 vcc, exec, s[70:71]
	s_cbranch_vccz .LBB224_17
; %bb.15:
	s_and_b64 vcc, exec, s[0:1]
	s_mov_b64 s[58:59], 0
	s_cbranch_vccz .LBB224_18
.LBB224_16:
	s_load_dwordx4 s[28:31], s[4:5], 0x0
	s_waitcnt lgkmcnt(0)
	s_cmp_lt_i32 s29, 1
	s_cbranch_scc0 .LBB224_19
	s_branch .LBB224_130
.LBB224_17:
	s_waitcnt lgkmcnt(0)
	s_ashr_i32 s7, s6, 31
	s_lshl_b64 s[2:3], s[6:7], 3
	s_add_u32 s2, s44, s2
	s_addc_u32 s3, s45, s3
	s_load_dwordx2 s[2:3], s[2:3], 0x0
	s_waitcnt lgkmcnt(0)
	s_sub_u32 s56, s2, s16
	s_subb_u32 s57, s3, 0
	s_and_b64 vcc, exec, s[0:1]
	s_mov_b64 s[58:59], 0
	s_cbranch_vccnz .LBB224_16
.LBB224_18:
	s_waitcnt lgkmcnt(0)
	s_ashr_i32 s7, s6, 31
	s_lshl_b64 s[0:1], s[6:7], 3
	s_add_u32 s0, s44, s0
	s_addc_u32 s1, s45, s1
	s_load_dwordx2 s[0:1], s[0:1], 0x8
	s_waitcnt lgkmcnt(0)
	s_sub_u32 s58, s0, s16
	s_subb_u32 s59, s1, 0
	s_load_dwordx4 s[28:31], s[4:5], 0x0
	s_waitcnt lgkmcnt(0)
	s_cmp_lt_i32 s29, 1
	s_cbranch_scc1 .LBB224_130
.LBB224_19:
	s_ashr_i32 s7, s6, 31
	s_lshl_b64 s[6:7], s[6:7], 3
	s_add_u32 s0, s24, s6
	s_addc_u32 s1, s25, s7
	s_load_dwordx2 s[0:1], s[0:1], 0x0
	v_pk_mov_b32 v[4:5], s[58:59], s[58:59] op_sel:[0,1]
	v_lshrrev_b32_e32 v10, 3, v0
	v_cmp_lt_i64_e64 s[4:5], s[56:57], v[4:5]
	v_mov_b32_e32 v4, 0
	v_and_b32_e32 v2, 7, v0
	v_mul_lo_u32 v6, v10, s30
	v_mov_b32_e32 v7, v4
	v_lshlrev_b64 v[14:15], 3, v[6:7]
	v_lshlrev_b32_e32 v12, 3, v2
	v_mul_lo_u32 v8, v2, s30
	v_mov_b32_e32 v9, v4
	v_add_co_u32_e64 v1, s[2:3], v14, v12
	s_waitcnt lgkmcnt(0)
	s_sub_u32 s44, s0, s18
	v_and_b32_e32 v5, 0xf8, v0
	v_lshlrev_b64 v[6:7], 3, v[8:9]
	v_addc_co_u32_e64 v3, s[2:3], 0, v15, s[2:3]
	s_subb_u32 s45, s1, 0
	v_add_co_u32_e64 v36, s[2:3], v5, v6
	s_cmp_eq_u32 s28, 0
	v_addc_co_u32_e64 v37, s[2:3], 0, v7, s[2:3]
	s_cselect_b64 s[2:3], -1, 0
	s_cmp_lg_u32 s28, 0
	s_cselect_b64 s[10:11], -1, 0
	s_cmp_gt_i32 s30, 0
	s_cselect_b64 s[60:61], -1, 0
	s_xor_b32 s62, s35, 0x80000000
	s_add_u32 s64, s42, s6
	s_addc_u32 s65, s43, s7
	v_mov_b32_e32 v9, s13
	v_add_co_u32_e64 v63, s[6:7], s12, v5
	v_addc_co_u32_e64 v64, s[6:7], 0, v9, s[6:7]
	v_add_co_u32_e64 v65, s[6:7], s12, v14
	v_addc_co_u32_e64 v66, s[6:7], v9, v15, s[6:7]
	v_cmp_gt_i32_e32 vcc, s30, v10
	s_and_b64 s[70:71], s[70:71], s[4:5]
	v_cmp_gt_u32_e64 s[4:5], s30, v2
	v_or_b32_e32 v9, 8, v2
	s_lshl_b32 s6, s30, 3
	s_and_b64 s[72:73], vcc, s[4:5]
	v_cmp_gt_u32_e64 s[4:5], s30, v9
	v_add_u32_e32 v16, s6, v8
	v_or_b32_e32 v8, 16, v2
	v_lshlrev_b32_e32 v62, 5, v10
	s_and_b64 s[74:75], vcc, s[4:5]
	v_cmp_gt_u32_e64 s[4:5], s30, v8
	v_or_b32_e32 v10, 24, v2
	s_and_b64 s[76:77], vcc, s[4:5]
	v_cmp_gt_u32_e64 s[4:5], s30, v10
	s_xor_b32 s68, s55, 0x80000000
	s_and_b64 s[78:79], vcc, s[4:5]
	v_or_b32_e32 v8, v62, v8
	s_add_u32 s28, s50, 8
	s_mul_i32 s24, s30, s30
	v_lshlrev_b32_e32 v69, 3, v8
	v_or_b32_e32 v8, v62, v10
	s_addc_u32 s88, s51, 0
	v_lshlrev_b32_e32 v70, 3, v8
	v_or_b32_e32 v8, 0x400, v0
	s_movk_i32 s4, 0x700
	s_add_u32 s89, s26, -4
	s_mul_i32 s8, s57, s24
	s_mul_hi_u32 s9, s56, s24
	s_mov_b32 s25, 0
	v_or_b32_e32 v9, v62, v9
	v_cmp_gt_u32_e64 s[4:5], s4, v8
	s_addc_u32 s90, s27, -1
	v_mov_b32_e32 v30, s39
	v_add_co_u32_e32 v8, vcc, s38, v6
	s_add_i32 s9, s9, s8
	s_mul_i32 s8, s56, s24
	v_lshlrev_b32_e32 v68, 3, v9
	v_addc_co_u32_e32 v9, vcc, v7, v30, vcc
	s_lshl_b64 s[80:81], s[24:25], 3
	s_lshl_b64 s[8:9], s[8:9], 3
	v_add_co_u32_e32 v8, vcc, 4, v8
	s_add_u32 s8, s48, s8
	v_or_b32_e32 v11, v62, v2
	v_addc_co_u32_e32 v9, vcc, 0, v9, vcc
	s_addc_u32 s9, s49, s9
	v_lshlrev_b32_e32 v67, 3, v11
	v_mov_b32_e32 v11, s9
	v_add_co_u32_e32 v10, vcc, s8, v5
	v_addc_co_u32_e32 v11, vcc, 0, v11, vcc
	v_add_co_u32_e32 v32, vcc, s38, v12
	v_addc_co_u32_e32 v33, vcc, 0, v30, vcc
	;; [unrolled: 2-line block ×3, first 2 shown]
	v_mov_b32_e32 v17, v4
	v_mov_b32_e32 v18, s9
	v_add_co_u32_e32 v14, vcc, s8, v14
	v_add_u32_e32 v22, s6, v16
	v_addc_co_u32_e32 v15, vcc, v18, v15, vcc
	v_lshlrev_b64 v[16:17], 3, v[16:17]
	v_add_co_u32_e32 v18, vcc, s38, v16
	v_addc_co_u32_e32 v19, vcc, v17, v30, vcc
	v_add_co_u32_e32 v18, vcc, 4, v18
	v_addc_co_u32_e32 v19, vcc, 0, v19, vcc
	v_mov_b32_e32 v23, v4
	v_add_co_u32_e32 v20, vcc, 64, v32
	v_add_u32_e32 v28, s6, v22
	v_addc_co_u32_e32 v21, vcc, 0, v33, vcc
	v_lshlrev_b64 v[22:23], 3, v[22:23]
	v_add_co_u32_e32 v24, vcc, s38, v22
	v_addc_co_u32_e32 v25, vcc, v23, v30, vcc
	v_add_co_u32_e32 v24, vcc, 4, v24
	v_addc_co_u32_e32 v25, vcc, 0, v25, vcc
	s_movk_i32 s8, 0x80
	v_mov_b32_e32 v29, v4
	v_add_co_u32_e32 v26, vcc, s8, v32
	v_addc_co_u32_e32 v27, vcc, 0, v33, vcc
	v_lshlrev_b64 v[28:29], 3, v[28:29]
	v_add_co_u32_e32 v31, vcc, s38, v28
	v_addc_co_u32_e32 v34, vcc, v29, v30, vcc
	v_add_co_u32_e32 v30, vcc, 4, v31
	v_addc_co_u32_e32 v31, vcc, 0, v34, vcc
	s_movk_i32 s8, 0xc0
	v_add_co_u32_e32 v32, vcc, s8, v32
	v_addc_co_u32_e32 v33, vcc, 0, v33, vcc
	s_mov_b32 s66, s19
	s_mov_b32 s67, s25
	;; [unrolled: 1-line block ×3, first 2 shown]
	v_add_co_u32_e32 v72, vcc, v5, v16
	s_mov_b32 s8, s25
	s_mov_b32 s9, s25
	v_addc_co_u32_e32 v73, vcc, 0, v17, vcc
	v_pk_mov_b32 v[34:35], s[8:9], s[8:9] op_sel:[0,1]
	s_lshl_b64 s[38:39], s[30:31], 3
	s_lshl_b64 s[8:9], s[66:67], 2
	v_add_co_u32_e32 v74, vcc, v5, v22
	s_sub_u32 s31, s20, s8
	s_movk_i32 s12, 0x100
	v_addc_co_u32_e32 v75, vcc, 0, v23, vcc
	s_subb_u32 s67, s21, s9
	s_movk_i32 s6, 0x200
	v_cmp_gt_u32_e64 s[12:13], s12, v0
                                        ; implicit-def: $vgpr89 : SGPR spill to VGPR lane
	v_add_co_u32_e32 v76, vcc, v5, v28
	s_sub_u32 s91, 1, s19
	s_mov_b32 s93, 2
	v_cmp_gt_u32_e64 s[0:1], 2, v0
	s_mov_b32 s33, s17
	v_lshlrev_b32_e32 v71, 3, v0
	v_cmp_gt_u32_e64 s[6:7], s6, v0
	v_writelane_b32 v89, s12, 0
	s_mov_b32 s63, s34
	s_mov_b32 s69, s54
	v_addc_co_u32_e32 v77, vcc, 0, v29, vcc
	v_cndmask_b32_e64 v78, 0, 1, s[10:11]
	s_subb_u32 s92, 0, 0
	v_mov_b32_e32 v79, 1
	v_cndmask_b32_e64 v80, 0, 1, s[60:61]
	v_mov_b32_e32 v81, s39
	v_cndmask_b32_e64 v82, v37, v3, s[2:3]
	v_cndmask_b32_e64 v83, v36, v1, s[2:3]
	v_writelane_b32 v89, s13, 1
	s_branch .LBB224_22
.LBB224_20:                             ;   in Loop: Header=BB224_22 Depth=1
	s_or_b64 exec, exec, s[12:13]
.LBB224_21:                             ;   in Loop: Header=BB224_22 Depth=1
	s_min_i32 s25, s95, s29
	s_add_i32 s93, s25, 2
	s_cmp_lt_i32 s95, s29
	s_mov_b64 s[44:45], s[10:11]
	s_barrier
	s_barrier
	s_cbranch_scc0 .LBB224_130
.LBB224_22:                             ; =>This Loop Header: Depth=1
                                        ;     Child Loop BB224_32 Depth 2
                                        ;       Child Loop BB224_37 Depth 3
                                        ;         Child Loop BB224_49 Depth 4
                                        ;         Child Loop BB224_54 Depth 4
	;; [unrolled: 1-line block ×8, first 2 shown]
                                        ;     Child Loop BB224_98 Depth 2
	s_and_saveexec_b64 s[10:11], s[0:1]
	s_cbranch_execz .LBB224_24
; %bb.23:                               ;   in Loop: Header=BB224_22 Depth=1
	ds_write_b8 v0, v4 offset:16384
.LBB224_24:                             ;   in Loop: Header=BB224_22 Depth=1
	s_or_b64 exec, exec, s[10:11]
	ds_write2st64_b64 v71, v[34:35], v[34:35] offset1:4
	ds_write2st64_b64 v71, v[34:35], v[34:35] offset0:8 offset1:12
	ds_write_b64 v71, v[34:35] offset:8192
	s_and_saveexec_b64 s[8:9], s[4:5]
	s_xor_b64 s[10:11], exec, s[8:9]
	s_cbranch_execz .LBB224_30
; %bb.25:                               ;   in Loop: Header=BB224_22 Depth=1
	v_mov_b32_e32 v5, v4
	ds_write_b64 v71, v[4:5] offset:10240
	s_and_saveexec_b64 s[8:9], s[6:7]
	s_xor_b64 s[12:13], exec, s[8:9]
	s_cbranch_execz .LBB224_29
; %bb.26:                               ;   in Loop: Header=BB224_22 Depth=1
	v_readlane_b32 s20, v89, 0
	v_readlane_b32 s21, v89, 1
	ds_write_b64 v71, v[4:5] offset:12288
	s_and_saveexec_b64 s[8:9], s[20:21]
	s_xor_b64 s[20:21], exec, s[8:9]
	s_cbranch_execz .LBB224_28
; %bb.27:                               ;   in Loop: Header=BB224_22 Depth=1
	v_mov_b32_e32 v5, v4
	ds_write_b64 v71, v[4:5] offset:14336
.LBB224_28:                             ;   in Loop: Header=BB224_22 Depth=1
	s_or_b64 exec, exec, s[20:21]
.LBB224_29:                             ;   in Loop: Header=BB224_22 Depth=1
	s_or_b64 exec, exec, s[12:13]
.LBB224_30:                             ;   in Loop: Header=BB224_22 Depth=1
	s_or_b64 exec, exec, s[10:11]
	s_andn2_b64 vcc, exec, s[70:71]
	s_mov_b32 s95, s29
	s_waitcnt lgkmcnt(0)
	s_barrier
	s_cbranch_vccnz .LBB224_93
; %bb.31:                               ;   in Loop: Header=BB224_22 Depth=1
	s_cmp_lg_u32 s25, 0
	s_cselect_b64 s[20:21], -1, 0
	v_pk_mov_b32 v[36:37], v[14:15], v[14:15] op_sel:[0,1]
	v_pk_mov_b32 v[38:39], v[10:11], v[10:11] op_sel:[0,1]
	s_mov_b32 s94, s29
	s_mov_b64 s[40:41], s[56:57]
.LBB224_32:                             ;   Parent Loop BB224_22 Depth=1
                                        ; =>  This Loop Header: Depth=2
                                        ;       Child Loop BB224_37 Depth 3
                                        ;         Child Loop BB224_49 Depth 4
                                        ;         Child Loop BB224_54 Depth 4
	;; [unrolled: 1-line block ×8, first 2 shown]
	s_lshl_b64 s[8:9], s[40:41], 2
	s_add_u32 s8, s46, s8
	s_addc_u32 s9, s47, s9
	s_load_dword s8, s[8:9], 0x0
	s_and_b64 vcc, exec, s[20:21]
	s_waitcnt lgkmcnt(0)
	s_sub_i32 s10, s8, s16
	s_cbranch_vccz .LBB224_92
; %bb.33:                               ;   in Loop: Header=BB224_32 Depth=2
	s_lshl_b64 s[8:9], s[40:41], 3
	s_add_u32 s8, s14, s8
	s_addc_u32 s9, s15, s9
	global_load_dwordx2 v[40:41], v4, s[8:9]
	s_ashr_i32 s11, s10, 31
	s_waitcnt vmcnt(0)
	v_readfirstlane_b32 s48, v40
	v_readfirstlane_b32 s49, v41
	s_cbranch_execnz .LBB224_35
.LBB224_34:                             ;   in Loop: Header=BB224_32 Depth=2
	s_ashr_i32 s11, s10, 31
	s_lshl_b64 s[8:9], s[10:11], 3
	s_add_u32 s8, s50, s8
	s_addc_u32 s9, s51, s9
	s_load_dwordx2 s[8:9], s[8:9], 0x0
	s_waitcnt lgkmcnt(0)
	s_sub_u32 s48, s8, s33
	s_subb_u32 s49, s9, 0
.LBB224_35:                             ;   in Loop: Header=BB224_32 Depth=2
	s_lshl_b64 s[8:9], s[10:11], 3
	s_add_u32 s8, s28, s8
	s_addc_u32 s9, s88, s9
	s_load_dwordx2 s[8:9], s[8:9], 0x0
	s_waitcnt lgkmcnt(0)
	s_sub_u32 s42, s8, s33
	s_subb_u32 s43, s9, 0
	v_pk_mov_b32 v[40:41], s[42:43], s[42:43] op_sel:[0,1]
	v_cmp_ge_i64_e32 vcc, s[48:49], v[40:41]
	s_cbranch_vccnz .LBB224_89
; %bb.36:                               ;   in Loop: Header=BB224_32 Depth=2
	v_mov_b32_e32 v5, s48
	v_mad_u64_u32 v[40:41], s[8:9], s80, v5, v[8:9]
	s_mul_i32 s8, s81, s48
	s_mul_i32 s9, s80, s49
	s_add_i32 s10, s9, s8
	v_mad_u64_u32 v[42:43], s[8:9], s80, v5, v[12:13]
	v_mad_u64_u32 v[44:45], s[8:9], s80, v5, v[18:19]
	;; [unrolled: 1-line block ×7, first 2 shown]
	v_add_u32_e32 v41, s10, v41
	v_add_u32_e32 v43, s10, v43
	;; [unrolled: 1-line block ×8, first 2 shown]
	s_mov_b64 s[82:83], s[48:49]
.LBB224_37:                             ;   Parent Loop BB224_22 Depth=1
                                        ;     Parent Loop BB224_32 Depth=2
                                        ; =>    This Loop Header: Depth=3
                                        ;         Child Loop BB224_49 Depth 4
                                        ;         Child Loop BB224_54 Depth 4
                                        ;         Child Loop BB224_59 Depth 4
                                        ;         Child Loop BB224_64 Depth 4
                                        ;         Child Loop BB224_69 Depth 4
                                        ;         Child Loop BB224_74 Depth 4
                                        ;         Child Loop BB224_79 Depth 4
                                        ;         Child Loop BB224_84 Depth 4
	s_lshl_b64 s[8:9], s[82:83], 2
	s_add_u32 s8, s36, s8
	s_addc_u32 s9, s37, s9
	s_load_dword s8, s[8:9], 0x0
	s_mov_b64 s[84:85], -1
                                        ; implicit-def: $sgpr95
                                        ; implicit-def: $sgpr12_sgpr13
	s_waitcnt lgkmcnt(0)
	s_sub_i32 s8, s8, s17
	s_cmp_lt_i32 s8, s25
	s_cselect_b64 s[10:11], -1, 0
	s_cmp_ge_i32 s8, s93
	s_cselect_b64 s[86:87], -1, 0
	s_or_b64 s[10:11], s[10:11], s[86:87]
	s_and_b64 vcc, exec, s[10:11]
                                        ; implicit-def: $sgpr10_sgpr11
	s_cbranch_vccz .LBB224_41
; %bb.38:                               ;   in Loop: Header=BB224_37 Depth=3
	s_mov_b64 s[12:13], -1
	s_andn2_b64 vcc, exec, s[86:87]
	s_mov_b32 s95, s94
	s_mov_b64 s[10:11], s[48:49]
	s_cbranch_vccnz .LBB224_40
; %bb.39:                               ;   in Loop: Header=BB224_37 Depth=3
	s_min_i32 s95, s8, s94
	s_mov_b64 s[12:13], 0
	s_mov_b64 s[10:11], s[82:83]
.LBB224_40:                             ;   in Loop: Header=BB224_37 Depth=3
	s_mov_b64 s[84:85], 0
.LBB224_41:                             ;   in Loop: Header=BB224_37 Depth=3
	s_andn2_b64 vcc, exec, s[84:85]
	s_cbranch_vccnz .LBB224_87
; %bb.42:                               ;   in Loop: Header=BB224_37 Depth=3
	s_sub_i32 s8, s8, s25
	v_mov_b32_e32 v5, s8
	ds_write_b8 v5, v79 offset:16384
	v_lshl_or_b32 v5, s8, 10, v62
	v_cmp_ne_u32_e64 s[10:11], 1, v78
	s_and_saveexec_b64 s[84:85], s[72:73]
	s_cbranch_execnz .LBB224_46
; %bb.43:                               ;   in Loop: Header=BB224_37 Depth=3
	s_or_b64 exec, exec, s[84:85]
	s_and_saveexec_b64 s[12:13], s[74:75]
	s_cbranch_execnz .LBB224_56
.LBB224_44:                             ;   in Loop: Header=BB224_37 Depth=3
	s_or_b64 exec, exec, s[12:13]
	s_and_saveexec_b64 s[12:13], s[76:77]
	s_cbranch_execnz .LBB224_66
.LBB224_45:                             ;   in Loop: Header=BB224_37 Depth=3
	s_or_b64 exec, exec, s[12:13]
	s_and_saveexec_b64 s[12:13], s[78:79]
	s_cbranch_execnz .LBB224_76
	s_branch .LBB224_86
.LBB224_46:                             ;   in Loop: Header=BB224_37 Depth=3
	s_and_b64 vcc, exec, s[10:11]
	v_cmp_ne_u32_e64 s[12:13], 1, v80
	s_cbranch_vccnz .LBB224_51
; %bb.47:                               ;   in Loop: Header=BB224_37 Depth=3
	v_mov_b32_e32 v57, 0
	s_and_b64 vcc, exec, s[12:13]
	v_mov_b32_e32 v56, v57
	s_cbranch_vccnz .LBB224_50
; %bb.48:                               ;   in Loop: Header=BB224_37 Depth=3
	v_mov_b32_e32 v56, 0
	v_pk_mov_b32 v[58:59], v[38:39], v[38:39] op_sel:[0,1]
	v_pk_mov_b32 v[60:61], v[40:41], v[40:41] op_sel:[0,1]
	s_mov_b32 s8, s30
	v_mov_b32_e32 v57, v56
.LBB224_49:                             ;   Parent Loop BB224_22 Depth=1
                                        ;     Parent Loop BB224_32 Depth=2
                                        ;       Parent Loop BB224_37 Depth=3
                                        ; =>      This Inner Loop Header: Depth=4
	global_load_dwordx2 v[84:85], v[60:61], off offset:-4
	global_load_dwordx2 v[86:87], v[58:59], off
	v_add_co_u32_e32 v60, vcc, 8, v60
	v_addc_co_u32_e32 v61, vcc, 0, v61, vcc
	s_add_i32 s8, s8, -1
	v_add_co_u32_e32 v58, vcc, s38, v58
	v_addc_co_u32_e32 v59, vcc, v59, v81, vcc
	s_cmp_lg_u32 s8, 0
	s_waitcnt vmcnt(0)
	v_pk_fma_f32 v[56:57], v[86:87], v[84:85], v[56:57] op_sel_hi:[1,0,1]
	v_pk_fma_f32 v[56:57], v[86:87], v[84:85], v[56:57] op_sel:[1,1,0] op_sel_hi:[0,1,1] neg_lo:[1,0,0]
	s_cbranch_scc1 .LBB224_49
.LBB224_50:                             ;   in Loop: Header=BB224_37 Depth=3
	s_cbranch_execz .LBB224_52
	s_branch .LBB224_55
.LBB224_51:                             ;   in Loop: Header=BB224_37 Depth=3
                                        ; implicit-def: $vgpr57
.LBB224_52:                             ;   in Loop: Header=BB224_37 Depth=3
	v_mov_b32_e32 v57, 0
	s_and_b64 vcc, exec, s[12:13]
	v_mov_b32_e32 v56, v57
	s_cbranch_vccnz .LBB224_55
; %bb.53:                               ;   in Loop: Header=BB224_37 Depth=3
	v_mov_b32_e32 v56, 0
	v_pk_mov_b32 v[58:59], v[36:37], v[36:37] op_sel:[0,1]
	v_pk_mov_b32 v[60:61], v[42:43], v[42:43] op_sel:[0,1]
	s_mov_b32 s8, s30
	v_mov_b32_e32 v57, v56
.LBB224_54:                             ;   Parent Loop BB224_22 Depth=1
                                        ;     Parent Loop BB224_32 Depth=2
                                        ;       Parent Loop BB224_37 Depth=3
                                        ; =>      This Inner Loop Header: Depth=4
	global_load_dwordx2 v[84:85], v[60:61], off offset:-4
	global_load_dwordx2 v[86:87], v[58:59], off
	v_add_co_u32_e32 v60, vcc, s38, v60
	v_addc_co_u32_e32 v61, vcc, v61, v81, vcc
	s_add_i32 s8, s8, -1
	v_add_co_u32_e32 v58, vcc, 8, v58
	v_addc_co_u32_e32 v59, vcc, 0, v59, vcc
	s_cmp_eq_u32 s8, 0
	s_waitcnt vmcnt(0)
	v_pk_fma_f32 v[56:57], v[86:87], v[84:85], v[56:57] op_sel_hi:[1,0,1]
	v_pk_fma_f32 v[56:57], v[86:87], v[84:85], v[56:57] op_sel:[1,1,0] op_sel_hi:[0,1,1] neg_lo:[1,0,0]
	s_cbranch_scc0 .LBB224_54
.LBB224_55:                             ;   in Loop: Header=BB224_37 Depth=3
	v_or_b32_e32 v58, v5, v2
	v_lshlrev_b32_e32 v60, 3, v58
	ds_read_b64 v[58:59], v60
	s_waitcnt lgkmcnt(0)
	v_pk_fma_f32 v[58:59], s[34:35], v[56:57], v[58:59] op_sel_hi:[1,0,1]
	v_mov_b32_e32 v56, v57
	v_pk_fma_f32 v[56:57], s[62:63], v[56:57], v[58:59] op_sel_hi:[1,0,1]
	ds_write_b64 v60, v[56:57]
	s_or_b64 exec, exec, s[84:85]
	s_and_saveexec_b64 s[12:13], s[74:75]
	s_cbranch_execz .LBB224_44
.LBB224_56:                             ;   in Loop: Header=BB224_37 Depth=3
	s_and_b64 vcc, exec, s[10:11]
	s_cbranch_vccnz .LBB224_61
; %bb.57:                               ;   in Loop: Header=BB224_37 Depth=3
	v_mov_b32_e32 v57, 0
	s_andn2_b64 vcc, exec, s[60:61]
	v_mov_b32_e32 v56, v57
	s_cbranch_vccnz .LBB224_60
; %bb.58:                               ;   in Loop: Header=BB224_37 Depth=3
	v_mov_b32_e32 v56, 0
	v_pk_mov_b32 v[58:59], v[38:39], v[38:39] op_sel:[0,1]
	v_pk_mov_b32 v[60:61], v[44:45], v[44:45] op_sel:[0,1]
	s_mov_b32 s8, s30
	v_mov_b32_e32 v57, v56
.LBB224_59:                             ;   Parent Loop BB224_22 Depth=1
                                        ;     Parent Loop BB224_32 Depth=2
                                        ;       Parent Loop BB224_37 Depth=3
                                        ; =>      This Inner Loop Header: Depth=4
	global_load_dwordx2 v[84:85], v[60:61], off offset:-4
	global_load_dwordx2 v[86:87], v[58:59], off
	v_add_co_u32_e32 v60, vcc, 8, v60
	v_addc_co_u32_e32 v61, vcc, 0, v61, vcc
	s_add_i32 s8, s8, -1
	v_mov_b32_e32 v88, s39
	v_add_co_u32_e32 v58, vcc, s38, v58
	v_addc_co_u32_e32 v59, vcc, v59, v88, vcc
	s_cmp_eq_u32 s8, 0
	s_waitcnt vmcnt(0)
	v_pk_fma_f32 v[56:57], v[86:87], v[84:85], v[56:57] op_sel_hi:[1,0,1]
	v_pk_fma_f32 v[56:57], v[86:87], v[84:85], v[56:57] op_sel:[1,1,0] op_sel_hi:[0,1,1] neg_lo:[1,0,0]
	s_cbranch_scc0 .LBB224_59
.LBB224_60:                             ;   in Loop: Header=BB224_37 Depth=3
	s_cbranch_execz .LBB224_62
	s_branch .LBB224_65
.LBB224_61:                             ;   in Loop: Header=BB224_37 Depth=3
                                        ; implicit-def: $vgpr57
.LBB224_62:                             ;   in Loop: Header=BB224_37 Depth=3
	v_mov_b32_e32 v57, 0
	s_andn2_b64 vcc, exec, s[60:61]
	v_mov_b32_e32 v56, v57
	s_cbranch_vccnz .LBB224_65
; %bb.63:                               ;   in Loop: Header=BB224_37 Depth=3
	v_mov_b32_e32 v56, 0
	v_pk_mov_b32 v[58:59], v[36:37], v[36:37] op_sel:[0,1]
	v_pk_mov_b32 v[60:61], v[46:47], v[46:47] op_sel:[0,1]
	s_mov_b32 s8, s30
	v_mov_b32_e32 v57, v56
.LBB224_64:                             ;   Parent Loop BB224_22 Depth=1
                                        ;     Parent Loop BB224_32 Depth=2
                                        ;       Parent Loop BB224_37 Depth=3
                                        ; =>      This Inner Loop Header: Depth=4
	global_load_dwordx2 v[84:85], v[60:61], off
	global_load_dwordx2 v[86:87], v[58:59], off
	v_add_co_u32_e32 v58, vcc, 8, v58
	v_addc_co_u32_e32 v59, vcc, 0, v59, vcc
	s_add_i32 s8, s8, -1
	v_mov_b32_e32 v88, s39
	v_add_co_u32_e32 v60, vcc, s38, v60
	v_addc_co_u32_e32 v61, vcc, v61, v88, vcc
	s_cmp_eq_u32 s8, 0
	s_waitcnt vmcnt(0)
	v_pk_fma_f32 v[56:57], v[86:87], v[84:85], v[56:57] op_sel_hi:[1,0,1]
	v_pk_fma_f32 v[56:57], v[86:87], v[84:85], v[56:57] op_sel:[1,1,0] op_sel_hi:[0,1,1] neg_lo:[1,0,0]
	s_cbranch_scc0 .LBB224_64
.LBB224_65:                             ;   in Loop: Header=BB224_37 Depth=3
	v_add_lshl_u32 v60, v5, v2, 3
	ds_read_b64 v[58:59], v60 offset:64
	s_waitcnt lgkmcnt(0)
	v_pk_fma_f32 v[58:59], s[34:35], v[56:57], v[58:59] op_sel_hi:[1,0,1]
	v_mov_b32_e32 v56, v57
	v_pk_fma_f32 v[56:57], s[62:63], v[56:57], v[58:59] op_sel_hi:[1,0,1]
	ds_write_b64 v60, v[56:57] offset:64
	s_or_b64 exec, exec, s[12:13]
	s_and_saveexec_b64 s[12:13], s[76:77]
	s_cbranch_execz .LBB224_45
.LBB224_66:                             ;   in Loop: Header=BB224_37 Depth=3
	s_and_b64 vcc, exec, s[10:11]
	s_cbranch_vccnz .LBB224_71
; %bb.67:                               ;   in Loop: Header=BB224_37 Depth=3
	v_mov_b32_e32 v57, 0
	s_andn2_b64 vcc, exec, s[60:61]
	v_mov_b32_e32 v56, v57
	s_cbranch_vccnz .LBB224_70
; %bb.68:                               ;   in Loop: Header=BB224_37 Depth=3
	v_mov_b32_e32 v56, 0
	v_pk_mov_b32 v[58:59], v[38:39], v[38:39] op_sel:[0,1]
	v_pk_mov_b32 v[60:61], v[48:49], v[48:49] op_sel:[0,1]
	s_mov_b32 s8, s30
	v_mov_b32_e32 v57, v56
.LBB224_69:                             ;   Parent Loop BB224_22 Depth=1
                                        ;     Parent Loop BB224_32 Depth=2
                                        ;       Parent Loop BB224_37 Depth=3
                                        ; =>      This Inner Loop Header: Depth=4
	global_load_dwordx2 v[84:85], v[60:61], off offset:-4
	global_load_dwordx2 v[86:87], v[58:59], off
	v_add_co_u32_e32 v60, vcc, 8, v60
	v_addc_co_u32_e32 v61, vcc, 0, v61, vcc
	s_add_i32 s8, s8, -1
	v_mov_b32_e32 v88, s39
	v_add_co_u32_e32 v58, vcc, s38, v58
	v_addc_co_u32_e32 v59, vcc, v59, v88, vcc
	s_cmp_eq_u32 s8, 0
	s_waitcnt vmcnt(0)
	v_pk_fma_f32 v[56:57], v[86:87], v[84:85], v[56:57] op_sel_hi:[1,0,1]
	v_pk_fma_f32 v[56:57], v[86:87], v[84:85], v[56:57] op_sel:[1,1,0] op_sel_hi:[0,1,1] neg_lo:[1,0,0]
	s_cbranch_scc0 .LBB224_69
.LBB224_70:                             ;   in Loop: Header=BB224_37 Depth=3
	s_cbranch_execz .LBB224_72
	s_branch .LBB224_75
.LBB224_71:                             ;   in Loop: Header=BB224_37 Depth=3
                                        ; implicit-def: $vgpr57
.LBB224_72:                             ;   in Loop: Header=BB224_37 Depth=3
	v_mov_b32_e32 v57, 0
	s_andn2_b64 vcc, exec, s[60:61]
	v_mov_b32_e32 v56, v57
	s_cbranch_vccnz .LBB224_75
; %bb.73:                               ;   in Loop: Header=BB224_37 Depth=3
	v_mov_b32_e32 v56, 0
	v_pk_mov_b32 v[58:59], v[36:37], v[36:37] op_sel:[0,1]
	v_pk_mov_b32 v[60:61], v[50:51], v[50:51] op_sel:[0,1]
	s_mov_b32 s8, s30
	v_mov_b32_e32 v57, v56
.LBB224_74:                             ;   Parent Loop BB224_22 Depth=1
                                        ;     Parent Loop BB224_32 Depth=2
                                        ;       Parent Loop BB224_37 Depth=3
                                        ; =>      This Inner Loop Header: Depth=4
	global_load_dwordx2 v[84:85], v[60:61], off
	global_load_dwordx2 v[86:87], v[58:59], off
	v_add_co_u32_e32 v58, vcc, 8, v58
	v_addc_co_u32_e32 v59, vcc, 0, v59, vcc
	s_add_i32 s8, s8, -1
	v_mov_b32_e32 v88, s39
	v_add_co_u32_e32 v60, vcc, s38, v60
	v_addc_co_u32_e32 v61, vcc, v61, v88, vcc
	s_cmp_eq_u32 s8, 0
	s_waitcnt vmcnt(0)
	v_pk_fma_f32 v[56:57], v[86:87], v[84:85], v[56:57] op_sel_hi:[1,0,1]
	v_pk_fma_f32 v[56:57], v[86:87], v[84:85], v[56:57] op_sel:[1,1,0] op_sel_hi:[0,1,1] neg_lo:[1,0,0]
	s_cbranch_scc0 .LBB224_74
.LBB224_75:                             ;   in Loop: Header=BB224_37 Depth=3
	v_add_lshl_u32 v60, v5, v2, 3
	ds_read_b64 v[58:59], v60 offset:128
	s_waitcnt lgkmcnt(0)
	v_pk_fma_f32 v[58:59], s[34:35], v[56:57], v[58:59] op_sel_hi:[1,0,1]
	v_mov_b32_e32 v56, v57
	v_pk_fma_f32 v[56:57], s[62:63], v[56:57], v[58:59] op_sel_hi:[1,0,1]
	ds_write_b64 v60, v[56:57] offset:128
	s_or_b64 exec, exec, s[12:13]
	s_and_saveexec_b64 s[12:13], s[78:79]
	s_cbranch_execz .LBB224_86
.LBB224_76:                             ;   in Loop: Header=BB224_37 Depth=3
	s_and_b64 vcc, exec, s[10:11]
	v_cmp_ne_u32_e64 s[10:11], 1, v80
	s_cbranch_vccnz .LBB224_81
; %bb.77:                               ;   in Loop: Header=BB224_37 Depth=3
	v_mov_b32_e32 v57, 0
	s_and_b64 vcc, exec, s[10:11]
	v_mov_b32_e32 v56, v57
	s_cbranch_vccnz .LBB224_80
; %bb.78:                               ;   in Loop: Header=BB224_37 Depth=3
	v_mov_b32_e32 v56, 0
	v_pk_mov_b32 v[58:59], v[38:39], v[38:39] op_sel:[0,1]
	v_pk_mov_b32 v[60:61], v[52:53], v[52:53] op_sel:[0,1]
	s_mov_b32 s8, s30
	v_mov_b32_e32 v57, v56
.LBB224_79:                             ;   Parent Loop BB224_22 Depth=1
                                        ;     Parent Loop BB224_32 Depth=2
                                        ;       Parent Loop BB224_37 Depth=3
                                        ; =>      This Inner Loop Header: Depth=4
	global_load_dwordx2 v[84:85], v[60:61], off offset:-4
	global_load_dwordx2 v[86:87], v[58:59], off
	v_add_co_u32_e32 v60, vcc, 8, v60
	v_addc_co_u32_e32 v61, vcc, 0, v61, vcc
	s_add_i32 s8, s8, -1
	v_mov_b32_e32 v88, s39
	v_add_co_u32_e32 v58, vcc, s38, v58
	v_addc_co_u32_e32 v59, vcc, v59, v88, vcc
	s_cmp_eq_u32 s8, 0
	s_waitcnt vmcnt(0)
	v_pk_fma_f32 v[56:57], v[86:87], v[84:85], v[56:57] op_sel_hi:[1,0,1]
	v_pk_fma_f32 v[56:57], v[86:87], v[84:85], v[56:57] op_sel:[1,1,0] op_sel_hi:[0,1,1] neg_lo:[1,0,0]
	s_cbranch_scc0 .LBB224_79
.LBB224_80:                             ;   in Loop: Header=BB224_37 Depth=3
	s_cbranch_execz .LBB224_82
	s_branch .LBB224_85
.LBB224_81:                             ;   in Loop: Header=BB224_37 Depth=3
                                        ; implicit-def: $vgpr57
.LBB224_82:                             ;   in Loop: Header=BB224_37 Depth=3
	v_mov_b32_e32 v57, 0
	s_and_b64 vcc, exec, s[10:11]
	v_mov_b32_e32 v56, v57
	s_cbranch_vccnz .LBB224_85
; %bb.83:                               ;   in Loop: Header=BB224_37 Depth=3
	v_mov_b32_e32 v56, 0
	v_pk_mov_b32 v[58:59], v[36:37], v[36:37] op_sel:[0,1]
	v_pk_mov_b32 v[60:61], v[54:55], v[54:55] op_sel:[0,1]
	s_mov_b32 s8, s30
	v_mov_b32_e32 v57, v56
.LBB224_84:                             ;   Parent Loop BB224_22 Depth=1
                                        ;     Parent Loop BB224_32 Depth=2
                                        ;       Parent Loop BB224_37 Depth=3
                                        ; =>      This Inner Loop Header: Depth=4
	global_load_dwordx2 v[84:85], v[60:61], off
	global_load_dwordx2 v[86:87], v[58:59], off
	v_add_co_u32_e32 v58, vcc, 8, v58
	v_addc_co_u32_e32 v59, vcc, 0, v59, vcc
	s_add_i32 s8, s8, -1
	v_mov_b32_e32 v88, s39
	v_add_co_u32_e32 v60, vcc, s38, v60
	v_addc_co_u32_e32 v61, vcc, v61, v88, vcc
	s_cmp_eq_u32 s8, 0
	s_waitcnt vmcnt(0)
	v_pk_fma_f32 v[56:57], v[86:87], v[84:85], v[56:57] op_sel_hi:[1,0,1]
	v_pk_fma_f32 v[56:57], v[86:87], v[84:85], v[56:57] op_sel:[1,1,0] op_sel_hi:[0,1,1] neg_lo:[1,0,0]
	s_cbranch_scc0 .LBB224_84
.LBB224_85:                             ;   in Loop: Header=BB224_37 Depth=3
	v_add_lshl_u32 v5, v5, v2, 3
	ds_read_b64 v[58:59], v5 offset:192
	s_waitcnt lgkmcnt(0)
	v_pk_fma_f32 v[58:59], s[34:35], v[56:57], v[58:59] op_sel_hi:[1,0,1]
	v_mov_b32_e32 v56, v57
	v_pk_fma_f32 v[56:57], s[62:63], v[56:57], v[58:59] op_sel_hi:[1,0,1]
	ds_write_b64 v5, v[56:57] offset:192
.LBB224_86:                             ;   in Loop: Header=BB224_37 Depth=3
	s_or_b64 exec, exec, s[12:13]
	s_mov_b64 s[12:13], -1
	s_mov_b32 s95, s94
	s_mov_b64 s[10:11], s[48:49]
	s_waitcnt lgkmcnt(0)
	s_barrier
.LBB224_87:                             ;   in Loop: Header=BB224_37 Depth=3
	s_add_u32 s82, s82, 1
	s_addc_u32 s83, s83, 0
	v_pk_mov_b32 v[56:57], s[42:43], s[42:43] op_sel:[0,1]
	v_cmp_lt_i64_e32 vcc, s[82:83], v[56:57]
	s_and_b64 s[8:9], s[12:13], vcc
	v_mov_b32_e32 v5, s81
	v_add_co_u32_e32 v40, vcc, s80, v40
	v_addc_co_u32_e32 v41, vcc, v41, v5, vcc
	v_add_co_u32_e32 v42, vcc, s80, v42
	v_addc_co_u32_e32 v43, vcc, v43, v5, vcc
	v_add_co_u32_e32 v44, vcc, s80, v44
	v_addc_co_u32_e32 v45, vcc, v45, v5, vcc
	v_add_co_u32_e32 v46, vcc, s80, v46
	v_addc_co_u32_e32 v47, vcc, v47, v5, vcc
	v_add_co_u32_e32 v48, vcc, s80, v48
	v_addc_co_u32_e32 v49, vcc, v49, v5, vcc
	v_add_co_u32_e32 v50, vcc, s80, v50
	v_addc_co_u32_e32 v51, vcc, v51, v5, vcc
	v_add_co_u32_e32 v52, vcc, s80, v52
	v_addc_co_u32_e32 v53, vcc, v53, v5, vcc
	v_add_co_u32_e32 v54, vcc, s80, v54
	v_addc_co_u32_e32 v55, vcc, v55, v5, vcc
	s_and_b64 vcc, exec, s[8:9]
	s_cbranch_vccz .LBB224_90
; %bb.88:                               ;   in Loop: Header=BB224_37 Depth=3
	s_mov_b32 s94, s95
	s_mov_b64 s[48:49], s[10:11]
	s_branch .LBB224_37
.LBB224_89:                             ;   in Loop: Header=BB224_32 Depth=2
	s_mov_b32 s95, s94
	s_mov_b64 s[10:11], s[48:49]
.LBB224_90:                             ;   in Loop: Header=BB224_32 Depth=2
	s_lshl_b64 s[8:9], s[40:41], 3
	s_add_u32 s8, s14, s8
	v_mov_b32_e32 v5, s81
	v_add_co_u32_e32 v38, vcc, s80, v38
	s_addc_u32 s9, s15, s9
	v_addc_co_u32_e32 v39, vcc, v39, v5, vcc
	v_pk_mov_b32 v[40:41], s[10:11], s[10:11] op_sel:[0,1]
	s_add_u32 s40, s40, 1
	v_add_co_u32_e32 v36, vcc, s80, v36
	global_store_dwordx2 v4, v[40:41], s[8:9]
	s_addc_u32 s41, s41, 0
	v_addc_co_u32_e32 v37, vcc, v37, v5, vcc
	v_pk_mov_b32 v[40:41], s[58:59], s[58:59] op_sel:[0,1]
	v_cmp_lt_i64_e32 vcc, s[40:41], v[40:41]
	s_cbranch_vccz .LBB224_93
; %bb.91:                               ;   in Loop: Header=BB224_32 Depth=2
	s_mov_b32 s94, s95
	s_branch .LBB224_32
.LBB224_92:                             ;   in Loop: Header=BB224_32 Depth=2
                                        ; implicit-def: $sgpr48_sgpr49
	s_branch .LBB224_34
.LBB224_93:                             ;   in Loop: Header=BB224_22 Depth=1
	s_andn2_b64 vcc, exec, s[52:53]
	s_cbranch_vccnz .LBB224_109
; %bb.94:                               ;   in Loop: Header=BB224_22 Depth=1
	s_load_dwordx4 s[40:43], s[64:65], 0x0
	s_waitcnt lgkmcnt(0)
	v_pk_mov_b32 v[36:37], s[42:43], s[42:43] op_sel:[0,1]
	v_cmp_ge_i64_e32 vcc, s[40:41], v[36:37]
	s_cbranch_vccnz .LBB224_109
; %bb.95:                               ;   in Loop: Header=BB224_22 Depth=1
	s_sub_u32 s10, s42, s66
	s_subb_u32 s11, s43, 0
	s_sub_u32 s20, s40, s66
	s_subb_u32 s21, s41, 0
	s_lshl_b64 s[8:9], s[40:41], 2
	s_add_u32 s12, s31, s8
	s_addc_u32 s13, s67, s9
	s_mul_i32 s8, s80, s21
	s_mul_hi_u32 s9, s80, s20
	s_add_i32 s8, s9, s8
	s_mul_i32 s9, s81, s20
	s_add_i32 s8, s8, s9
	s_mul_i32 s9, s80, s20
	s_add_u32 s48, s22, s9
	s_addc_u32 s49, s23, s8
	s_add_u32 s20, s91, s40
	s_addc_u32 s21, s92, s41
	s_branch .LBB224_98
.LBB224_96:                             ;   in Loop: Header=BB224_98 Depth=2
	s_or_b64 exec, exec, s[40:41]
	s_mov_b64 s[40:41], -1
	s_mov_b32 s8, s95
	s_waitcnt lgkmcnt(0)
	s_barrier
.LBB224_97:                             ;   in Loop: Header=BB224_98 Depth=2
	v_pk_mov_b32 v[36:37], s[10:11], s[10:11] op_sel:[0,1]
	v_cmp_lt_i64_e32 vcc, s[20:21], v[36:37]
	s_and_b64 s[40:41], s[40:41], vcc
	s_add_u32 s12, s12, 4
	s_addc_u32 s13, s13, 0
	s_add_u32 s48, s48, s80
	s_addc_u32 s49, s49, s81
	;; [unrolled: 2-line block ×3, first 2 shown]
	s_mov_b32 s95, s8
	s_and_b64 vcc, exec, s[40:41]
	s_cbranch_vccz .LBB224_109
.LBB224_98:                             ;   Parent Loop BB224_22 Depth=1
                                        ; =>  This Inner Loop Header: Depth=2
	s_load_dword s8, s[12:13], 0x0
	s_waitcnt lgkmcnt(0)
	s_sub_i32 s9, s8, s19
	s_cmp_lt_i32 s9, s25
	s_cselect_b64 s[42:43], -1, 0
	s_cmp_lt_i32 s9, s93
	s_cselect_b64 s[40:41], -1, 0
	s_cmp_ge_i32 s9, s93
	s_cselect_b64 s[82:83], -1, 0
	s_or_b64 s[82:83], s[42:43], s[82:83]
	s_mov_b64 s[42:43], -1
	s_and_b64 vcc, exec, s[82:83]
                                        ; implicit-def: $sgpr8
	s_cbranch_vccz .LBB224_100
; %bb.99:                               ;   in Loop: Header=BB224_98 Depth=2
	s_min_i32 s8, s9, s95
	s_and_b64 s[42:43], s[40:41], exec
	s_cselect_b32 s8, s95, s8
	s_mov_b64 s[42:43], 0
.LBB224_100:                            ;   in Loop: Header=BB224_98 Depth=2
	s_andn2_b64 vcc, exec, s[42:43]
	s_cbranch_vccnz .LBB224_97
; %bb.101:                              ;   in Loop: Header=BB224_98 Depth=2
	s_sub_i32 s8, s9, s25
	v_mov_b32_e32 v5, s8
	ds_write_b8 v5, v79 offset:16384
	v_lshl_or_b32 v5, s8, 10, v62
	s_and_saveexec_b64 s[40:41], s[72:73]
	s_cbranch_execnz .LBB224_105
; %bb.102:                              ;   in Loop: Header=BB224_98 Depth=2
	s_or_b64 exec, exec, s[40:41]
	v_add_lshl_u32 v5, v5, v2, 3
	s_and_saveexec_b64 s[40:41], s[74:75]
	s_cbranch_execnz .LBB224_106
.LBB224_103:                            ;   in Loop: Header=BB224_98 Depth=2
	s_or_b64 exec, exec, s[40:41]
	s_and_saveexec_b64 s[40:41], s[76:77]
	s_cbranch_execnz .LBB224_107
.LBB224_104:                            ;   in Loop: Header=BB224_98 Depth=2
	s_or_b64 exec, exec, s[40:41]
	s_and_saveexec_b64 s[40:41], s[78:79]
	s_cbranch_execz .LBB224_96
	s_branch .LBB224_108
.LBB224_105:                            ;   in Loop: Header=BB224_98 Depth=2
	v_mov_b32_e32 v37, s49
	v_add_co_u32_e32 v36, vcc, s48, v83
	v_addc_co_u32_e32 v37, vcc, v37, v82, vcc
	global_load_dwordx2 v[36:37], v[36:37], off
	v_or_b32_e32 v38, v5, v2
	v_lshlrev_b32_e32 v40, 3, v38
	ds_read_b64 v[38:39], v40
	s_waitcnt vmcnt(0) lgkmcnt(0)
	v_pk_fma_f32 v[38:39], s[54:55], v[36:37], v[38:39] op_sel_hi:[1,0,1]
	v_pk_fma_f32 v[36:37], s[68:69], v[36:37], v[38:39] op_sel:[0,1,0]
	ds_write_b64 v40, v[36:37]
	s_or_b64 exec, exec, s[40:41]
	v_add_lshl_u32 v5, v5, v2, 3
	s_and_saveexec_b64 s[40:41], s[74:75]
	s_cbranch_execz .LBB224_103
.LBB224_106:                            ;   in Loop: Header=BB224_98 Depth=2
	v_mov_b32_e32 v36, s49
	v_add_co_u32_e32 v37, vcc, s48, v1
	v_addc_co_u32_e32 v38, vcc, v36, v3, vcc
	v_add_co_u32_e32 v39, vcc, 64, v37
	v_addc_co_u32_e32 v37, vcc, 0, v38, vcc
	;; [unrolled: 2-line block ×3, first 2 shown]
	v_cndmask_b32_e64 v37, v36, v37, s[2:3]
	v_cndmask_b32_e64 v36, v38, v39, s[2:3]
	global_load_dwordx2 v[36:37], v[36:37], off
	ds_read_b64 v[38:39], v5 offset:64
	s_waitcnt vmcnt(0) lgkmcnt(0)
	v_pk_fma_f32 v[38:39], s[54:55], v[36:37], v[38:39] op_sel_hi:[1,0,1]
	v_pk_fma_f32 v[36:37], s[68:69], v[36:37], v[38:39] op_sel:[0,1,0]
	ds_write_b64 v5, v[36:37] offset:64
	s_or_b64 exec, exec, s[40:41]
	s_and_saveexec_b64 s[40:41], s[76:77]
	s_cbranch_execz .LBB224_104
.LBB224_107:                            ;   in Loop: Header=BB224_98 Depth=2
	v_mov_b32_e32 v36, s49
	v_add_co_u32_e32 v37, vcc, s48, v1
	v_addc_co_u32_e32 v38, vcc, v36, v3, vcc
	v_add_co_u32_e32 v39, vcc, 0x80, v37
	v_addc_co_u32_e32 v37, vcc, 0, v38, vcc
	;; [unrolled: 2-line block ×3, first 2 shown]
	v_cndmask_b32_e64 v37, v36, v37, s[2:3]
	v_cndmask_b32_e64 v36, v38, v39, s[2:3]
	global_load_dwordx2 v[36:37], v[36:37], off
	ds_read_b64 v[38:39], v5 offset:128
	s_waitcnt vmcnt(0) lgkmcnt(0)
	v_pk_fma_f32 v[38:39], s[54:55], v[36:37], v[38:39] op_sel_hi:[1,0,1]
	v_pk_fma_f32 v[36:37], s[68:69], v[36:37], v[38:39] op_sel:[0,1,0]
	ds_write_b64 v5, v[36:37] offset:128
	s_or_b64 exec, exec, s[40:41]
	s_and_saveexec_b64 s[40:41], s[78:79]
	s_cbranch_execz .LBB224_96
.LBB224_108:                            ;   in Loop: Header=BB224_98 Depth=2
	v_mov_b32_e32 v36, s49
	v_add_co_u32_e32 v37, vcc, s48, v1
	v_addc_co_u32_e32 v38, vcc, v36, v3, vcc
	v_add_co_u32_e32 v39, vcc, 0xc0, v37
	v_addc_co_u32_e32 v37, vcc, 0, v38, vcc
	;; [unrolled: 2-line block ×3, first 2 shown]
	v_cndmask_b32_e64 v37, v36, v37, s[2:3]
	v_cndmask_b32_e64 v36, v38, v39, s[2:3]
	global_load_dwordx2 v[36:37], v[36:37], off
	ds_read_b64 v[38:39], v5 offset:192
	s_waitcnt vmcnt(0) lgkmcnt(0)
	v_pk_fma_f32 v[38:39], s[54:55], v[36:37], v[38:39] op_sel_hi:[1,0,1]
	v_pk_fma_f32 v[36:37], s[68:69], v[36:37], v[38:39] op_sel:[0,1,0]
	ds_write_b64 v5, v[36:37] offset:192
	s_branch .LBB224_96
.LBB224_109:                            ;   in Loop: Header=BB224_22 Depth=1
	s_barrier
	ds_read_u8 v5, v4 offset:16384
	s_add_i32 s20, s25, s18
	s_mov_b32 s8, 0
	s_waitcnt lgkmcnt(0)
	v_cmp_eq_u32_e32 vcc, 0, v5
	s_cbranch_vccnz .LBB224_116
; %bb.110:                              ;   in Loop: Header=BB224_22 Depth=1
	s_lshl_b64 s[8:9], s[44:45], 2
	s_add_u32 s8, s26, s8
	s_addc_u32 s9, s27, s9
	v_mov_b32_e32 v5, s20
	global_store_dword v4, v5, s[8:9]
	s_mul_i32 s8, s45, s24
	s_mul_hi_u32 s9, s44, s24
	s_add_i32 s9, s9, s8
	s_mul_i32 s8, s44, s24
	s_lshl_b64 s[8:9], s[8:9], 3
	v_mov_b32_e32 v38, s9
	v_add_co_u32_e32 v5, vcc, s8, v63
	v_addc_co_u32_e32 v36, vcc, v64, v38, vcc
	v_add_co_u32_e32 v37, vcc, s8, v65
	v_addc_co_u32_e32 v38, vcc, v66, v38, vcc
	s_and_saveexec_b64 s[10:11], s[72:73]
	s_cbranch_execnz .LBB224_123
; %bb.111:                              ;   in Loop: Header=BB224_22 Depth=1
	s_or_b64 exec, exec, s[10:11]
	s_and_saveexec_b64 s[10:11], s[74:75]
	s_cbranch_execnz .LBB224_124
.LBB224_112:                            ;   in Loop: Header=BB224_22 Depth=1
	s_or_b64 exec, exec, s[10:11]
	s_and_saveexec_b64 s[10:11], s[76:77]
	s_cbranch_execnz .LBB224_125
.LBB224_113:                            ;   in Loop: Header=BB224_22 Depth=1
	s_or_b64 exec, exec, s[10:11]
	s_and_saveexec_b64 s[10:11], s[78:79]
	s_cbranch_execz .LBB224_115
.LBB224_114:                            ;   in Loop: Header=BB224_22 Depth=1
	v_lshlrev_b32_e32 v39, 3, v2
	v_add_co_u32_e32 v37, vcc, v37, v39
	v_addc_co_u32_e32 v38, vcc, 0, v38, vcc
	v_add_co_u32_e32 v40, vcc, 0xc0, v37
	v_addc_co_u32_e32 v37, vcc, 0, v38, vcc
	ds_read_b64 v[38:39], v67 offset:192
	v_add_co_u32_e32 v5, vcc, v5, v28
	v_addc_co_u32_e32 v36, vcc, v36, v29, vcc
	v_cndmask_b32_e64 v37, v36, v37, s[2:3]
	v_cndmask_b32_e64 v36, v5, v40, s[2:3]
	s_waitcnt lgkmcnt(0)
	global_store_dwordx2 v[36:37], v[38:39], off
.LBB224_115:                            ;   in Loop: Header=BB224_22 Depth=1
	s_or_b64 exec, exec, s[10:11]
	s_mov_b32 s8, 1
.LBB224_116:                            ;   in Loop: Header=BB224_22 Depth=1
	ds_read_u8 v5, v4 offset:16385
	s_mov_b64 s[12:13], -1
	s_waitcnt lgkmcnt(0)
	v_readfirstlane_b32 s9, v5
	s_bitcmp1_b32 s9, 0
	s_cselect_b64 s[10:11], -1, 0
	s_and_b64 vcc, exec, s[10:11]
                                        ; implicit-def: $sgpr10_sgpr11
	s_cbranch_vccnz .LBB224_118
; %bb.117:                              ;   in Loop: Header=BB224_22 Depth=1
	s_add_u32 s10, s8, s44
	s_addc_u32 s11, 0, s45
	s_mov_b64 s[12:13], 0
.LBB224_118:                            ;   in Loop: Header=BB224_22 Depth=1
	s_andn2_b64 vcc, exec, s[12:13]
	s_cbranch_vccnz .LBB224_21
; %bb.119:                              ;   in Loop: Header=BB224_22 Depth=1
	s_add_i32 s8, s8, 1
	s_add_u32 s10, s44, s8
	s_addc_u32 s11, s45, 0
	s_add_u32 s12, s10, -1
	s_addc_u32 s13, s11, -1
	s_add_i32 s20, s20, 1
	s_lshl_b64 s[8:9], s[10:11], 2
	s_add_u32 s8, s89, s8
	s_addc_u32 s9, s90, s9
	v_mov_b32_e32 v5, s20
	global_store_dword v4, v5, s[8:9]
	s_mul_i32 s13, s13, s24
	s_mul_hi_u32 s8, s12, s24
	s_add_i32 s9, s8, s13
	s_mul_i32 s8, s12, s24
	s_lshl_b64 s[8:9], s[8:9], 3
	v_mov_b32_e32 v38, s9
	v_add_co_u32_e32 v5, vcc, s8, v63
	v_addc_co_u32_e32 v36, vcc, v64, v38, vcc
	v_add_co_u32_e32 v37, vcc, s8, v65
	v_addc_co_u32_e32 v38, vcc, v66, v38, vcc
	v_lshlrev_b32_e32 v39, 3, v2
	s_and_saveexec_b64 s[12:13], s[72:73]
	s_cbranch_execnz .LBB224_126
; %bb.120:                              ;   in Loop: Header=BB224_22 Depth=1
	s_or_b64 exec, exec, s[12:13]
	s_and_saveexec_b64 s[12:13], s[74:75]
	s_cbranch_execnz .LBB224_127
.LBB224_121:                            ;   in Loop: Header=BB224_22 Depth=1
	s_or_b64 exec, exec, s[12:13]
	s_and_saveexec_b64 s[12:13], s[76:77]
	s_cbranch_execnz .LBB224_128
.LBB224_122:                            ;   in Loop: Header=BB224_22 Depth=1
	s_or_b64 exec, exec, s[12:13]
	s_and_saveexec_b64 s[12:13], s[78:79]
	s_cbranch_execz .LBB224_20
	s_branch .LBB224_129
.LBB224_123:                            ;   in Loop: Header=BB224_22 Depth=1
	v_lshlrev_b32_e32 v39, 3, v2
	v_add_co_u32_e32 v39, vcc, v37, v39
	ds_read_b64 v[40:41], v67
	v_addc_co_u32_e32 v42, vcc, 0, v38, vcc
	v_add_co_u32_e32 v44, vcc, v5, v6
	v_addc_co_u32_e32 v43, vcc, v36, v7, vcc
	v_cndmask_b32_e64 v43, v43, v42, s[2:3]
	v_cndmask_b32_e64 v42, v44, v39, s[2:3]
	s_waitcnt lgkmcnt(0)
	global_store_dwordx2 v[42:43], v[40:41], off
	s_or_b64 exec, exec, s[10:11]
	s_and_saveexec_b64 s[10:11], s[74:75]
	s_cbranch_execz .LBB224_112
.LBB224_124:                            ;   in Loop: Header=BB224_22 Depth=1
	v_lshlrev_b32_e32 v39, 3, v2
	v_add_co_u32_e32 v39, vcc, v37, v39
	v_addc_co_u32_e32 v40, vcc, 0, v38, vcc
	v_add_co_u32_e32 v39, vcc, 64, v39
	v_addc_co_u32_e32 v42, vcc, 0, v40, vcc
	ds_read_b64 v[40:41], v67 offset:64
	v_add_co_u32_e32 v44, vcc, v5, v16
	v_addc_co_u32_e32 v43, vcc, v36, v17, vcc
	v_cndmask_b32_e64 v43, v43, v42, s[2:3]
	v_cndmask_b32_e64 v42, v44, v39, s[2:3]
	s_waitcnt lgkmcnt(0)
	global_store_dwordx2 v[42:43], v[40:41], off
	s_or_b64 exec, exec, s[10:11]
	s_and_saveexec_b64 s[10:11], s[76:77]
	s_cbranch_execz .LBB224_113
.LBB224_125:                            ;   in Loop: Header=BB224_22 Depth=1
	v_lshlrev_b32_e32 v39, 3, v2
	v_add_co_u32_e32 v39, vcc, v37, v39
	v_addc_co_u32_e32 v40, vcc, 0, v38, vcc
	v_add_co_u32_e32 v39, vcc, 0x80, v39
	v_addc_co_u32_e32 v42, vcc, 0, v40, vcc
	ds_read_b64 v[40:41], v67 offset:128
	v_add_co_u32_e32 v44, vcc, v5, v22
	v_addc_co_u32_e32 v43, vcc, v36, v23, vcc
	v_cndmask_b32_e64 v43, v43, v42, s[2:3]
	v_cndmask_b32_e64 v42, v44, v39, s[2:3]
	s_waitcnt lgkmcnt(0)
	global_store_dwordx2 v[42:43], v[40:41], off
	s_or_b64 exec, exec, s[10:11]
	s_and_saveexec_b64 s[10:11], s[78:79]
	s_cbranch_execnz .LBB224_114
	s_branch .LBB224_115
.LBB224_126:                            ;   in Loop: Header=BB224_22 Depth=1
	v_add_co_u32_e32 v42, vcc, v37, v39
	ds_read_b64 v[40:41], v67 offset:8192
	v_addc_co_u32_e32 v43, vcc, 0, v38, vcc
	v_add_co_u32_e32 v44, vcc, v5, v6
	v_addc_co_u32_e32 v45, vcc, v36, v7, vcc
	v_cndmask_b32_e64 v43, v45, v43, s[2:3]
	v_cndmask_b32_e64 v42, v44, v42, s[2:3]
	s_waitcnt lgkmcnt(0)
	global_store_dwordx2 v[42:43], v[40:41], off
	s_or_b64 exec, exec, s[12:13]
	s_and_saveexec_b64 s[12:13], s[74:75]
	s_cbranch_execz .LBB224_121
.LBB224_127:                            ;   in Loop: Header=BB224_22 Depth=1
	v_add_co_u32_e32 v40, vcc, v37, v39
	v_addc_co_u32_e32 v41, vcc, 0, v38, vcc
	v_add_co_u32_e32 v42, vcc, 64, v40
	v_addc_co_u32_e32 v43, vcc, 0, v41, vcc
	ds_read_b64 v[40:41], v68 offset:8192
	v_add_co_u32_e32 v44, vcc, v5, v16
	v_addc_co_u32_e32 v45, vcc, v36, v17, vcc
	v_cndmask_b32_e64 v43, v45, v43, s[2:3]
	v_cndmask_b32_e64 v42, v44, v42, s[2:3]
	s_waitcnt lgkmcnt(0)
	global_store_dwordx2 v[42:43], v[40:41], off
	s_or_b64 exec, exec, s[12:13]
	s_and_saveexec_b64 s[12:13], s[76:77]
	s_cbranch_execz .LBB224_122
.LBB224_128:                            ;   in Loop: Header=BB224_22 Depth=1
	v_add_co_u32_e32 v40, vcc, v37, v39
	v_addc_co_u32_e32 v41, vcc, 0, v38, vcc
	v_add_co_u32_e32 v42, vcc, 0x80, v40
	v_addc_co_u32_e32 v43, vcc, 0, v41, vcc
	ds_read_b64 v[40:41], v69 offset:8192
	v_add_co_u32_e32 v44, vcc, v5, v22
	v_addc_co_u32_e32 v45, vcc, v36, v23, vcc
	v_cndmask_b32_e64 v43, v45, v43, s[2:3]
	v_cndmask_b32_e64 v42, v44, v42, s[2:3]
	s_waitcnt lgkmcnt(0)
	global_store_dwordx2 v[42:43], v[40:41], off
	s_or_b64 exec, exec, s[12:13]
	s_and_saveexec_b64 s[12:13], s[78:79]
	s_cbranch_execz .LBB224_20
.LBB224_129:                            ;   in Loop: Header=BB224_22 Depth=1
	v_add_co_u32_e32 v37, vcc, v37, v39
	v_addc_co_u32_e32 v38, vcc, 0, v38, vcc
	v_add_co_u32_e32 v40, vcc, 0xc0, v37
	v_addc_co_u32_e32 v37, vcc, 0, v38, vcc
	ds_read_b64 v[38:39], v70 offset:8192
	v_add_co_u32_e32 v5, vcc, v5, v28
	v_addc_co_u32_e32 v36, vcc, v36, v29, vcc
	v_cndmask_b32_e64 v37, v36, v37, s[2:3]
	v_cndmask_b32_e64 v36, v5, v40, s[2:3]
	s_waitcnt lgkmcnt(0)
	global_store_dwordx2 v[36:37], v[38:39], off
	s_branch .LBB224_20
.LBB224_130:
	s_endpgm
	.section	.rodata,"a",@progbits
	.p2align	6, 0x0
	.amdhsa_kernel _ZN9rocsparseL31bsrgemm_block_per_row_multipassILj256ELj2ELj32Eli21rocsparse_complex_numIfEEEv20rocsparse_direction_T3_S4_PKS4_S6_NS_24const_host_device_scalarIT4_EEPKT2_S6_PKS8_SC_S6_SE_S9_SC_S6_SE_SC_PS4_PS8_PSA_21rocsparse_index_base_SI_SI_SI_bbb
		.amdhsa_group_segment_fixed_size 16388
		.amdhsa_private_segment_fixed_size 0
		.amdhsa_kernarg_size 172
		.amdhsa_user_sgpr_count 6
		.amdhsa_user_sgpr_private_segment_buffer 1
		.amdhsa_user_sgpr_dispatch_ptr 0
		.amdhsa_user_sgpr_queue_ptr 0
		.amdhsa_user_sgpr_kernarg_segment_ptr 1
		.amdhsa_user_sgpr_dispatch_id 0
		.amdhsa_user_sgpr_flat_scratch_init 0
		.amdhsa_user_sgpr_kernarg_preload_length 0
		.amdhsa_user_sgpr_kernarg_preload_offset 0
		.amdhsa_user_sgpr_private_segment_size 0
		.amdhsa_uses_dynamic_stack 0
		.amdhsa_system_sgpr_private_segment_wavefront_offset 0
		.amdhsa_system_sgpr_workgroup_id_x 1
		.amdhsa_system_sgpr_workgroup_id_y 0
		.amdhsa_system_sgpr_workgroup_id_z 0
		.amdhsa_system_sgpr_workgroup_info 0
		.amdhsa_system_vgpr_workitem_id 0
		.amdhsa_next_free_vgpr 90
		.amdhsa_next_free_sgpr 96
		.amdhsa_accum_offset 92
		.amdhsa_reserve_vcc 1
		.amdhsa_reserve_flat_scratch 0
		.amdhsa_float_round_mode_32 0
		.amdhsa_float_round_mode_16_64 0
		.amdhsa_float_denorm_mode_32 3
		.amdhsa_float_denorm_mode_16_64 3
		.amdhsa_dx10_clamp 1
		.amdhsa_ieee_mode 1
		.amdhsa_fp16_overflow 0
		.amdhsa_tg_split 0
		.amdhsa_exception_fp_ieee_invalid_op 0
		.amdhsa_exception_fp_denorm_src 0
		.amdhsa_exception_fp_ieee_div_zero 0
		.amdhsa_exception_fp_ieee_overflow 0
		.amdhsa_exception_fp_ieee_underflow 0
		.amdhsa_exception_fp_ieee_inexact 0
		.amdhsa_exception_int_div_zero 0
	.end_amdhsa_kernel
	.section	.text._ZN9rocsparseL31bsrgemm_block_per_row_multipassILj256ELj2ELj32Eli21rocsparse_complex_numIfEEEv20rocsparse_direction_T3_S4_PKS4_S6_NS_24const_host_device_scalarIT4_EEPKT2_S6_PKS8_SC_S6_SE_S9_SC_S6_SE_SC_PS4_PS8_PSA_21rocsparse_index_base_SI_SI_SI_bbb,"axG",@progbits,_ZN9rocsparseL31bsrgemm_block_per_row_multipassILj256ELj2ELj32Eli21rocsparse_complex_numIfEEEv20rocsparse_direction_T3_S4_PKS4_S6_NS_24const_host_device_scalarIT4_EEPKT2_S6_PKS8_SC_S6_SE_S9_SC_S6_SE_SC_PS4_PS8_PSA_21rocsparse_index_base_SI_SI_SI_bbb,comdat
.Lfunc_end224:
	.size	_ZN9rocsparseL31bsrgemm_block_per_row_multipassILj256ELj2ELj32Eli21rocsparse_complex_numIfEEEv20rocsparse_direction_T3_S4_PKS4_S6_NS_24const_host_device_scalarIT4_EEPKT2_S6_PKS8_SC_S6_SE_S9_SC_S6_SE_SC_PS4_PS8_PSA_21rocsparse_index_base_SI_SI_SI_bbb, .Lfunc_end224-_ZN9rocsparseL31bsrgemm_block_per_row_multipassILj256ELj2ELj32Eli21rocsparse_complex_numIfEEEv20rocsparse_direction_T3_S4_PKS4_S6_NS_24const_host_device_scalarIT4_EEPKT2_S6_PKS8_SC_S6_SE_S9_SC_S6_SE_SC_PS4_PS8_PSA_21rocsparse_index_base_SI_SI_SI_bbb
                                        ; -- End function
	.section	.AMDGPU.csdata,"",@progbits
; Kernel info:
; codeLenInByte = 5024
; NumSgprs: 100
; NumVgprs: 90
; NumAgprs: 0
; TotalNumVgprs: 90
; ScratchSize: 0
; MemoryBound: 1
; FloatMode: 240
; IeeeMode: 1
; LDSByteSize: 16388 bytes/workgroup (compile time only)
; SGPRBlocks: 12
; VGPRBlocks: 11
; NumSGPRsForWavesPerEU: 100
; NumVGPRsForWavesPerEU: 90
; AccumOffset: 92
; Occupancy: 3
; WaveLimiterHint : 1
; COMPUTE_PGM_RSRC2:SCRATCH_EN: 0
; COMPUTE_PGM_RSRC2:USER_SGPR: 6
; COMPUTE_PGM_RSRC2:TRAP_HANDLER: 0
; COMPUTE_PGM_RSRC2:TGID_X_EN: 1
; COMPUTE_PGM_RSRC2:TGID_Y_EN: 0
; COMPUTE_PGM_RSRC2:TGID_Z_EN: 0
; COMPUTE_PGM_RSRC2:TIDIG_COMP_CNT: 0
; COMPUTE_PGM_RSRC3_GFX90A:ACCUM_OFFSET: 22
; COMPUTE_PGM_RSRC3_GFX90A:TG_SPLIT: 0
	.section	.text._ZN9rocsparseL26bsrgemm_group_reduce_part2ILj256ELj8ELj2E21rocsparse_complex_numIdEliEEvT4_PKT3_PS3_Pi,"axG",@progbits,_ZN9rocsparseL26bsrgemm_group_reduce_part2ILj256ELj8ELj2E21rocsparse_complex_numIdEliEEvT4_PKT3_PS3_Pi,comdat
	.globl	_ZN9rocsparseL26bsrgemm_group_reduce_part2ILj256ELj8ELj2E21rocsparse_complex_numIdEliEEvT4_PKT3_PS3_Pi ; -- Begin function _ZN9rocsparseL26bsrgemm_group_reduce_part2ILj256ELj8ELj2E21rocsparse_complex_numIdEliEEvT4_PKT3_PS3_Pi
	.p2align	8
	.type	_ZN9rocsparseL26bsrgemm_group_reduce_part2ILj256ELj8ELj2E21rocsparse_complex_numIdEliEEvT4_PKT3_PS3_Pi,@function
_ZN9rocsparseL26bsrgemm_group_reduce_part2ILj256ELj8ELj2E21rocsparse_complex_numIdEliEEvT4_PKT3_PS3_Pi: ; @_ZN9rocsparseL26bsrgemm_group_reduce_part2ILj256ELj8ELj2E21rocsparse_complex_numIdEliEEvT4_PKT3_PS3_Pi
; %bb.0:
	s_mov_b32 s8, 0
	s_load_dword s7, s[4:5], 0x0
	s_load_dwordx2 s[2:3], s[4:5], 0x10
	s_mov_b32 s9, s8
	s_mov_b32 s10, s8
	;; [unrolled: 1-line block ×3, first 2 shown]
	v_pk_mov_b32 v[2:3], s[8:9], s[8:9] op_sel:[0,1]
	v_lshlrev_b32_e32 v1, 5, v0
	v_pk_mov_b32 v[4:5], s[10:11], s[10:11] op_sel:[0,1]
	ds_write_b128 v1, v[2:5]
	ds_write_b128 v1, v[2:5] offset:16
	v_lshl_or_b32 v2, s6, 8, v0
	s_waitcnt lgkmcnt(0)
	v_cmp_gt_i32_e32 vcc, s7, v2
	s_and_saveexec_b64 s[8:9], vcc
	s_cbranch_execz .LBB225_27
; %bb.1:
	s_load_dword s0, s[4:5], 0x20
	s_load_dwordx2 s[10:11], s[4:5], 0x8
	s_load_dwordx2 s[12:13], s[4:5], 0x18
	s_mov_b64 s[4:5], 0
	s_mov_b64 s[14:15], 0x80
	s_waitcnt lgkmcnt(0)
	s_lshl_b32 s28, s0, 8
	v_mov_b32_e32 v6, s11
	s_mov_b64 s[16:17], 0x100
	v_mov_b32_e32 v7, 7
	v_mov_b32_e32 v8, 5
	v_mov_b32_e32 v9, 4
	v_mov_b32_e32 v10, 3
	v_mov_b32_e32 v11, 2
	v_mov_b32_e32 v12, 1
	v_mov_b32_e32 v13, 0
	s_branch .LBB225_3
.LBB225_2:                              ;   in Loop: Header=BB225_3 Depth=1
	s_or_b64 exec, exec, s[0:1]
	v_add_u32_e32 v2, s28, v2
	v_cmp_le_i32_e32 vcc, s7, v2
	s_or_b64 s[4:5], vcc, s[4:5]
	s_andn2_b64 exec, exec, s[4:5]
	s_cbranch_execz .LBB225_27
.LBB225_3:                              ; =>This Inner Loop Header: Depth=1
	v_ashrrev_i32_e32 v3, 31, v2
	v_lshlrev_b64 v[4:5], 3, v[2:3]
	v_add_co_u32_e32 v4, vcc, s10, v4
	v_addc_co_u32_e32 v5, vcc, v6, v5, vcc
	global_load_dwordx4 v[14:17], v[4:5], off
	s_waitcnt vmcnt(0)
	v_sub_co_u32_e32 v4, vcc, v16, v14
	v_subb_co_u32_e32 v5, vcc, v17, v15, vcc
	v_cmp_lt_i64_e32 vcc, 8, v[4:5]
	s_and_saveexec_b64 s[0:1], vcc
	s_xor_b64 s[18:19], exec, s[0:1]
	s_cbranch_execz .LBB225_25
; %bb.4:                                ;   in Loop: Header=BB225_3 Depth=1
	v_cmp_lt_u64_e32 vcc, 16, v[4:5]
	s_and_saveexec_b64 s[0:1], vcc
	s_xor_b64 s[20:21], exec, s[0:1]
	s_cbranch_execz .LBB225_22
; %bb.5:                                ;   in Loop: Header=BB225_3 Depth=1
	v_cmp_lt_u64_e32 vcc, 32, v[4:5]
	;; [unrolled: 5-line block ×5, first 2 shown]
	v_lshlrev_b64 v[4:5], 2, v[2:3]
	v_mov_b32_e32 v14, s13
	v_add_co_u32_e64 v4, s[0:1], s12, v4
	v_addc_co_u32_e64 v5, s[0:1], v14, v5, s[0:1]
	s_and_saveexec_b64 s[0:1], vcc
	s_xor_b64 s[0:1], exec, s[0:1]
	s_cbranch_execz .LBB225_10
; %bb.9:                                ;   in Loop: Header=BB225_3 Depth=1
	ds_read_b32 v14, v1 offset:28
	global_store_dword v[4:5], v7, off
                                        ; implicit-def: $vgpr4_vgpr5
	s_waitcnt lgkmcnt(0)
	v_add_u32_e32 v14, 1, v14
	ds_write_b32 v1, v14 offset:28
.LBB225_10:                             ;   in Loop: Header=BB225_3 Depth=1
	s_andn2_saveexec_b64 s[0:1], s[0:1]
	s_cbranch_execz .LBB225_12
; %bb.11:                               ;   in Loop: Header=BB225_3 Depth=1
	ds_read_b32 v14, v1 offset:20
	global_store_dword v[4:5], v8, off
	s_waitcnt lgkmcnt(0)
	v_add_u32_e32 v14, 1, v14
	ds_write_b32 v1, v14 offset:20
.LBB225_12:                             ;   in Loop: Header=BB225_3 Depth=1
	s_or_b64 exec, exec, s[0:1]
.LBB225_13:                             ;   in Loop: Header=BB225_3 Depth=1
	s_andn2_saveexec_b64 s[0:1], s[26:27]
	s_cbranch_execz .LBB225_15
; %bb.14:                               ;   in Loop: Header=BB225_3 Depth=1
	ds_read_b32 v14, v1 offset:16
	v_lshlrev_b64 v[4:5], 2, v[2:3]
	v_mov_b32_e32 v15, s13
	v_add_co_u32_e32 v4, vcc, s12, v4
	s_waitcnt lgkmcnt(0)
	v_add_u32_e32 v14, 1, v14
	v_addc_co_u32_e32 v5, vcc, v15, v5, vcc
	ds_write_b32 v1, v14 offset:16
	global_store_dword v[4:5], v9, off
.LBB225_15:                             ;   in Loop: Header=BB225_3 Depth=1
	s_or_b64 exec, exec, s[0:1]
.LBB225_16:                             ;   in Loop: Header=BB225_3 Depth=1
	s_andn2_saveexec_b64 s[0:1], s[24:25]
	s_cbranch_execz .LBB225_18
; %bb.17:                               ;   in Loop: Header=BB225_3 Depth=1
	ds_read_b32 v14, v1 offset:12
	v_lshlrev_b64 v[4:5], 2, v[2:3]
	v_mov_b32_e32 v15, s13
	v_add_co_u32_e32 v4, vcc, s12, v4
	s_waitcnt lgkmcnt(0)
	v_add_u32_e32 v14, 1, v14
	v_addc_co_u32_e32 v5, vcc, v15, v5, vcc
	ds_write_b32 v1, v14 offset:12
	global_store_dword v[4:5], v10, off
.LBB225_18:                             ;   in Loop: Header=BB225_3 Depth=1
	s_or_b64 exec, exec, s[0:1]
.LBB225_19:                             ;   in Loop: Header=BB225_3 Depth=1
	s_andn2_saveexec_b64 s[0:1], s[22:23]
	s_cbranch_execz .LBB225_21
; %bb.20:                               ;   in Loop: Header=BB225_3 Depth=1
	ds_read_b32 v14, v1 offset:8
	v_lshlrev_b64 v[4:5], 2, v[2:3]
	v_mov_b32_e32 v15, s13
	v_add_co_u32_e32 v4, vcc, s12, v4
	s_waitcnt lgkmcnt(0)
	v_add_u32_e32 v14, 1, v14
	v_addc_co_u32_e32 v5, vcc, v15, v5, vcc
	ds_write_b32 v1, v14 offset:8
	global_store_dword v[4:5], v11, off
.LBB225_21:                             ;   in Loop: Header=BB225_3 Depth=1
	s_or_b64 exec, exec, s[0:1]
.LBB225_22:                             ;   in Loop: Header=BB225_3 Depth=1
	s_andn2_saveexec_b64 s[0:1], s[20:21]
	s_cbranch_execz .LBB225_24
; %bb.23:                               ;   in Loop: Header=BB225_3 Depth=1
	ds_read_b32 v14, v1 offset:4
	v_lshlrev_b64 v[4:5], 2, v[2:3]
	v_mov_b32_e32 v15, s13
	v_add_co_u32_e32 v4, vcc, s12, v4
	s_waitcnt lgkmcnt(0)
	v_add_u32_e32 v14, 1, v14
	v_addc_co_u32_e32 v5, vcc, v15, v5, vcc
	ds_write_b32 v1, v14 offset:4
	global_store_dword v[4:5], v12, off
.LBB225_24:                             ;   in Loop: Header=BB225_3 Depth=1
	s_or_b64 exec, exec, s[0:1]
.LBB225_25:                             ;   in Loop: Header=BB225_3 Depth=1
	s_andn2_saveexec_b64 s[0:1], s[18:19]
	s_cbranch_execz .LBB225_2
; %bb.26:                               ;   in Loop: Header=BB225_3 Depth=1
	ds_read_b32 v14, v1
	v_lshlrev_b64 v[4:5], 2, v[2:3]
	v_mov_b32_e32 v3, s13
	v_add_co_u32_e32 v4, vcc, s12, v4
	s_waitcnt lgkmcnt(0)
	v_add_u32_e32 v14, 1, v14
	v_addc_co_u32_e32 v5, vcc, v3, v5, vcc
	ds_write_b32 v1, v14
	global_store_dword v[4:5], v13, off
	s_branch .LBB225_2
.LBB225_27:
	s_or_b64 exec, exec, s[8:9]
	s_movk_i32 s0, 0x80
	v_cmp_gt_u32_e32 vcc, s0, v0
	s_waitcnt lgkmcnt(0)
	s_barrier
	s_barrier
	;; [unrolled: 1-line block ×3, first 2 shown]
	s_and_saveexec_b64 s[0:1], vcc
	s_cbranch_execz .LBB225_29
; %bb.28:
	ds_read_b128 v[2:5], v1 offset:4096
	ds_read_b128 v[6:9], v1
	ds_read_b128 v[10:13], v1 offset:16
	ds_read_b128 v[14:17], v1 offset:4112
	s_waitcnt lgkmcnt(2)
	v_add_u32_e32 v3, v7, v3
	v_add_u32_e32 v2, v6, v2
	v_add_u32_e32 v5, v9, v5
	v_add_u32_e32 v4, v8, v4
	ds_write_b128 v1, v[2:5]
	s_waitcnt lgkmcnt(1)
	v_add_u32_e32 v3, v11, v15
	v_add_u32_e32 v2, v10, v14
	v_add_u32_e32 v5, v13, v17
	v_add_u32_e32 v4, v12, v16
	ds_write_b128 v1, v[2:5] offset:16
.LBB225_29:
	s_or_b64 exec, exec, s[0:1]
	v_cmp_gt_u32_e32 vcc, 64, v0
	s_waitcnt lgkmcnt(0)
	s_barrier
	s_and_saveexec_b64 s[0:1], vcc
	s_cbranch_execz .LBB225_31
; %bb.30:
	ds_read_b128 v[2:5], v1 offset:2048
	ds_read_b128 v[6:9], v1
	ds_read_b128 v[10:13], v1 offset:16
	ds_read_b128 v[14:17], v1 offset:2064
	s_waitcnt lgkmcnt(2)
	v_add_u32_e32 v3, v7, v3
	v_add_u32_e32 v2, v6, v2
	v_add_u32_e32 v5, v9, v5
	v_add_u32_e32 v4, v8, v4
	ds_write_b128 v1, v[2:5]
	s_waitcnt lgkmcnt(1)
	v_add_u32_e32 v3, v11, v15
	v_add_u32_e32 v2, v10, v14
	v_add_u32_e32 v5, v13, v17
	v_add_u32_e32 v4, v12, v16
	ds_write_b128 v1, v[2:5] offset:16
.LBB225_31:
	s_or_b64 exec, exec, s[0:1]
	v_cmp_gt_u32_e32 vcc, 32, v0
	s_waitcnt lgkmcnt(0)
	s_barrier
	s_and_saveexec_b64 s[0:1], vcc
	s_cbranch_execz .LBB225_33
; %bb.32:
	ds_read_b128 v[2:5], v1 offset:1024
	ds_read_b128 v[6:9], v1
	ds_read_b128 v[10:13], v1 offset:16
	ds_read_b128 v[14:17], v1 offset:1040
	s_waitcnt lgkmcnt(2)
	v_add_u32_e32 v3, v7, v3
	v_add_u32_e32 v2, v6, v2
	v_add_u32_e32 v5, v9, v5
	v_add_u32_e32 v4, v8, v4
	ds_write_b128 v1, v[2:5]
	s_waitcnt lgkmcnt(1)
	v_add_u32_e32 v3, v11, v15
	v_add_u32_e32 v2, v10, v14
	v_add_u32_e32 v5, v13, v17
	v_add_u32_e32 v4, v12, v16
	ds_write_b128 v1, v[2:5] offset:16
.LBB225_33:
	s_or_b64 exec, exec, s[0:1]
	v_cmp_gt_u32_e32 vcc, 16, v0
	s_waitcnt lgkmcnt(0)
	s_barrier
	s_and_saveexec_b64 s[0:1], vcc
	s_cbranch_execz .LBB225_35
; %bb.34:
	ds_read_b128 v[2:5], v1 offset:512
	ds_read_b128 v[6:9], v1
	ds_read_b128 v[10:13], v1 offset:16
	ds_read_b128 v[14:17], v1 offset:528
	s_waitcnt lgkmcnt(2)
	v_add_u32_e32 v3, v7, v3
	v_add_u32_e32 v2, v6, v2
	v_add_u32_e32 v5, v9, v5
	v_add_u32_e32 v4, v8, v4
	ds_write_b128 v1, v[2:5]
	s_waitcnt lgkmcnt(1)
	v_add_u32_e32 v3, v11, v15
	v_add_u32_e32 v2, v10, v14
	v_add_u32_e32 v5, v13, v17
	v_add_u32_e32 v4, v12, v16
	ds_write_b128 v1, v[2:5] offset:16
.LBB225_35:
	s_or_b64 exec, exec, s[0:1]
	v_cmp_gt_u32_e32 vcc, 8, v0
	s_waitcnt lgkmcnt(0)
	s_barrier
	s_and_saveexec_b64 s[0:1], vcc
	s_cbranch_execz .LBB225_37
; %bb.36:
	ds_read_b128 v[2:5], v1 offset:256
	ds_read_b128 v[6:9], v1
	ds_read_b128 v[10:13], v1 offset:16
	ds_read_b128 v[14:17], v1 offset:272
	s_waitcnt lgkmcnt(2)
	v_add_u32_e32 v3, v7, v3
	v_add_u32_e32 v2, v6, v2
	;; [unrolled: 1-line block ×4, first 2 shown]
	ds_write_b128 v1, v[2:5]
	s_waitcnt lgkmcnt(1)
	v_add_u32_e32 v3, v11, v15
	v_add_u32_e32 v2, v10, v14
	;; [unrolled: 1-line block ×4, first 2 shown]
	ds_write_b128 v1, v[2:5] offset:16
.LBB225_37:
	s_or_b64 exec, exec, s[0:1]
	v_cmp_gt_u32_e64 s[0:1], 4, v0
	s_waitcnt lgkmcnt(0)
	s_barrier
	s_and_saveexec_b64 s[4:5], s[0:1]
	s_cbranch_execz .LBB225_39
; %bb.38:
	ds_read_b128 v[2:5], v1 offset:128
	ds_read_b128 v[6:9], v1
	ds_read_b128 v[10:13], v1 offset:16
	ds_read_b128 v[14:17], v1 offset:144
	s_waitcnt lgkmcnt(2)
	v_add_u32_e32 v3, v7, v3
	v_add_u32_e32 v2, v6, v2
	v_add_u32_e32 v5, v9, v5
	v_add_u32_e32 v4, v8, v4
	ds_write_b128 v1, v[2:5]
	s_waitcnt lgkmcnt(1)
	v_add_u32_e32 v3, v11, v15
	v_add_u32_e32 v2, v10, v14
	;; [unrolled: 1-line block ×4, first 2 shown]
	ds_write_b128 v1, v[2:5] offset:16
.LBB225_39:
	s_or_b64 exec, exec, s[4:5]
	v_cmp_gt_u32_e64 s[0:1], 2, v0
	s_waitcnt lgkmcnt(0)
	s_barrier
	s_and_saveexec_b64 s[4:5], s[0:1]
	s_cbranch_execz .LBB225_41
; %bb.40:
	ds_read_b128 v[2:5], v1 offset:64
	ds_read_b128 v[6:9], v1
	ds_read_b128 v[10:13], v1 offset:16
	ds_read_b128 v[14:17], v1 offset:80
	s_waitcnt lgkmcnt(2)
	v_add_u32_e32 v3, v7, v3
	v_add_u32_e32 v2, v6, v2
	;; [unrolled: 1-line block ×4, first 2 shown]
	ds_write_b128 v1, v[2:5]
	s_waitcnt lgkmcnt(1)
	v_add_u32_e32 v3, v11, v15
	v_add_u32_e32 v2, v10, v14
	;; [unrolled: 1-line block ×4, first 2 shown]
	ds_write_b128 v1, v[2:5] offset:16
.LBB225_41:
	s_or_b64 exec, exec, s[4:5]
	v_cmp_eq_u32_e64 s[0:1], 0, v0
	s_waitcnt lgkmcnt(0)
	s_barrier
	s_and_saveexec_b64 s[4:5], s[0:1]
	s_cbranch_execz .LBB225_43
; %bb.42:
	v_mov_b32_e32 v1, 0
	ds_read_b128 v[2:5], v1 offset:32
	ds_read_b128 v[6:9], v1
	ds_read_b128 v[10:13], v1 offset:16
	ds_read_b128 v[14:17], v1 offset:48
	s_waitcnt lgkmcnt(2)
	v_add_u32_e32 v3, v7, v3
	v_add_u32_e32 v2, v6, v2
	;; [unrolled: 1-line block ×4, first 2 shown]
	ds_write_b128 v1, v[2:5]
	s_waitcnt lgkmcnt(1)
	v_add_u32_e32 v3, v11, v15
	v_add_u32_e32 v2, v10, v14
	;; [unrolled: 1-line block ×4, first 2 shown]
	ds_write_b128 v1, v[2:5] offset:16
.LBB225_43:
	s_or_b64 exec, exec, s[4:5]
	s_waitcnt lgkmcnt(0)
	s_barrier
	s_and_saveexec_b64 s[0:1], vcc
	s_cbranch_execz .LBB225_45
; %bb.44:
	v_lshl_or_b32 v2, s6, 3, v0
	v_lshlrev_b32_e32 v0, 2, v0
	ds_read_b32 v4, v0
	v_mov_b32_e32 v3, 0
	v_lshlrev_b64 v[2:3], 2, v[2:3]
	v_mov_b32_e32 v1, s3
	v_add_co_u32_e32 v0, vcc, s2, v2
	v_addc_co_u32_e32 v1, vcc, v1, v3, vcc
	s_waitcnt lgkmcnt(0)
	global_store_dword v[0:1], v4, off
.LBB225_45:
	s_endpgm
	.section	.rodata,"a",@progbits
	.p2align	6, 0x0
	.amdhsa_kernel _ZN9rocsparseL26bsrgemm_group_reduce_part2ILj256ELj8ELj2E21rocsparse_complex_numIdEliEEvT4_PKT3_PS3_Pi
		.amdhsa_group_segment_fixed_size 8192
		.amdhsa_private_segment_fixed_size 0
		.amdhsa_kernarg_size 288
		.amdhsa_user_sgpr_count 6
		.amdhsa_user_sgpr_private_segment_buffer 1
		.amdhsa_user_sgpr_dispatch_ptr 0
		.amdhsa_user_sgpr_queue_ptr 0
		.amdhsa_user_sgpr_kernarg_segment_ptr 1
		.amdhsa_user_sgpr_dispatch_id 0
		.amdhsa_user_sgpr_flat_scratch_init 0
		.amdhsa_user_sgpr_kernarg_preload_length 0
		.amdhsa_user_sgpr_kernarg_preload_offset 0
		.amdhsa_user_sgpr_private_segment_size 0
		.amdhsa_uses_dynamic_stack 0
		.amdhsa_system_sgpr_private_segment_wavefront_offset 0
		.amdhsa_system_sgpr_workgroup_id_x 1
		.amdhsa_system_sgpr_workgroup_id_y 0
		.amdhsa_system_sgpr_workgroup_id_z 0
		.amdhsa_system_sgpr_workgroup_info 0
		.amdhsa_system_vgpr_workitem_id 0
		.amdhsa_next_free_vgpr 18
		.amdhsa_next_free_sgpr 29
		.amdhsa_accum_offset 20
		.amdhsa_reserve_vcc 1
		.amdhsa_reserve_flat_scratch 0
		.amdhsa_float_round_mode_32 0
		.amdhsa_float_round_mode_16_64 0
		.amdhsa_float_denorm_mode_32 3
		.amdhsa_float_denorm_mode_16_64 3
		.amdhsa_dx10_clamp 1
		.amdhsa_ieee_mode 1
		.amdhsa_fp16_overflow 0
		.amdhsa_tg_split 0
		.amdhsa_exception_fp_ieee_invalid_op 0
		.amdhsa_exception_fp_denorm_src 0
		.amdhsa_exception_fp_ieee_div_zero 0
		.amdhsa_exception_fp_ieee_overflow 0
		.amdhsa_exception_fp_ieee_underflow 0
		.amdhsa_exception_fp_ieee_inexact 0
		.amdhsa_exception_int_div_zero 0
	.end_amdhsa_kernel
	.section	.text._ZN9rocsparseL26bsrgemm_group_reduce_part2ILj256ELj8ELj2E21rocsparse_complex_numIdEliEEvT4_PKT3_PS3_Pi,"axG",@progbits,_ZN9rocsparseL26bsrgemm_group_reduce_part2ILj256ELj8ELj2E21rocsparse_complex_numIdEliEEvT4_PKT3_PS3_Pi,comdat
.Lfunc_end225:
	.size	_ZN9rocsparseL26bsrgemm_group_reduce_part2ILj256ELj8ELj2E21rocsparse_complex_numIdEliEEvT4_PKT3_PS3_Pi, .Lfunc_end225-_ZN9rocsparseL26bsrgemm_group_reduce_part2ILj256ELj8ELj2E21rocsparse_complex_numIdEliEEvT4_PKT3_PS3_Pi
                                        ; -- End function
	.section	.AMDGPU.csdata,"",@progbits
; Kernel info:
; codeLenInByte = 1768
; NumSgprs: 33
; NumVgprs: 18
; NumAgprs: 0
; TotalNumVgprs: 18
; ScratchSize: 0
; MemoryBound: 0
; FloatMode: 240
; IeeeMode: 1
; LDSByteSize: 8192 bytes/workgroup (compile time only)
; SGPRBlocks: 4
; VGPRBlocks: 2
; NumSGPRsForWavesPerEU: 33
; NumVGPRsForWavesPerEU: 18
; AccumOffset: 20
; Occupancy: 8
; WaveLimiterHint : 0
; COMPUTE_PGM_RSRC2:SCRATCH_EN: 0
; COMPUTE_PGM_RSRC2:USER_SGPR: 6
; COMPUTE_PGM_RSRC2:TRAP_HANDLER: 0
; COMPUTE_PGM_RSRC2:TGID_X_EN: 1
; COMPUTE_PGM_RSRC2:TGID_Y_EN: 0
; COMPUTE_PGM_RSRC2:TGID_Z_EN: 0
; COMPUTE_PGM_RSRC2:TIDIG_COMP_CNT: 0
; COMPUTE_PGM_RSRC3_GFX90A:ACCUM_OFFSET: 4
; COMPUTE_PGM_RSRC3_GFX90A:TG_SPLIT: 0
	.section	.text._ZN9rocsparseL26bsrgemm_group_reduce_part2ILj256ELj8ELj8E21rocsparse_complex_numIdEliEEvT4_PKT3_PS3_Pi,"axG",@progbits,_ZN9rocsparseL26bsrgemm_group_reduce_part2ILj256ELj8ELj8E21rocsparse_complex_numIdEliEEvT4_PKT3_PS3_Pi,comdat
	.globl	_ZN9rocsparseL26bsrgemm_group_reduce_part2ILj256ELj8ELj8E21rocsparse_complex_numIdEliEEvT4_PKT3_PS3_Pi ; -- Begin function _ZN9rocsparseL26bsrgemm_group_reduce_part2ILj256ELj8ELj8E21rocsparse_complex_numIdEliEEvT4_PKT3_PS3_Pi
	.p2align	8
	.type	_ZN9rocsparseL26bsrgemm_group_reduce_part2ILj256ELj8ELj8E21rocsparse_complex_numIdEliEEvT4_PKT3_PS3_Pi,@function
_ZN9rocsparseL26bsrgemm_group_reduce_part2ILj256ELj8ELj8E21rocsparse_complex_numIdEliEEvT4_PKT3_PS3_Pi: ; @_ZN9rocsparseL26bsrgemm_group_reduce_part2ILj256ELj8ELj8E21rocsparse_complex_numIdEliEEvT4_PKT3_PS3_Pi
; %bb.0:
	s_mov_b32 s8, 0
	s_load_dword s7, s[4:5], 0x0
	s_load_dwordx2 s[2:3], s[4:5], 0x10
	s_mov_b32 s9, s8
	s_mov_b32 s10, s8
	;; [unrolled: 1-line block ×3, first 2 shown]
	v_pk_mov_b32 v[2:3], s[8:9], s[8:9] op_sel:[0,1]
	v_lshlrev_b32_e32 v1, 5, v0
	v_pk_mov_b32 v[4:5], s[10:11], s[10:11] op_sel:[0,1]
	ds_write_b128 v1, v[2:5]
	ds_write_b128 v1, v[2:5] offset:16
	v_lshl_or_b32 v2, s6, 8, v0
	s_waitcnt lgkmcnt(0)
	v_cmp_gt_i32_e32 vcc, s7, v2
	s_and_saveexec_b64 s[8:9], vcc
	s_cbranch_execz .LBB226_31
; %bb.1:
	s_load_dword s0, s[4:5], 0x20
	s_load_dwordx2 s[10:11], s[4:5], 0x8
	s_load_dwordx2 s[12:13], s[4:5], 0x18
	s_mov_b64 s[4:5], 0
	s_mov_b64 s[14:15], 0x80
	s_waitcnt lgkmcnt(0)
	s_lshl_b32 s33, s0, 8
	v_mov_b32_e32 v6, s11
	s_mov_b64 s[16:17], 0x100
	s_mov_b64 s[18:19], 0x200
	v_mov_b32_e32 v7, 7
	v_mov_b32_e32 v8, 6
	;; [unrolled: 1-line block ×8, first 2 shown]
	s_branch .LBB226_3
.LBB226_2:                              ;   in Loop: Header=BB226_3 Depth=1
	s_or_b64 exec, exec, s[0:1]
	v_add_u32_e32 v2, s33, v2
	v_cmp_le_i32_e32 vcc, s7, v2
	s_or_b64 s[4:5], vcc, s[4:5]
	s_andn2_b64 exec, exec, s[4:5]
	s_cbranch_execz .LBB226_31
.LBB226_3:                              ; =>This Inner Loop Header: Depth=1
	v_ashrrev_i32_e32 v3, 31, v2
	v_lshlrev_b64 v[4:5], 3, v[2:3]
	v_add_co_u32_e32 v4, vcc, s10, v4
	v_addc_co_u32_e32 v5, vcc, v6, v5, vcc
	global_load_dwordx4 v[16:19], v[4:5], off
	s_waitcnt vmcnt(0)
	v_sub_co_u32_e32 v4, vcc, v18, v16
	v_subb_co_u32_e32 v5, vcc, v19, v17, vcc
	v_cmp_lt_i64_e32 vcc, 8, v[4:5]
	s_and_saveexec_b64 s[0:1], vcc
	s_xor_b64 s[20:21], exec, s[0:1]
	s_cbranch_execz .LBB226_29
; %bb.4:                                ;   in Loop: Header=BB226_3 Depth=1
	v_cmp_lt_u64_e32 vcc, 16, v[4:5]
	s_and_saveexec_b64 s[0:1], vcc
	s_xor_b64 s[22:23], exec, s[0:1]
	s_cbranch_execz .LBB226_26
; %bb.5:                                ;   in Loop: Header=BB226_3 Depth=1
	v_cmp_lt_u64_e32 vcc, 32, v[4:5]
	;; [unrolled: 5-line block ×6, first 2 shown]
	v_lshlrev_b64 v[4:5], 2, v[2:3]
	v_mov_b32_e32 v15, s13
	v_add_co_u32_e64 v4, s[0:1], s12, v4
	v_addc_co_u32_e64 v5, s[0:1], v15, v5, s[0:1]
	s_and_saveexec_b64 s[0:1], vcc
	s_xor_b64 s[0:1], exec, s[0:1]
	s_cbranch_execz .LBB226_11
; %bb.10:                               ;   in Loop: Header=BB226_3 Depth=1
	ds_read_b32 v15, v1 offset:28
	global_store_dword v[4:5], v7, off
                                        ; implicit-def: $vgpr4_vgpr5
	s_waitcnt lgkmcnt(0)
	v_add_u32_e32 v15, 1, v15
	ds_write_b32 v1, v15 offset:28
.LBB226_11:                             ;   in Loop: Header=BB226_3 Depth=1
	s_andn2_saveexec_b64 s[0:1], s[0:1]
	s_cbranch_execz .LBB226_13
; %bb.12:                               ;   in Loop: Header=BB226_3 Depth=1
	ds_read_b32 v15, v1 offset:24
	global_store_dword v[4:5], v8, off
	s_waitcnt lgkmcnt(0)
	v_add_u32_e32 v15, 1, v15
	ds_write_b32 v1, v15 offset:24
.LBB226_13:                             ;   in Loop: Header=BB226_3 Depth=1
	s_or_b64 exec, exec, s[0:1]
.LBB226_14:                             ;   in Loop: Header=BB226_3 Depth=1
	s_andn2_saveexec_b64 s[0:1], s[30:31]
	s_cbranch_execz .LBB226_16
; %bb.15:                               ;   in Loop: Header=BB226_3 Depth=1
	ds_read_b32 v15, v1 offset:20
	v_lshlrev_b64 v[4:5], 2, v[2:3]
	v_mov_b32_e32 v16, s13
	v_add_co_u32_e32 v4, vcc, s12, v4
	s_waitcnt lgkmcnt(0)
	v_add_u32_e32 v15, 1, v15
	v_addc_co_u32_e32 v5, vcc, v16, v5, vcc
	ds_write_b32 v1, v15 offset:20
	global_store_dword v[4:5], v9, off
.LBB226_16:                             ;   in Loop: Header=BB226_3 Depth=1
	s_or_b64 exec, exec, s[0:1]
.LBB226_17:                             ;   in Loop: Header=BB226_3 Depth=1
	s_andn2_saveexec_b64 s[0:1], s[28:29]
	s_cbranch_execz .LBB226_19
; %bb.18:                               ;   in Loop: Header=BB226_3 Depth=1
	ds_read_b32 v15, v1 offset:16
	v_lshlrev_b64 v[4:5], 2, v[2:3]
	v_mov_b32_e32 v16, s13
	v_add_co_u32_e32 v4, vcc, s12, v4
	s_waitcnt lgkmcnt(0)
	v_add_u32_e32 v15, 1, v15
	v_addc_co_u32_e32 v5, vcc, v16, v5, vcc
	ds_write_b32 v1, v15 offset:16
	global_store_dword v[4:5], v10, off
.LBB226_19:                             ;   in Loop: Header=BB226_3 Depth=1
	s_or_b64 exec, exec, s[0:1]
.LBB226_20:                             ;   in Loop: Header=BB226_3 Depth=1
	s_andn2_saveexec_b64 s[0:1], s[26:27]
	s_cbranch_execz .LBB226_22
; %bb.21:                               ;   in Loop: Header=BB226_3 Depth=1
	ds_read_b32 v15, v1 offset:12
	v_lshlrev_b64 v[4:5], 2, v[2:3]
	v_mov_b32_e32 v16, s13
	v_add_co_u32_e32 v4, vcc, s12, v4
	s_waitcnt lgkmcnt(0)
	v_add_u32_e32 v15, 1, v15
	v_addc_co_u32_e32 v5, vcc, v16, v5, vcc
	ds_write_b32 v1, v15 offset:12
	global_store_dword v[4:5], v11, off
.LBB226_22:                             ;   in Loop: Header=BB226_3 Depth=1
	s_or_b64 exec, exec, s[0:1]
.LBB226_23:                             ;   in Loop: Header=BB226_3 Depth=1
	s_andn2_saveexec_b64 s[0:1], s[24:25]
	s_cbranch_execz .LBB226_25
; %bb.24:                               ;   in Loop: Header=BB226_3 Depth=1
	ds_read_b32 v15, v1 offset:8
	v_lshlrev_b64 v[4:5], 2, v[2:3]
	v_mov_b32_e32 v16, s13
	v_add_co_u32_e32 v4, vcc, s12, v4
	s_waitcnt lgkmcnt(0)
	v_add_u32_e32 v15, 1, v15
	v_addc_co_u32_e32 v5, vcc, v16, v5, vcc
	ds_write_b32 v1, v15 offset:8
	global_store_dword v[4:5], v12, off
.LBB226_25:                             ;   in Loop: Header=BB226_3 Depth=1
	s_or_b64 exec, exec, s[0:1]
.LBB226_26:                             ;   in Loop: Header=BB226_3 Depth=1
	s_andn2_saveexec_b64 s[0:1], s[22:23]
	s_cbranch_execz .LBB226_28
; %bb.27:                               ;   in Loop: Header=BB226_3 Depth=1
	ds_read_b32 v15, v1 offset:4
	v_lshlrev_b64 v[4:5], 2, v[2:3]
	v_mov_b32_e32 v16, s13
	v_add_co_u32_e32 v4, vcc, s12, v4
	s_waitcnt lgkmcnt(0)
	v_add_u32_e32 v15, 1, v15
	v_addc_co_u32_e32 v5, vcc, v16, v5, vcc
	ds_write_b32 v1, v15 offset:4
	global_store_dword v[4:5], v13, off
.LBB226_28:                             ;   in Loop: Header=BB226_3 Depth=1
	s_or_b64 exec, exec, s[0:1]
.LBB226_29:                             ;   in Loop: Header=BB226_3 Depth=1
	s_andn2_saveexec_b64 s[0:1], s[20:21]
	s_cbranch_execz .LBB226_2
; %bb.30:                               ;   in Loop: Header=BB226_3 Depth=1
	ds_read_b32 v15, v1
	v_lshlrev_b64 v[4:5], 2, v[2:3]
	v_mov_b32_e32 v3, s13
	v_add_co_u32_e32 v4, vcc, s12, v4
	s_waitcnt lgkmcnt(0)
	v_add_u32_e32 v15, 1, v15
	v_addc_co_u32_e32 v5, vcc, v3, v5, vcc
	ds_write_b32 v1, v15
	global_store_dword v[4:5], v14, off
	s_branch .LBB226_2
.LBB226_31:
	s_or_b64 exec, exec, s[8:9]
	s_movk_i32 s0, 0x80
	v_cmp_gt_u32_e32 vcc, s0, v0
	s_waitcnt lgkmcnt(0)
	s_barrier
	s_barrier
	;; [unrolled: 1-line block ×3, first 2 shown]
	s_and_saveexec_b64 s[0:1], vcc
	s_cbranch_execz .LBB226_33
; %bb.32:
	ds_read_b128 v[2:5], v1 offset:4096
	ds_read_b128 v[6:9], v1
	ds_read_b128 v[10:13], v1 offset:16
	ds_read_b128 v[14:17], v1 offset:4112
	s_waitcnt lgkmcnt(2)
	v_add_u32_e32 v3, v7, v3
	v_add_u32_e32 v2, v6, v2
	v_add_u32_e32 v5, v9, v5
	v_add_u32_e32 v4, v8, v4
	ds_write_b128 v1, v[2:5]
	s_waitcnt lgkmcnt(1)
	v_add_u32_e32 v3, v11, v15
	v_add_u32_e32 v2, v10, v14
	v_add_u32_e32 v5, v13, v17
	v_add_u32_e32 v4, v12, v16
	ds_write_b128 v1, v[2:5] offset:16
.LBB226_33:
	s_or_b64 exec, exec, s[0:1]
	v_cmp_gt_u32_e32 vcc, 64, v0
	s_waitcnt lgkmcnt(0)
	s_barrier
	s_and_saveexec_b64 s[0:1], vcc
	s_cbranch_execz .LBB226_35
; %bb.34:
	ds_read_b128 v[2:5], v1 offset:2048
	ds_read_b128 v[6:9], v1
	ds_read_b128 v[10:13], v1 offset:16
	ds_read_b128 v[14:17], v1 offset:2064
	s_waitcnt lgkmcnt(2)
	v_add_u32_e32 v3, v7, v3
	v_add_u32_e32 v2, v6, v2
	v_add_u32_e32 v5, v9, v5
	v_add_u32_e32 v4, v8, v4
	ds_write_b128 v1, v[2:5]
	s_waitcnt lgkmcnt(1)
	v_add_u32_e32 v3, v11, v15
	v_add_u32_e32 v2, v10, v14
	v_add_u32_e32 v5, v13, v17
	v_add_u32_e32 v4, v12, v16
	ds_write_b128 v1, v[2:5] offset:16
.LBB226_35:
	s_or_b64 exec, exec, s[0:1]
	v_cmp_gt_u32_e32 vcc, 32, v0
	s_waitcnt lgkmcnt(0)
	s_barrier
	s_and_saveexec_b64 s[0:1], vcc
	s_cbranch_execz .LBB226_37
; %bb.36:
	ds_read_b128 v[2:5], v1 offset:1024
	ds_read_b128 v[6:9], v1
	ds_read_b128 v[10:13], v1 offset:16
	ds_read_b128 v[14:17], v1 offset:1040
	s_waitcnt lgkmcnt(2)
	v_add_u32_e32 v3, v7, v3
	v_add_u32_e32 v2, v6, v2
	v_add_u32_e32 v5, v9, v5
	v_add_u32_e32 v4, v8, v4
	ds_write_b128 v1, v[2:5]
	s_waitcnt lgkmcnt(1)
	v_add_u32_e32 v3, v11, v15
	v_add_u32_e32 v2, v10, v14
	v_add_u32_e32 v5, v13, v17
	v_add_u32_e32 v4, v12, v16
	ds_write_b128 v1, v[2:5] offset:16
.LBB226_37:
	s_or_b64 exec, exec, s[0:1]
	v_cmp_gt_u32_e32 vcc, 16, v0
	s_waitcnt lgkmcnt(0)
	s_barrier
	s_and_saveexec_b64 s[0:1], vcc
	s_cbranch_execz .LBB226_39
; %bb.38:
	ds_read_b128 v[2:5], v1 offset:512
	ds_read_b128 v[6:9], v1
	ds_read_b128 v[10:13], v1 offset:16
	ds_read_b128 v[14:17], v1 offset:528
	s_waitcnt lgkmcnt(2)
	v_add_u32_e32 v3, v7, v3
	v_add_u32_e32 v2, v6, v2
	v_add_u32_e32 v5, v9, v5
	v_add_u32_e32 v4, v8, v4
	ds_write_b128 v1, v[2:5]
	s_waitcnt lgkmcnt(1)
	v_add_u32_e32 v3, v11, v15
	v_add_u32_e32 v2, v10, v14
	v_add_u32_e32 v5, v13, v17
	v_add_u32_e32 v4, v12, v16
	ds_write_b128 v1, v[2:5] offset:16
.LBB226_39:
	s_or_b64 exec, exec, s[0:1]
	v_cmp_gt_u32_e32 vcc, 8, v0
	s_waitcnt lgkmcnt(0)
	s_barrier
	s_and_saveexec_b64 s[0:1], vcc
	s_cbranch_execz .LBB226_41
; %bb.40:
	ds_read_b128 v[2:5], v1 offset:256
	ds_read_b128 v[6:9], v1
	ds_read_b128 v[10:13], v1 offset:16
	ds_read_b128 v[14:17], v1 offset:272
	s_waitcnt lgkmcnt(2)
	v_add_u32_e32 v3, v7, v3
	v_add_u32_e32 v2, v6, v2
	;; [unrolled: 1-line block ×4, first 2 shown]
	ds_write_b128 v1, v[2:5]
	s_waitcnt lgkmcnt(1)
	v_add_u32_e32 v3, v11, v15
	v_add_u32_e32 v2, v10, v14
	;; [unrolled: 1-line block ×4, first 2 shown]
	ds_write_b128 v1, v[2:5] offset:16
.LBB226_41:
	s_or_b64 exec, exec, s[0:1]
	v_cmp_gt_u32_e64 s[0:1], 4, v0
	s_waitcnt lgkmcnt(0)
	s_barrier
	s_and_saveexec_b64 s[4:5], s[0:1]
	s_cbranch_execz .LBB226_43
; %bb.42:
	ds_read_b128 v[2:5], v1 offset:128
	ds_read_b128 v[6:9], v1
	ds_read_b128 v[10:13], v1 offset:16
	ds_read_b128 v[14:17], v1 offset:144
	s_waitcnt lgkmcnt(2)
	v_add_u32_e32 v3, v7, v3
	v_add_u32_e32 v2, v6, v2
	;; [unrolled: 1-line block ×4, first 2 shown]
	ds_write_b128 v1, v[2:5]
	s_waitcnt lgkmcnt(1)
	v_add_u32_e32 v3, v11, v15
	v_add_u32_e32 v2, v10, v14
	;; [unrolled: 1-line block ×4, first 2 shown]
	ds_write_b128 v1, v[2:5] offset:16
.LBB226_43:
	s_or_b64 exec, exec, s[4:5]
	v_cmp_gt_u32_e64 s[0:1], 2, v0
	s_waitcnt lgkmcnt(0)
	s_barrier
	s_and_saveexec_b64 s[4:5], s[0:1]
	s_cbranch_execz .LBB226_45
; %bb.44:
	ds_read_b128 v[2:5], v1 offset:64
	ds_read_b128 v[6:9], v1
	ds_read_b128 v[10:13], v1 offset:16
	ds_read_b128 v[14:17], v1 offset:80
	s_waitcnt lgkmcnt(2)
	v_add_u32_e32 v3, v7, v3
	v_add_u32_e32 v2, v6, v2
	;; [unrolled: 1-line block ×4, first 2 shown]
	ds_write_b128 v1, v[2:5]
	s_waitcnt lgkmcnt(1)
	v_add_u32_e32 v3, v11, v15
	v_add_u32_e32 v2, v10, v14
	;; [unrolled: 1-line block ×4, first 2 shown]
	ds_write_b128 v1, v[2:5] offset:16
.LBB226_45:
	s_or_b64 exec, exec, s[4:5]
	v_cmp_eq_u32_e64 s[0:1], 0, v0
	s_waitcnt lgkmcnt(0)
	s_barrier
	s_and_saveexec_b64 s[4:5], s[0:1]
	s_cbranch_execz .LBB226_47
; %bb.46:
	v_mov_b32_e32 v1, 0
	ds_read_b128 v[2:5], v1 offset:32
	ds_read_b128 v[6:9], v1
	ds_read_b128 v[10:13], v1 offset:16
	ds_read_b128 v[14:17], v1 offset:48
	s_waitcnt lgkmcnt(2)
	v_add_u32_e32 v3, v7, v3
	v_add_u32_e32 v2, v6, v2
	;; [unrolled: 1-line block ×4, first 2 shown]
	ds_write_b128 v1, v[2:5]
	s_waitcnt lgkmcnt(1)
	v_add_u32_e32 v3, v11, v15
	v_add_u32_e32 v2, v10, v14
	;; [unrolled: 1-line block ×4, first 2 shown]
	ds_write_b128 v1, v[2:5] offset:16
.LBB226_47:
	s_or_b64 exec, exec, s[4:5]
	s_waitcnt lgkmcnt(0)
	s_barrier
	s_and_saveexec_b64 s[0:1], vcc
	s_cbranch_execz .LBB226_49
; %bb.48:
	v_lshl_or_b32 v2, s6, 3, v0
	v_lshlrev_b32_e32 v0, 2, v0
	ds_read_b32 v4, v0
	v_mov_b32_e32 v3, 0
	v_lshlrev_b64 v[2:3], 2, v[2:3]
	v_mov_b32_e32 v1, s3
	v_add_co_u32_e32 v0, vcc, s2, v2
	v_addc_co_u32_e32 v1, vcc, v1, v3, vcc
	s_waitcnt lgkmcnt(0)
	global_store_dword v[0:1], v4, off
.LBB226_49:
	s_endpgm
	.section	.rodata,"a",@progbits
	.p2align	6, 0x0
	.amdhsa_kernel _ZN9rocsparseL26bsrgemm_group_reduce_part2ILj256ELj8ELj8E21rocsparse_complex_numIdEliEEvT4_PKT3_PS3_Pi
		.amdhsa_group_segment_fixed_size 8192
		.amdhsa_private_segment_fixed_size 0
		.amdhsa_kernarg_size 288
		.amdhsa_user_sgpr_count 6
		.amdhsa_user_sgpr_private_segment_buffer 1
		.amdhsa_user_sgpr_dispatch_ptr 0
		.amdhsa_user_sgpr_queue_ptr 0
		.amdhsa_user_sgpr_kernarg_segment_ptr 1
		.amdhsa_user_sgpr_dispatch_id 0
		.amdhsa_user_sgpr_flat_scratch_init 0
		.amdhsa_user_sgpr_kernarg_preload_length 0
		.amdhsa_user_sgpr_kernarg_preload_offset 0
		.amdhsa_user_sgpr_private_segment_size 0
		.amdhsa_uses_dynamic_stack 0
		.amdhsa_system_sgpr_private_segment_wavefront_offset 0
		.amdhsa_system_sgpr_workgroup_id_x 1
		.amdhsa_system_sgpr_workgroup_id_y 0
		.amdhsa_system_sgpr_workgroup_id_z 0
		.amdhsa_system_sgpr_workgroup_info 0
		.amdhsa_system_vgpr_workitem_id 0
		.amdhsa_next_free_vgpr 20
		.amdhsa_next_free_sgpr 34
		.amdhsa_accum_offset 20
		.amdhsa_reserve_vcc 1
		.amdhsa_reserve_flat_scratch 0
		.amdhsa_float_round_mode_32 0
		.amdhsa_float_round_mode_16_64 0
		.amdhsa_float_denorm_mode_32 3
		.amdhsa_float_denorm_mode_16_64 3
		.amdhsa_dx10_clamp 1
		.amdhsa_ieee_mode 1
		.amdhsa_fp16_overflow 0
		.amdhsa_tg_split 0
		.amdhsa_exception_fp_ieee_invalid_op 0
		.amdhsa_exception_fp_denorm_src 0
		.amdhsa_exception_fp_ieee_div_zero 0
		.amdhsa_exception_fp_ieee_overflow 0
		.amdhsa_exception_fp_ieee_underflow 0
		.amdhsa_exception_fp_ieee_inexact 0
		.amdhsa_exception_int_div_zero 0
	.end_amdhsa_kernel
	.section	.text._ZN9rocsparseL26bsrgemm_group_reduce_part2ILj256ELj8ELj8E21rocsparse_complex_numIdEliEEvT4_PKT3_PS3_Pi,"axG",@progbits,_ZN9rocsparseL26bsrgemm_group_reduce_part2ILj256ELj8ELj8E21rocsparse_complex_numIdEliEEvT4_PKT3_PS3_Pi,comdat
.Lfunc_end226:
	.size	_ZN9rocsparseL26bsrgemm_group_reduce_part2ILj256ELj8ELj8E21rocsparse_complex_numIdEliEEvT4_PKT3_PS3_Pi, .Lfunc_end226-_ZN9rocsparseL26bsrgemm_group_reduce_part2ILj256ELj8ELj8E21rocsparse_complex_numIdEliEEvT4_PKT3_PS3_Pi
                                        ; -- End function
	.section	.AMDGPU.csdata,"",@progbits
; Kernel info:
; codeLenInByte = 1860
; NumSgprs: 38
; NumVgprs: 20
; NumAgprs: 0
; TotalNumVgprs: 20
; ScratchSize: 0
; MemoryBound: 0
; FloatMode: 240
; IeeeMode: 1
; LDSByteSize: 8192 bytes/workgroup (compile time only)
; SGPRBlocks: 4
; VGPRBlocks: 2
; NumSGPRsForWavesPerEU: 38
; NumVGPRsForWavesPerEU: 20
; AccumOffset: 20
; Occupancy: 8
; WaveLimiterHint : 0
; COMPUTE_PGM_RSRC2:SCRATCH_EN: 0
; COMPUTE_PGM_RSRC2:USER_SGPR: 6
; COMPUTE_PGM_RSRC2:TRAP_HANDLER: 0
; COMPUTE_PGM_RSRC2:TGID_X_EN: 1
; COMPUTE_PGM_RSRC2:TGID_Y_EN: 0
; COMPUTE_PGM_RSRC2:TGID_Z_EN: 0
; COMPUTE_PGM_RSRC2:TIDIG_COMP_CNT: 0
; COMPUTE_PGM_RSRC3_GFX90A:ACCUM_OFFSET: 4
; COMPUTE_PGM_RSRC3_GFX90A:TG_SPLIT: 0
	.section	.text._ZN9rocsparseL27bsrgemm_fill_wf_per_row_2x2ILj256ELj16ELj8ELj137Eli21rocsparse_complex_numIdEEEv20rocsparse_direction_T4_S4_PKS4_S6_NS_24const_host_device_scalarIT5_EEPKT3_S6_PKS8_SC_S6_SE_S9_SC_S6_SE_SC_PS4_PS8_21rocsparse_index_base_SH_SH_SH_bbb,"axG",@progbits,_ZN9rocsparseL27bsrgemm_fill_wf_per_row_2x2ILj256ELj16ELj8ELj137Eli21rocsparse_complex_numIdEEEv20rocsparse_direction_T4_S4_PKS4_S6_NS_24const_host_device_scalarIT5_EEPKT3_S6_PKS8_SC_S6_SE_S9_SC_S6_SE_SC_PS4_PS8_21rocsparse_index_base_SH_SH_SH_bbb,comdat
	.globl	_ZN9rocsparseL27bsrgemm_fill_wf_per_row_2x2ILj256ELj16ELj8ELj137Eli21rocsparse_complex_numIdEEEv20rocsparse_direction_T4_S4_PKS4_S6_NS_24const_host_device_scalarIT5_EEPKT3_S6_PKS8_SC_S6_SE_S9_SC_S6_SE_SC_PS4_PS8_21rocsparse_index_base_SH_SH_SH_bbb ; -- Begin function _ZN9rocsparseL27bsrgemm_fill_wf_per_row_2x2ILj256ELj16ELj8ELj137Eli21rocsparse_complex_numIdEEEv20rocsparse_direction_T4_S4_PKS4_S6_NS_24const_host_device_scalarIT5_EEPKT3_S6_PKS8_SC_S6_SE_S9_SC_S6_SE_SC_PS4_PS8_21rocsparse_index_base_SH_SH_SH_bbb
	.p2align	8
	.type	_ZN9rocsparseL27bsrgemm_fill_wf_per_row_2x2ILj256ELj16ELj8ELj137Eli21rocsparse_complex_numIdEEEv20rocsparse_direction_T4_S4_PKS4_S6_NS_24const_host_device_scalarIT5_EEPKT3_S6_PKS8_SC_S6_SE_S9_SC_S6_SE_SC_PS4_PS8_21rocsparse_index_base_SH_SH_SH_bbb,@function
_ZN9rocsparseL27bsrgemm_fill_wf_per_row_2x2ILj256ELj16ELj8ELj137Eli21rocsparse_complex_numIdEEEv20rocsparse_direction_T4_S4_PKS4_S6_NS_24const_host_device_scalarIT5_EEPKT3_S6_PKS8_SC_S6_SE_S9_SC_S6_SE_SC_PS4_PS8_21rocsparse_index_base_SH_SH_SH_bbb: ; @_ZN9rocsparseL27bsrgemm_fill_wf_per_row_2x2ILj256ELj16ELj8ELj137Eli21rocsparse_complex_numIdEEEv20rocsparse_direction_T4_S4_PKS4_S6_NS_24const_host_device_scalarIT5_EEPKT3_S6_PKS8_SC_S6_SE_S9_SC_S6_SE_SC_PS4_PS8_21rocsparse_index_base_SH_SH_SH_bbb
; %bb.0:
	s_add_u32 flat_scratch_lo, s6, s9
	s_addc_u32 flat_scratch_hi, s7, 0
	s_add_u32 s0, s0, s9
	s_load_dword s9, s[4:5], 0xb0
	s_load_dwordx4 s[16:19], s[4:5], 0x20
	s_load_dwordx4 s[12:15], s[4:5], 0x60
	s_addc_u32 s1, s1, 0
	v_pk_mov_b32 v[16:17], 0, 0
	s_waitcnt lgkmcnt(0)
	s_bitcmp1_b32 s9, 0
	v_mov_b32_e32 v1, s17
	s_cselect_b64 s[52:53], -1, 0
	s_bitcmp1_b32 s9, 16
	buffer_store_dword v1, off, s[0:3], 0 offset:4
	v_mov_b32_e32 v1, s16
	s_cselect_b64 s[6:7], -1, 0
	buffer_store_dword v1, off, s[0:3], 0
	v_mov_b32_e32 v1, s13
	buffer_store_dword v1, off, s[0:3], 0 offset:12
	v_mov_b32_e32 v1, s12
	s_xor_b64 s[10:11], s[6:7], -1
	buffer_store_dword v1, off, s[0:3], 0 offset:8
	v_cndmask_b32_e64 v1, 0, 1, s[10:11]
	s_bitcmp0_b32 s9, 0
	v_cmp_ne_u32_e64 s[10:11], 1, v1
	v_pk_mov_b32 v[22:23], v[16:17], v[16:17] op_sel:[0,1]
	v_pk_mov_b32 v[24:25], v[16:17], v[16:17] op_sel:[0,1]
	s_cbranch_scc1 .LBB227_3
; %bb.1:
	s_mov_b64 s[20:21], src_private_base
	s_and_b64 s[22:23], s[6:7], exec
	s_cselect_b32 s20, s21, s17
	v_mov_b32_e32 v1, 0
	v_mov_b32_e32 v2, s16
	v_cndmask_b32_e64 v2, v2, v1, s[6:7]
	v_mov_b32_e32 v3, s20
	flat_load_dwordx2 v[22:23], v[2:3]
	s_and_b64 vcc, exec, s[10:11]
	v_pk_mov_b32 v[24:25], s[18:19], s[18:19] op_sel:[0,1]
	s_cbranch_vccnz .LBB227_3
; %bb.2:
	v_pk_mov_b32 v[2:3], s[16:17], s[16:17] op_sel:[0,1]
	flat_load_dwordx2 v[24:25], v[2:3] offset:8
.LBB227_3:
	s_load_dwordx4 s[28:31], s[4:5], 0xa0
	s_bitcmp1_b32 s9, 8
	s_cselect_b64 s[34:35], -1, 0
	s_bfe_u32 s9, s9, 0x10008
	s_cmp_eq_u32 s9, 0
	v_pk_mov_b32 v[18:19], v[16:17], v[16:17] op_sel:[0,1]
	s_cbranch_scc1 .LBB227_6
; %bb.4:
	s_mov_b64 s[16:17], src_private_base
	s_and_b64 s[18:19], s[6:7], exec
	s_cselect_b32 s9, s17, s13
	v_mov_b32_e32 v1, 8
	v_mov_b32_e32 v2, s12
	v_cndmask_b32_e64 v2, v2, v1, s[6:7]
	v_mov_b32_e32 v3, s9
	flat_load_dwordx2 v[18:19], v[2:3]
	s_and_b64 vcc, exec, s[10:11]
	v_pk_mov_b32 v[16:17], s[14:15], s[14:15] op_sel:[0,1]
	s_cbranch_vccnz .LBB227_6
; %bb.5:
	v_pk_mov_b32 v[2:3], s[12:13], s[12:13] op_sel:[0,1]
	flat_load_dwordx2 v[16:17], v[2:3] offset:8
.LBB227_6:
	s_load_dwordx4 s[44:47], s[4:5], 0x90
	s_load_dwordx8 s[12:19], s[4:5], 0x70
	s_load_dwordx4 s[48:51], s[4:5], 0x50
	s_load_dwordx8 s[20:27], s[4:5], 0x0
	s_load_dwordx8 s[36:43], s[4:5], 0x30
	v_and_b32_e32 v54, 15, v0
	v_lshrrev_b32_e32 v4, 4, v0
	v_mov_b32_e32 v0, 0x2000
	v_lshl_or_b32 v55, v4, 5, v0
	v_cmp_gt_u32_e64 s[4:5], 8, v54
	s_and_saveexec_b64 s[6:7], s[4:5]
	s_cbranch_execz .LBB227_8
; %bb.7:
	v_lshl_add_u32 v0, v54, 2, v55
	s_waitcnt lgkmcnt(0)
	v_mov_b32_e32 v1, s22
	ds_write_b32 v0, v1
.LBB227_8:
	s_or_b64 exec, exec, s[6:7]
	v_lshlrev_b32_e32 v0, 4, v54
	v_lshl_or_b32 v6, v4, 9, v0
	v_mov_b32_e32 v0, 0
	v_or_b32_e32 v5, -16, v54
	s_mov_b64 s[6:7], 0
	v_mov_b32_e32 v1, v0
	v_mov_b32_e32 v2, v0
	;; [unrolled: 1-line block ×3, first 2 shown]
.LBB227_9:                              ; =>This Inner Loop Header: Depth=1
	v_add_co_u32_e32 v5, vcc, 16, v5
	s_xor_b64 s[10:11], vcc, -1
	s_and_b64 s[10:11], exec, s[10:11]
	ds_write_b128 v6, v[0:3]
	s_or_b64 s[6:7], s[10:11], s[6:7]
	v_add_u32_e32 v6, 0x100, v6
	s_andn2_b64 exec, exec, s[6:7]
	s_cbranch_execnz .LBB227_9
; %bb.10:
	s_or_b64 exec, exec, s[6:7]
	v_lshl_or_b32 v20, s8, 4, v4
	s_waitcnt lgkmcnt(0)
	v_cmp_gt_i32_e32 vcc, s21, v20
	s_barrier
	s_and_saveexec_b64 s[6:7], vcc
	s_cbranch_execz .LBB227_16
; %bb.11:
	s_cmp_eq_u64 s[26:27], 0
	s_cbranch_scc1 .LBB227_13
; %bb.12:
	s_load_dword s6, s[24:25], 0x0
	v_mov_b32_e32 v2, s27
	s_waitcnt lgkmcnt(0)
	v_add_u32_e32 v0, s6, v20
	v_ashrrev_i32_e32 v1, 31, v0
	v_lshlrev_b64 v[0:1], 2, v[0:1]
	v_add_co_u32_e32 v0, vcc, s26, v0
	v_addc_co_u32_e32 v1, vcc, v2, v1, vcc
	global_load_dword v20, v[0:1], off
.LBB227_13:
	v_lshlrev_b32_e32 v56, 9, v4
	s_andn2_b64 vcc, exec, s[52:53]
	s_waitcnt vmcnt(0)
	v_ashrrev_i32_e32 v21, 31, v20
	s_cbranch_vccz .LBB227_17
; %bb.14:
	s_andn2_b64 vcc, exec, s[34:35]
	s_cbranch_vccz .LBB227_72
.LBB227_15:
	s_and_b64 exec, exec, s[4:5]
	s_cbranch_execnz .LBB227_124
.LBB227_16:
	s_endpgm
.LBB227_17:
	v_lshlrev_b64 v[0:1], 3, v[20:21]
	v_mov_b32_e32 v2, s37
	v_add_co_u32_e32 v0, vcc, s36, v0
	v_addc_co_u32_e32 v1, vcc, v2, v1, vcc
	global_load_dwordx4 v[0:3], v[0:1], off
	v_subrev_co_u32_e32 v4, vcc, s28, v54
	v_subb_co_u32_e64 v5, s[6:7], 0, 0, vcc
	s_mov_b32 s21, 0
	s_waitcnt vmcnt(0)
	v_subrev_co_u32_e32 v26, vcc, s28, v2
	v_subbrev_co_u32_e32 v27, vcc, 0, v3, vcc
	v_add_co_u32_e32 v28, vcc, v0, v4
	v_addc_co_u32_e32 v29, vcc, v1, v5, vcc
	v_cmp_lt_i64_e32 vcc, v[28:29], v[26:27]
	s_and_saveexec_b64 s[6:7], vcc
	s_cbranch_execz .LBB227_71
; %bb.18:
	s_cmp_eq_u32 s20, 0
	s_mov_b32 s23, s29
	s_cselect_b32 s33, 1, 2
	s_cselect_b32 s60, 2, 1
	v_add_u32_e32 v57, 16, v56
	v_add_u32_e32 v58, 32, v56
	;; [unrolled: 1-line block ×3, first 2 shown]
	s_mov_b64 s[8:9], 0
	v_mov_b32_e32 v60, s39
	v_mov_b32_e32 v61, s43
	s_branch .LBB227_20
.LBB227_19:                             ;   in Loop: Header=BB227_20 Depth=1
	s_or_b64 exec, exec, s[10:11]
	v_add_co_u32_e32 v28, vcc, 16, v28
	v_addc_co_u32_e32 v29, vcc, 0, v29, vcc
	v_cmp_ge_i64_e32 vcc, v[28:29], v[26:27]
	s_or_b64 s[8:9], vcc, s[8:9]
	s_andn2_b64 exec, exec, s[8:9]
	s_cbranch_execz .LBB227_71
.LBB227_20:                             ; =>This Loop Header: Depth=1
                                        ;     Child Loop BB227_23 Depth 2
                                        ;       Child Loop BB227_25 Depth 3
                                        ;       Child Loop BB227_37 Depth 3
	;; [unrolled: 1-line block ×4, first 2 shown]
	v_lshlrev_b64 v[4:5], 2, v[28:29]
	v_add_co_u32_e32 v0, vcc, s38, v4
	v_addc_co_u32_e32 v1, vcc, v60, v5, vcc
	global_load_dword v0, v[0:1], off
	s_waitcnt vmcnt(0)
	v_subrev_u32_e32 v0, s28, v0
	v_ashrrev_i32_e32 v1, 31, v0
	v_lshlrev_b64 v[0:1], 3, v[0:1]
	v_add_co_u32_e32 v0, vcc, s42, v0
	v_addc_co_u32_e32 v1, vcc, v61, v1, vcc
	global_load_dwordx4 v[0:3], v[0:1], off
	s_waitcnt vmcnt(0)
	v_cmp_lt_i64_e32 vcc, v[0:1], v[2:3]
	s_and_saveexec_b64 s[10:11], vcc
	s_cbranch_execz .LBB227_19
; %bb.21:                               ;   in Loop: Header=BB227_20 Depth=1
	v_lshlrev_b64 v[6:7], 6, v[28:29]
	v_mov_b32_e32 v30, s41
	v_add_co_u32_e32 v14, vcc, s40, v6
	v_addc_co_u32_e32 v15, vcc, v30, v7, vcc
	global_load_dwordx4 v[6:9], v[14:15], off
	global_load_dwordx4 v[10:13], v[14:15], off offset:48
	v_or_b32_e32 v15, 0, v5
	v_or_b32_e32 v14, s33, v4
	v_lshlrev_b64 v[14:15], 4, v[14:15]
	v_add_co_u32_e32 v14, vcc, s40, v14
	v_or_b32_e32 v5, 0, v5
	v_or_b32_e32 v4, s60, v4
	v_addc_co_u32_e32 v15, vcc, v30, v15, vcc
	v_lshlrev_b64 v[4:5], 4, v[4:5]
	v_add_co_u32_e32 v4, vcc, s40, v4
	v_addc_co_u32_e32 v5, vcc, v30, v5, vcc
	global_load_dwordx4 v[50:53], v[14:15], off
	global_load_dwordx4 v[62:65], v[4:5], off
	v_mov_b32_e32 v4, s21
	v_subrev_co_u32_e32 v30, vcc, s23, v2
	v_subb_co_u32_e32 v31, vcc, v3, v4, vcc
	v_subrev_co_u32_e32 v32, vcc, s23, v0
	v_subb_co_u32_e32 v33, vcc, v1, v4, vcc
	s_mov_b64 s[24:25], 0
	s_waitcnt vmcnt(3)
	v_mul_f64 v[34:35], v[8:9], -v[24:25]
	v_mul_f64 v[36:37], v[22:23], v[8:9]
	s_waitcnt vmcnt(2)
	v_mul_f64 v[38:39], v[12:13], -v[24:25]
	v_mul_f64 v[40:41], v[22:23], v[12:13]
	v_fmac_f64_e32 v[34:35], v[22:23], v[6:7]
	v_fmac_f64_e32 v[36:37], v[24:25], v[6:7]
	;; [unrolled: 1-line block ×4, first 2 shown]
	s_waitcnt vmcnt(1)
	v_mul_f64 v[42:43], v[52:53], -v[24:25]
	v_mul_f64 v[44:45], v[22:23], v[52:53]
	s_waitcnt vmcnt(0)
	v_mul_f64 v[46:47], v[64:65], -v[24:25]
	v_mul_f64 v[48:49], v[22:23], v[64:65]
	v_fmac_f64_e32 v[42:43], v[22:23], v[50:51]
	v_fmac_f64_e32 v[44:45], v[24:25], v[50:51]
	;; [unrolled: 1-line block ×4, first 2 shown]
	s_branch .LBB227_23
.LBB227_22:                             ;   in Loop: Header=BB227_23 Depth=2
	s_or_b64 exec, exec, s[26:27]
	v_add_co_u32_e32 v32, vcc, 1, v32
	v_addc_co_u32_e32 v33, vcc, 0, v33, vcc
	v_cmp_ge_i64_e32 vcc, v[32:33], v[30:31]
	s_or_b64 s[24:25], vcc, s[24:25]
	s_andn2_b64 exec, exec, s[24:25]
	s_cbranch_execz .LBB227_19
.LBB227_23:                             ;   Parent Loop BB227_20 Depth=1
                                        ; =>  This Loop Header: Depth=2
                                        ;       Child Loop BB227_25 Depth 3
                                        ;       Child Loop BB227_37 Depth 3
	;; [unrolled: 1-line block ×4, first 2 shown]
	v_lshlrev_b64 v[0:1], 2, v[32:33]
	v_mov_b32_e32 v3, s49
	v_add_co_u32_e32 v2, vcc, s48, v0
	v_addc_co_u32_e32 v3, vcc, v3, v1, vcc
	global_load_dword v62, v[2:3], off
	v_or_b32_e32 v3, 0, v1
	v_or_b32_e32 v2, s33, v0
	;; [unrolled: 1-line block ×4, first 2 shown]
	v_lshlrev_b64 v[0:1], 4, v[0:1]
	v_mov_b32_e32 v6, s51
	v_add_co_u32_e32 v0, vcc, s50, v0
	v_lshlrev_b64 v[4:5], 6, v[32:33]
	v_addc_co_u32_e32 v1, vcc, v6, v1, vcc
	v_add_co_u32_e32 v50, vcc, s50, v4
	global_load_dwordx4 v[12:15], v[0:1], off
	v_addc_co_u32_e32 v51, vcc, v6, v5, vcc
	global_load_dwordx4 v[8:11], v[50:51], off
	v_lshlrev_b64 v[0:1], 4, v[2:3]
	v_add_co_u32_e32 v52, vcc, s50, v0
	v_addc_co_u32_e32 v53, vcc, v6, v1, vcc
	global_load_dwordx4 v[0:3], v[52:53], off
	global_load_dwordx4 v[4:7], v[50:51], off offset:48
	s_mov_b64 s[26:27], 0
	s_waitcnt vmcnt(4)
	v_subrev_u32_e32 v62, s29, v62
	v_and_b32_e32 v63, 7, v62
	v_mov_b32_e32 v64, v63
	s_waitcnt vmcnt(3)
	v_mul_f64 v[52:53], v[14:15], -v[44:45]
	v_mul_f64 v[50:51], v[42:43], v[14:15]
	v_fmac_f64_e32 v[52:53], v[42:43], v[12:13]
	v_fmac_f64_e32 v[50:51], v[44:45], v[12:13]
	s_waitcnt vmcnt(2)
	v_fmac_f64_e32 v[52:53], v[34:35], v[8:9]
	v_fmac_f64_e32 v[50:51], v[36:37], v[8:9]
	v_fma_f64 v[52:53], -v[36:37], v[10:11], v[52:53]
	v_fmac_f64_e32 v[50:51], v[34:35], v[10:11]
	s_branch .LBB227_25
.LBB227_24:                             ;   in Loop: Header=BB227_25 Depth=3
	s_or_b64 exec, exec, s[36:37]
	s_xor_b64 s[36:37], s[52:53], -1
	s_and_b64 s[36:37], exec, s[36:37]
	s_or_b64 s[26:27], s[36:37], s[26:27]
	s_andn2_b64 exec, exec, s[26:27]
	s_cbranch_execz .LBB227_35
.LBB227_25:                             ;   Parent Loop BB227_20 Depth=1
                                        ;     Parent Loop BB227_23 Depth=2
                                        ; =>    This Inner Loop Header: Depth=3
	v_lshl_add_u32 v65, v64, 2, v55
	ds_read_b32 v66, v65
                                        ; implicit-def: $sgpr52_sgpr53
	s_waitcnt lgkmcnt(0)
	v_cmp_ne_u32_e32 vcc, v66, v62
	s_and_saveexec_b64 s[36:37], vcc
	s_xor_b64 s[36:37], exec, s[36:37]
	s_cbranch_execz .LBB227_33
; %bb.26:                               ;   in Loop: Header=BB227_25 Depth=3
	v_cmp_ne_u32_e32 vcc, s22, v66
                                        ; implicit-def: $sgpr52_sgpr53
	s_and_saveexec_b64 s[54:55], vcc
	s_xor_b64 s[54:55], exec, s[54:55]
; %bb.27:                               ;   in Loop: Header=BB227_25 Depth=3
	v_add_u32_e32 v64, 1, v64
	v_and_b32_e32 v64, 7, v64
	s_mov_b64 s[52:53], -1
                                        ; implicit-def: $vgpr65
; %bb.28:                               ;   in Loop: Header=BB227_25 Depth=3
	s_andn2_saveexec_b64 s[54:55], s[54:55]
	s_cbranch_execz .LBB227_32
; %bb.29:                               ;   in Loop: Header=BB227_25 Depth=3
	v_mov_b32_e32 v66, s22
	ds_cmpst_rtn_b32 v65, v65, v66, v62
	s_mov_b64 s[56:57], -1
	s_waitcnt lgkmcnt(0)
	v_cmp_eq_u32_e32 vcc, s22, v65
	s_and_saveexec_b64 s[58:59], vcc
	s_cbranch_execz .LBB227_31
; %bb.30:                               ;   in Loop: Header=BB227_25 Depth=3
	v_lshl_add_u32 v65, v64, 6, v56
	ds_add_f64 v65, v[52:53]
	ds_add_f64 v65, v[50:51] offset:8
	s_xor_b64 s[56:57], exec, -1
.LBB227_31:                             ;   in Loop: Header=BB227_25 Depth=3
	s_or_b64 exec, exec, s[58:59]
	s_andn2_b64 s[52:53], s[52:53], exec
	s_and_b64 s[56:57], s[56:57], exec
	s_or_b64 s[52:53], s[52:53], s[56:57]
.LBB227_32:                             ;   in Loop: Header=BB227_25 Depth=3
	s_or_b64 exec, exec, s[54:55]
	s_and_b64 s[52:53], s[52:53], exec
.LBB227_33:                             ;   in Loop: Header=BB227_25 Depth=3
	s_andn2_saveexec_b64 s[36:37], s[36:37]
	s_cbranch_execz .LBB227_24
; %bb.34:                               ;   in Loop: Header=BB227_25 Depth=3
	v_lshl_add_u32 v65, v64, 6, v56
	ds_add_f64 v65, v[52:53]
	ds_add_f64 v65, v[50:51] offset:8
	s_andn2_b64 s[52:53], s[52:53], exec
	s_branch .LBB227_24
.LBB227_35:                             ;   in Loop: Header=BB227_23 Depth=2
	s_or_b64 exec, exec, s[26:27]
	s_waitcnt vmcnt(0)
	v_mul_f64 v[52:53], v[6:7], -v[44:45]
	v_mul_f64 v[50:51], v[42:43], v[6:7]
	v_fmac_f64_e32 v[52:53], v[42:43], v[4:5]
	v_fmac_f64_e32 v[50:51], v[44:45], v[4:5]
	;; [unrolled: 1-line block ×4, first 2 shown]
	v_fma_f64 v[52:53], -v[36:37], v[2:3], v[52:53]
	v_fmac_f64_e32 v[50:51], v[34:35], v[2:3]
	s_mov_b64 s[26:27], 0
	v_mov_b32_e32 v64, v63
	s_branch .LBB227_37
.LBB227_36:                             ;   in Loop: Header=BB227_37 Depth=3
	s_or_b64 exec, exec, s[36:37]
	s_xor_b64 s[36:37], s[52:53], -1
	s_and_b64 s[36:37], exec, s[36:37]
	s_or_b64 s[26:27], s[36:37], s[26:27]
	s_andn2_b64 exec, exec, s[26:27]
	s_cbranch_execz .LBB227_47
.LBB227_37:                             ;   Parent Loop BB227_20 Depth=1
                                        ;     Parent Loop BB227_23 Depth=2
                                        ; =>    This Inner Loop Header: Depth=3
	v_lshl_add_u32 v65, v64, 2, v55
	ds_read_b32 v66, v65
                                        ; implicit-def: $sgpr52_sgpr53
	s_waitcnt lgkmcnt(0)
	v_cmp_ne_u32_e32 vcc, v66, v62
	s_and_saveexec_b64 s[36:37], vcc
	s_xor_b64 s[36:37], exec, s[36:37]
	s_cbranch_execz .LBB227_45
; %bb.38:                               ;   in Loop: Header=BB227_37 Depth=3
	v_cmp_ne_u32_e32 vcc, s22, v66
                                        ; implicit-def: $sgpr52_sgpr53
	s_and_saveexec_b64 s[54:55], vcc
	s_xor_b64 s[54:55], exec, s[54:55]
; %bb.39:                               ;   in Loop: Header=BB227_37 Depth=3
	v_add_u32_e32 v64, 1, v64
	v_and_b32_e32 v64, 7, v64
	s_mov_b64 s[52:53], -1
                                        ; implicit-def: $vgpr65
; %bb.40:                               ;   in Loop: Header=BB227_37 Depth=3
	s_andn2_saveexec_b64 s[54:55], s[54:55]
	s_cbranch_execz .LBB227_44
; %bb.41:                               ;   in Loop: Header=BB227_37 Depth=3
	v_mov_b32_e32 v66, s22
	ds_cmpst_rtn_b32 v65, v65, v66, v62
	s_mov_b64 s[56:57], -1
	s_waitcnt lgkmcnt(0)
	v_cmp_eq_u32_e32 vcc, s22, v65
	s_and_saveexec_b64 s[58:59], vcc
	s_cbranch_execz .LBB227_43
; %bb.42:                               ;   in Loop: Header=BB227_37 Depth=3
	v_lshl_add_u32 v65, v64, 6, v57
	ds_add_f64 v65, v[52:53]
	ds_add_f64 v65, v[50:51] offset:8
	s_xor_b64 s[56:57], exec, -1
.LBB227_43:                             ;   in Loop: Header=BB227_37 Depth=3
	s_or_b64 exec, exec, s[58:59]
	s_andn2_b64 s[52:53], s[52:53], exec
	s_and_b64 s[56:57], s[56:57], exec
	s_or_b64 s[52:53], s[52:53], s[56:57]
.LBB227_44:                             ;   in Loop: Header=BB227_37 Depth=3
	s_or_b64 exec, exec, s[54:55]
	s_and_b64 s[52:53], s[52:53], exec
.LBB227_45:                             ;   in Loop: Header=BB227_37 Depth=3
	s_andn2_saveexec_b64 s[36:37], s[36:37]
	s_cbranch_execz .LBB227_36
; %bb.46:                               ;   in Loop: Header=BB227_37 Depth=3
	v_lshl_add_u32 v65, v64, 6, v57
	ds_add_f64 v65, v[52:53]
	ds_add_f64 v65, v[50:51] offset:8
	s_andn2_b64 s[52:53], s[52:53], exec
	s_branch .LBB227_36
.LBB227_47:                             ;   in Loop: Header=BB227_23 Depth=2
	s_or_b64 exec, exec, s[26:27]
	v_mul_f64 v[50:51], v[14:15], -v[40:41]
	v_mul_f64 v[14:15], v[38:39], v[14:15]
	v_fmac_f64_e32 v[50:51], v[38:39], v[12:13]
	v_fmac_f64_e32 v[14:15], v[40:41], v[12:13]
	;; [unrolled: 1-line block ×4, first 2 shown]
	v_fma_f64 v[12:13], -v[48:49], v[10:11], v[50:51]
	v_fmac_f64_e32 v[14:15], v[46:47], v[10:11]
	s_mov_b64 s[26:27], 0
	v_mov_b32_e32 v8, v63
	s_branch .LBB227_49
.LBB227_48:                             ;   in Loop: Header=BB227_49 Depth=3
	s_or_b64 exec, exec, s[36:37]
	s_xor_b64 s[36:37], s[52:53], -1
	s_and_b64 s[36:37], exec, s[36:37]
	s_or_b64 s[26:27], s[36:37], s[26:27]
	s_andn2_b64 exec, exec, s[26:27]
	s_cbranch_execz .LBB227_59
.LBB227_49:                             ;   Parent Loop BB227_20 Depth=1
                                        ;     Parent Loop BB227_23 Depth=2
                                        ; =>    This Inner Loop Header: Depth=3
	v_lshl_add_u32 v9, v8, 2, v55
	ds_read_b32 v10, v9
                                        ; implicit-def: $sgpr52_sgpr53
	s_waitcnt lgkmcnt(0)
	v_cmp_ne_u32_e32 vcc, v10, v62
	s_and_saveexec_b64 s[36:37], vcc
	s_xor_b64 s[36:37], exec, s[36:37]
	s_cbranch_execz .LBB227_57
; %bb.50:                               ;   in Loop: Header=BB227_49 Depth=3
	v_cmp_ne_u32_e32 vcc, s22, v10
                                        ; implicit-def: $sgpr52_sgpr53
	s_and_saveexec_b64 s[54:55], vcc
	s_xor_b64 s[54:55], exec, s[54:55]
; %bb.51:                               ;   in Loop: Header=BB227_49 Depth=3
	v_add_u32_e32 v8, 1, v8
	v_and_b32_e32 v8, 7, v8
	s_mov_b64 s[52:53], -1
                                        ; implicit-def: $vgpr9
; %bb.52:                               ;   in Loop: Header=BB227_49 Depth=3
	s_andn2_saveexec_b64 s[54:55], s[54:55]
	s_cbranch_execz .LBB227_56
; %bb.53:                               ;   in Loop: Header=BB227_49 Depth=3
	v_mov_b32_e32 v10, s22
	ds_cmpst_rtn_b32 v9, v9, v10, v62
	s_mov_b64 s[56:57], -1
	s_waitcnt lgkmcnt(0)
	v_cmp_eq_u32_e32 vcc, s22, v9
	s_and_saveexec_b64 s[58:59], vcc
	s_cbranch_execz .LBB227_55
; %bb.54:                               ;   in Loop: Header=BB227_49 Depth=3
	v_lshl_add_u32 v9, v8, 6, v58
	ds_add_f64 v9, v[12:13]
	ds_add_f64 v9, v[14:15] offset:8
	s_xor_b64 s[56:57], exec, -1
.LBB227_55:                             ;   in Loop: Header=BB227_49 Depth=3
	s_or_b64 exec, exec, s[58:59]
	s_andn2_b64 s[52:53], s[52:53], exec
	s_and_b64 s[56:57], s[56:57], exec
	s_or_b64 s[52:53], s[52:53], s[56:57]
.LBB227_56:                             ;   in Loop: Header=BB227_49 Depth=3
	s_or_b64 exec, exec, s[54:55]
	s_and_b64 s[52:53], s[52:53], exec
.LBB227_57:                             ;   in Loop: Header=BB227_49 Depth=3
	s_andn2_saveexec_b64 s[36:37], s[36:37]
	s_cbranch_execz .LBB227_48
; %bb.58:                               ;   in Loop: Header=BB227_49 Depth=3
	v_lshl_add_u32 v9, v8, 6, v58
	ds_add_f64 v9, v[12:13]
	ds_add_f64 v9, v[14:15] offset:8
	s_andn2_b64 s[52:53], s[52:53], exec
	s_branch .LBB227_48
.LBB227_59:                             ;   in Loop: Header=BB227_23 Depth=2
	s_or_b64 exec, exec, s[26:27]
	v_mul_f64 v[8:9], v[6:7], -v[40:41]
	v_mul_f64 v[6:7], v[38:39], v[6:7]
	v_fmac_f64_e32 v[8:9], v[38:39], v[4:5]
	v_fmac_f64_e32 v[6:7], v[40:41], v[4:5]
	;; [unrolled: 1-line block ×4, first 2 shown]
	v_fma_f64 v[4:5], -v[48:49], v[2:3], v[8:9]
	v_fmac_f64_e32 v[6:7], v[46:47], v[2:3]
	s_mov_b64 s[26:27], 0
	s_branch .LBB227_61
.LBB227_60:                             ;   in Loop: Header=BB227_61 Depth=3
	s_or_b64 exec, exec, s[36:37]
	s_xor_b64 s[36:37], s[52:53], -1
	s_and_b64 s[36:37], exec, s[36:37]
	s_or_b64 s[26:27], s[36:37], s[26:27]
	s_andn2_b64 exec, exec, s[26:27]
	s_cbranch_execz .LBB227_22
.LBB227_61:                             ;   Parent Loop BB227_20 Depth=1
                                        ;     Parent Loop BB227_23 Depth=2
                                        ; =>    This Inner Loop Header: Depth=3
	v_lshl_add_u32 v0, v63, 2, v55
	ds_read_b32 v1, v0
                                        ; implicit-def: $sgpr52_sgpr53
	s_waitcnt lgkmcnt(0)
	v_cmp_ne_u32_e32 vcc, v1, v62
	s_and_saveexec_b64 s[36:37], vcc
	s_xor_b64 s[36:37], exec, s[36:37]
	s_cbranch_execz .LBB227_69
; %bb.62:                               ;   in Loop: Header=BB227_61 Depth=3
	v_cmp_ne_u32_e32 vcc, s22, v1
                                        ; implicit-def: $sgpr52_sgpr53
	s_and_saveexec_b64 s[54:55], vcc
	s_xor_b64 s[54:55], exec, s[54:55]
; %bb.63:                               ;   in Loop: Header=BB227_61 Depth=3
	v_add_u32_e32 v0, 1, v63
	v_and_b32_e32 v63, 7, v0
	s_mov_b64 s[52:53], -1
                                        ; implicit-def: $vgpr0
; %bb.64:                               ;   in Loop: Header=BB227_61 Depth=3
	s_andn2_saveexec_b64 s[54:55], s[54:55]
	s_cbranch_execz .LBB227_68
; %bb.65:                               ;   in Loop: Header=BB227_61 Depth=3
	v_mov_b32_e32 v1, s22
	ds_cmpst_rtn_b32 v0, v0, v1, v62
	s_mov_b64 s[56:57], -1
	s_waitcnt lgkmcnt(0)
	v_cmp_eq_u32_e32 vcc, s22, v0
	s_and_saveexec_b64 s[58:59], vcc
	s_cbranch_execz .LBB227_67
; %bb.66:                               ;   in Loop: Header=BB227_61 Depth=3
	v_lshl_add_u32 v0, v63, 6, v59
	ds_add_f64 v0, v[4:5]
	ds_add_f64 v0, v[6:7] offset:8
	s_xor_b64 s[56:57], exec, -1
.LBB227_67:                             ;   in Loop: Header=BB227_61 Depth=3
	s_or_b64 exec, exec, s[58:59]
	s_andn2_b64 s[52:53], s[52:53], exec
	s_and_b64 s[56:57], s[56:57], exec
	s_or_b64 s[52:53], s[52:53], s[56:57]
.LBB227_68:                             ;   in Loop: Header=BB227_61 Depth=3
	s_or_b64 exec, exec, s[54:55]
	s_and_b64 s[52:53], s[52:53], exec
.LBB227_69:                             ;   in Loop: Header=BB227_61 Depth=3
	s_andn2_saveexec_b64 s[36:37], s[36:37]
	s_cbranch_execz .LBB227_60
; %bb.70:                               ;   in Loop: Header=BB227_61 Depth=3
	v_lshl_add_u32 v0, v63, 6, v59
	ds_add_f64 v0, v[4:5]
	ds_add_f64 v0, v[6:7] offset:8
	s_andn2_b64 s[52:53], s[52:53], exec
	s_branch .LBB227_60
.LBB227_71:
	s_or_b64 exec, exec, s[6:7]
	s_andn2_b64 vcc, exec, s[34:35]
	s_waitcnt lgkmcnt(0)
	s_cbranch_vccnz .LBB227_15
.LBB227_72:
	v_lshlrev_b64 v[0:1], 3, v[20:21]
	v_mov_b32_e32 v2, s13
	v_add_co_u32_e32 v0, vcc, s12, v0
	v_addc_co_u32_e32 v1, vcc, v2, v1, vcc
	global_load_dwordx4 v[0:3], v[0:1], off
	v_subrev_co_u32_e32 v4, vcc, s31, v54
	v_subb_co_u32_e64 v5, s[6:7], 0, 0, vcc
	s_waitcnt vmcnt(0)
	v_subrev_co_u32_e32 v12, vcc, s31, v2
	v_subbrev_co_u32_e32 v13, vcc, 0, v3, vcc
	v_add_co_u32_e32 v14, vcc, v0, v4
	v_addc_co_u32_e32 v15, vcc, v1, v5, vcc
	v_cmp_lt_i64_e32 vcc, v[14:15], v[12:13]
	s_and_saveexec_b64 s[6:7], vcc
	s_cbranch_execz .LBB227_123
; %bb.73:
	s_cmp_eq_u32 s20, 0
	s_cselect_b32 s21, 1, 2
	s_cselect_b32 s23, 2, 1
	v_add_u32_e32 v26, 16, v56
	v_add_u32_e32 v27, 32, v56
	;; [unrolled: 1-line block ×3, first 2 shown]
	s_mov_b64 s[8:9], 0
	v_mov_b32_e32 v29, s17
	v_mov_b32_e32 v30, s15
	s_branch .LBB227_75
.LBB227_74:                             ;   in Loop: Header=BB227_75 Depth=1
	s_or_b64 exec, exec, s[10:11]
	v_add_co_u32_e32 v14, vcc, 16, v14
	v_addc_co_u32_e32 v15, vcc, 0, v15, vcc
	v_cmp_ge_i64_e32 vcc, v[14:15], v[12:13]
	s_or_b64 s[8:9], vcc, s[8:9]
	s_andn2_b64 exec, exec, s[8:9]
	s_cbranch_execz .LBB227_123
.LBB227_75:                             ; =>This Loop Header: Depth=1
                                        ;     Child Loop BB227_77 Depth 2
                                        ;     Child Loop BB227_89 Depth 2
                                        ;     Child Loop BB227_101 Depth 2
                                        ;     Child Loop BB227_113 Depth 2
	v_lshlrev_b64 v[0:1], 6, v[14:15]
	v_add_co_u32_e32 v6, vcc, s16, v0
	v_lshlrev_b64 v[4:5], 2, v[14:15]
	v_addc_co_u32_e32 v7, vcc, v29, v1, vcc
	global_load_dwordx4 v[32:35], v[6:7], off
	global_load_dwordx4 v[0:3], v[6:7], off offset:48
	v_or_b32_e32 v7, 0, v5
	v_or_b32_e32 v6, s21, v4
	v_lshlrev_b64 v[6:7], 4, v[6:7]
	v_add_co_u32_e32 v22, vcc, s16, v6
	v_addc_co_u32_e32 v23, vcc, v29, v7, vcc
	v_or_b32_e32 v6, s23, v4
	v_add_co_u32_e32 v4, vcc, s14, v4
	v_or_b32_e32 v7, 0, v5
	v_addc_co_u32_e32 v5, vcc, v30, v5, vcc
	global_load_dword v31, v[4:5], off
	v_lshlrev_b64 v[6:7], 4, v[6:7]
	v_add_co_u32_e32 v24, vcc, s16, v6
	v_addc_co_u32_e32 v25, vcc, v29, v7, vcc
	global_load_dwordx4 v[8:11], v[22:23], off
	global_load_dwordx4 v[4:7], v[24:25], off
	s_mov_b64 s[10:11], 0
	s_waitcnt vmcnt(4)
	v_mul_f64 v[22:23], v[34:35], -v[16:17]
	v_mul_f64 v[24:25], v[18:19], v[34:35]
	v_fmac_f64_e32 v[22:23], v[18:19], v[32:33]
	v_fmac_f64_e32 v[24:25], v[16:17], v[32:33]
	s_waitcnt vmcnt(2)
	v_subrev_u32_e32 v31, s31, v31
	v_and_b32_e32 v32, 7, v31
	v_mov_b32_e32 v33, v32
	s_branch .LBB227_77
.LBB227_76:                             ;   in Loop: Header=BB227_77 Depth=2
	s_or_b64 exec, exec, s[12:13]
	s_xor_b64 s[12:13], s[24:25], -1
	s_and_b64 s[12:13], exec, s[12:13]
	s_or_b64 s[10:11], s[12:13], s[10:11]
	s_andn2_b64 exec, exec, s[10:11]
	s_cbranch_execz .LBB227_87
.LBB227_77:                             ;   Parent Loop BB227_75 Depth=1
                                        ; =>  This Inner Loop Header: Depth=2
	v_lshl_add_u32 v34, v33, 2, v55
	ds_read_b32 v35, v34
                                        ; implicit-def: $sgpr24_sgpr25
	s_waitcnt lgkmcnt(0)
	v_cmp_ne_u32_e32 vcc, v35, v31
	s_and_saveexec_b64 s[12:13], vcc
	s_xor_b64 s[12:13], exec, s[12:13]
	s_cbranch_execz .LBB227_85
; %bb.78:                               ;   in Loop: Header=BB227_77 Depth=2
	v_cmp_ne_u32_e32 vcc, s22, v35
                                        ; implicit-def: $sgpr24_sgpr25
	s_and_saveexec_b64 s[26:27], vcc
	s_xor_b64 s[26:27], exec, s[26:27]
; %bb.79:                               ;   in Loop: Header=BB227_77 Depth=2
	v_add_u32_e32 v33, 1, v33
	v_and_b32_e32 v33, 7, v33
	s_mov_b64 s[24:25], -1
                                        ; implicit-def: $vgpr34
; %bb.80:                               ;   in Loop: Header=BB227_77 Depth=2
	s_andn2_saveexec_b64 s[26:27], s[26:27]
	s_cbranch_execz .LBB227_84
; %bb.81:                               ;   in Loop: Header=BB227_77 Depth=2
	v_mov_b32_e32 v35, s22
	ds_cmpst_rtn_b32 v34, v34, v35, v31
	s_mov_b64 s[28:29], -1
	s_waitcnt lgkmcnt(0)
	v_cmp_eq_u32_e32 vcc, s22, v34
	s_and_saveexec_b64 s[34:35], vcc
	s_cbranch_execz .LBB227_83
; %bb.82:                               ;   in Loop: Header=BB227_77 Depth=2
	v_lshl_add_u32 v34, v33, 6, v56
	ds_add_f64 v34, v[22:23]
	ds_add_f64 v34, v[24:25] offset:8
	s_xor_b64 s[28:29], exec, -1
.LBB227_83:                             ;   in Loop: Header=BB227_77 Depth=2
	s_or_b64 exec, exec, s[34:35]
	s_andn2_b64 s[24:25], s[24:25], exec
	s_and_b64 s[28:29], s[28:29], exec
	s_or_b64 s[24:25], s[24:25], s[28:29]
.LBB227_84:                             ;   in Loop: Header=BB227_77 Depth=2
	s_or_b64 exec, exec, s[26:27]
	s_and_b64 s[24:25], s[24:25], exec
.LBB227_85:                             ;   in Loop: Header=BB227_77 Depth=2
	s_andn2_saveexec_b64 s[12:13], s[12:13]
	s_cbranch_execz .LBB227_76
; %bb.86:                               ;   in Loop: Header=BB227_77 Depth=2
	v_lshl_add_u32 v34, v33, 6, v56
	ds_add_f64 v34, v[22:23]
	ds_add_f64 v34, v[24:25] offset:8
	s_andn2_b64 s[24:25], s[24:25], exec
	s_branch .LBB227_76
.LBB227_87:                             ;   in Loop: Header=BB227_75 Depth=1
	s_or_b64 exec, exec, s[10:11]
	s_waitcnt vmcnt(1)
	v_mul_f64 v[22:23], v[10:11], -v[16:17]
	v_mul_f64 v[10:11], v[18:19], v[10:11]
	v_fmac_f64_e32 v[22:23], v[18:19], v[8:9]
	v_fmac_f64_e32 v[10:11], v[16:17], v[8:9]
	s_mov_b64 s[10:11], 0
	v_mov_b32_e32 v8, v32
	s_branch .LBB227_89
.LBB227_88:                             ;   in Loop: Header=BB227_89 Depth=2
	s_or_b64 exec, exec, s[12:13]
	s_xor_b64 s[12:13], s[24:25], -1
	s_and_b64 s[12:13], exec, s[12:13]
	s_or_b64 s[10:11], s[12:13], s[10:11]
	s_andn2_b64 exec, exec, s[10:11]
	s_cbranch_execz .LBB227_99
.LBB227_89:                             ;   Parent Loop BB227_75 Depth=1
                                        ; =>  This Inner Loop Header: Depth=2
	v_lshl_add_u32 v9, v8, 2, v55
	ds_read_b32 v24, v9
                                        ; implicit-def: $sgpr24_sgpr25
	s_waitcnt lgkmcnt(0)
	v_cmp_ne_u32_e32 vcc, v24, v31
	s_and_saveexec_b64 s[12:13], vcc
	s_xor_b64 s[12:13], exec, s[12:13]
	s_cbranch_execz .LBB227_97
; %bb.90:                               ;   in Loop: Header=BB227_89 Depth=2
	v_cmp_ne_u32_e32 vcc, s22, v24
                                        ; implicit-def: $sgpr24_sgpr25
	s_and_saveexec_b64 s[26:27], vcc
	s_xor_b64 s[26:27], exec, s[26:27]
; %bb.91:                               ;   in Loop: Header=BB227_89 Depth=2
	v_add_u32_e32 v8, 1, v8
	v_and_b32_e32 v8, 7, v8
	s_mov_b64 s[24:25], -1
                                        ; implicit-def: $vgpr9
; %bb.92:                               ;   in Loop: Header=BB227_89 Depth=2
	s_andn2_saveexec_b64 s[26:27], s[26:27]
	s_cbranch_execz .LBB227_96
; %bb.93:                               ;   in Loop: Header=BB227_89 Depth=2
	v_mov_b32_e32 v24, s22
	ds_cmpst_rtn_b32 v9, v9, v24, v31
	s_mov_b64 s[28:29], -1
	s_waitcnt lgkmcnt(0)
	v_cmp_eq_u32_e32 vcc, s22, v9
	s_and_saveexec_b64 s[34:35], vcc
	s_cbranch_execz .LBB227_95
; %bb.94:                               ;   in Loop: Header=BB227_89 Depth=2
	v_lshl_add_u32 v9, v8, 6, v26
	ds_add_f64 v9, v[22:23]
	ds_add_f64 v9, v[10:11] offset:8
	s_xor_b64 s[28:29], exec, -1
.LBB227_95:                             ;   in Loop: Header=BB227_89 Depth=2
	s_or_b64 exec, exec, s[34:35]
	s_andn2_b64 s[24:25], s[24:25], exec
	s_and_b64 s[28:29], s[28:29], exec
	s_or_b64 s[24:25], s[24:25], s[28:29]
.LBB227_96:                             ;   in Loop: Header=BB227_89 Depth=2
	s_or_b64 exec, exec, s[26:27]
	s_and_b64 s[24:25], s[24:25], exec
.LBB227_97:                             ;   in Loop: Header=BB227_89 Depth=2
	s_andn2_saveexec_b64 s[12:13], s[12:13]
	s_cbranch_execz .LBB227_88
; %bb.98:                               ;   in Loop: Header=BB227_89 Depth=2
	v_lshl_add_u32 v9, v8, 6, v26
	ds_add_f64 v9, v[22:23]
	ds_add_f64 v9, v[10:11] offset:8
	s_andn2_b64 s[24:25], s[24:25], exec
	s_branch .LBB227_88
.LBB227_99:                             ;   in Loop: Header=BB227_75 Depth=1
	s_or_b64 exec, exec, s[10:11]
	s_waitcnt vmcnt(0)
	v_mul_f64 v[8:9], v[6:7], -v[16:17]
	v_mul_f64 v[6:7], v[18:19], v[6:7]
	v_fmac_f64_e32 v[8:9], v[18:19], v[4:5]
	v_fmac_f64_e32 v[6:7], v[16:17], v[4:5]
	s_mov_b64 s[10:11], 0
	v_mov_b32_e32 v4, v32
	s_branch .LBB227_101
.LBB227_100:                            ;   in Loop: Header=BB227_101 Depth=2
	s_or_b64 exec, exec, s[12:13]
	s_xor_b64 s[12:13], s[24:25], -1
	s_and_b64 s[12:13], exec, s[12:13]
	s_or_b64 s[10:11], s[12:13], s[10:11]
	s_andn2_b64 exec, exec, s[10:11]
	s_cbranch_execz .LBB227_111
.LBB227_101:                            ;   Parent Loop BB227_75 Depth=1
                                        ; =>  This Inner Loop Header: Depth=2
	v_lshl_add_u32 v5, v4, 2, v55
	ds_read_b32 v10, v5
                                        ; implicit-def: $sgpr24_sgpr25
	s_waitcnt lgkmcnt(0)
	v_cmp_ne_u32_e32 vcc, v10, v31
	s_and_saveexec_b64 s[12:13], vcc
	s_xor_b64 s[12:13], exec, s[12:13]
	s_cbranch_execz .LBB227_109
; %bb.102:                              ;   in Loop: Header=BB227_101 Depth=2
	v_cmp_ne_u32_e32 vcc, s22, v10
                                        ; implicit-def: $sgpr24_sgpr25
	s_and_saveexec_b64 s[26:27], vcc
	s_xor_b64 s[26:27], exec, s[26:27]
; %bb.103:                              ;   in Loop: Header=BB227_101 Depth=2
	v_add_u32_e32 v4, 1, v4
	v_and_b32_e32 v4, 7, v4
	s_mov_b64 s[24:25], -1
                                        ; implicit-def: $vgpr5
; %bb.104:                              ;   in Loop: Header=BB227_101 Depth=2
	s_andn2_saveexec_b64 s[26:27], s[26:27]
	s_cbranch_execz .LBB227_108
; %bb.105:                              ;   in Loop: Header=BB227_101 Depth=2
	v_mov_b32_e32 v10, s22
	ds_cmpst_rtn_b32 v5, v5, v10, v31
	s_mov_b64 s[28:29], -1
	s_waitcnt lgkmcnt(0)
	v_cmp_eq_u32_e32 vcc, s22, v5
	s_and_saveexec_b64 s[34:35], vcc
	s_cbranch_execz .LBB227_107
; %bb.106:                              ;   in Loop: Header=BB227_101 Depth=2
	v_lshl_add_u32 v5, v4, 6, v27
	ds_add_f64 v5, v[8:9]
	ds_add_f64 v5, v[6:7] offset:8
	s_xor_b64 s[28:29], exec, -1
.LBB227_107:                            ;   in Loop: Header=BB227_101 Depth=2
	s_or_b64 exec, exec, s[34:35]
	s_andn2_b64 s[24:25], s[24:25], exec
	s_and_b64 s[28:29], s[28:29], exec
	s_or_b64 s[24:25], s[24:25], s[28:29]
.LBB227_108:                            ;   in Loop: Header=BB227_101 Depth=2
	s_or_b64 exec, exec, s[26:27]
	s_and_b64 s[24:25], s[24:25], exec
.LBB227_109:                            ;   in Loop: Header=BB227_101 Depth=2
	s_andn2_saveexec_b64 s[12:13], s[12:13]
	s_cbranch_execz .LBB227_100
; %bb.110:                              ;   in Loop: Header=BB227_101 Depth=2
	v_lshl_add_u32 v5, v4, 6, v27
	ds_add_f64 v5, v[8:9]
	ds_add_f64 v5, v[6:7] offset:8
	s_andn2_b64 s[24:25], s[24:25], exec
	s_branch .LBB227_100
.LBB227_111:                            ;   in Loop: Header=BB227_75 Depth=1
	s_or_b64 exec, exec, s[10:11]
	v_mul_f64 v[4:5], v[2:3], -v[16:17]
	v_mul_f64 v[2:3], v[18:19], v[2:3]
	v_fmac_f64_e32 v[4:5], v[18:19], v[0:1]
	v_fmac_f64_e32 v[2:3], v[16:17], v[0:1]
	s_mov_b64 s[10:11], 0
	s_branch .LBB227_113
.LBB227_112:                            ;   in Loop: Header=BB227_113 Depth=2
	s_or_b64 exec, exec, s[12:13]
	s_xor_b64 s[12:13], s[24:25], -1
	s_and_b64 s[12:13], exec, s[12:13]
	s_or_b64 s[10:11], s[12:13], s[10:11]
	s_andn2_b64 exec, exec, s[10:11]
	s_cbranch_execz .LBB227_74
.LBB227_113:                            ;   Parent Loop BB227_75 Depth=1
                                        ; =>  This Inner Loop Header: Depth=2
	v_lshl_add_u32 v0, v32, 2, v55
	ds_read_b32 v1, v0
                                        ; implicit-def: $sgpr24_sgpr25
	s_waitcnt lgkmcnt(0)
	v_cmp_ne_u32_e32 vcc, v1, v31
	s_and_saveexec_b64 s[12:13], vcc
	s_xor_b64 s[12:13], exec, s[12:13]
	s_cbranch_execz .LBB227_121
; %bb.114:                              ;   in Loop: Header=BB227_113 Depth=2
	v_cmp_ne_u32_e32 vcc, s22, v1
                                        ; implicit-def: $sgpr24_sgpr25
	s_and_saveexec_b64 s[26:27], vcc
	s_xor_b64 s[26:27], exec, s[26:27]
; %bb.115:                              ;   in Loop: Header=BB227_113 Depth=2
	v_add_u32_e32 v0, 1, v32
	v_and_b32_e32 v32, 7, v0
	s_mov_b64 s[24:25], -1
                                        ; implicit-def: $vgpr0
; %bb.116:                              ;   in Loop: Header=BB227_113 Depth=2
	s_andn2_saveexec_b64 s[26:27], s[26:27]
	s_cbranch_execz .LBB227_120
; %bb.117:                              ;   in Loop: Header=BB227_113 Depth=2
	v_mov_b32_e32 v1, s22
	ds_cmpst_rtn_b32 v0, v0, v1, v31
	s_mov_b64 s[28:29], -1
	s_waitcnt lgkmcnt(0)
	v_cmp_eq_u32_e32 vcc, s22, v0
	s_and_saveexec_b64 s[34:35], vcc
	s_cbranch_execz .LBB227_119
; %bb.118:                              ;   in Loop: Header=BB227_113 Depth=2
	v_lshl_add_u32 v0, v32, 6, v28
	ds_add_f64 v0, v[4:5]
	ds_add_f64 v0, v[2:3] offset:8
	s_xor_b64 s[28:29], exec, -1
.LBB227_119:                            ;   in Loop: Header=BB227_113 Depth=2
	s_or_b64 exec, exec, s[34:35]
	s_andn2_b64 s[24:25], s[24:25], exec
	s_and_b64 s[28:29], s[28:29], exec
	s_or_b64 s[24:25], s[24:25], s[28:29]
.LBB227_120:                            ;   in Loop: Header=BB227_113 Depth=2
	s_or_b64 exec, exec, s[26:27]
	s_and_b64 s[24:25], s[24:25], exec
.LBB227_121:                            ;   in Loop: Header=BB227_113 Depth=2
	s_andn2_saveexec_b64 s[12:13], s[12:13]
	s_cbranch_execz .LBB227_112
; %bb.122:                              ;   in Loop: Header=BB227_113 Depth=2
	v_lshl_add_u32 v0, v32, 6, v28
	ds_add_f64 v0, v[4:5]
	ds_add_f64 v0, v[2:3] offset:8
	s_andn2_b64 s[24:25], s[24:25], exec
	s_branch .LBB227_112
.LBB227_123:
	s_or_b64 exec, exec, s[6:7]
	s_waitcnt lgkmcnt(0)
	s_and_b64 exec, exec, s[4:5]
	s_cbranch_execz .LBB227_16
.LBB227_124:
	v_lshl_add_u32 v0, v54, 2, v55
	ds_read_b32 v0, v0
	s_waitcnt lgkmcnt(0)
	v_cmp_gt_i32_e32 vcc, s22, v0
	s_and_b64 exec, exec, vcc
	s_cbranch_execz .LBB227_16
; %bb.125:
	v_lshlrev_b64 v[2:3], 3, v[20:21]
	v_mov_b32_e32 v1, s19
	v_add_co_u32_e32 v2, vcc, s18, v2
	v_addc_co_u32_e32 v3, vcc, v1, v3, vcc
	global_load_dwordx2 v[26:27], v[2:3], off
	ds_read_b128 v[2:5], v55
	ds_read_b128 v[6:9], v55 offset:16
	s_cmp_eq_u32 s20, 0
	v_lshlrev_b32_e32 v1, 2, v54
	s_cselect_b32 s4, 1, 2
	s_cselect_b32 s5, 2, 1
	v_or_b32_e32 v18, s4, v1
	v_or_b32_e32 v1, s5, v1
	v_lshl_add_u32 v14, v54, 6, v56
	v_lshl_add_u32 v18, v18, 4, v56
	;; [unrolled: 1-line block ×3, first 2 shown]
	s_waitcnt lgkmcnt(1)
	v_cmp_gt_i32_e32 vcc, v0, v2
	ds_read2_b64 v[10:13], v14 offset1:1
	ds_read2_b64 v[14:17], v14 offset0:6 offset1:7
	ds_read2_b64 v[18:21], v18 offset1:1
	ds_read2_b64 v[22:25], v1 offset1:1
	v_cndmask_b32_e64 v1, 0, 1, vcc
	v_cmp_gt_i32_e32 vcc, v0, v3
	v_cndmask_b32_e64 v2, 0, 1, vcc
	v_cmp_gt_i32_e32 vcc, v0, v4
	;; [unrolled: 2-line block ×3, first 2 shown]
	v_cndmask_b32_e64 v4, 0, 1, vcc
	s_waitcnt lgkmcnt(4)
	v_cmp_gt_i32_e32 vcc, v0, v6
	v_cndmask_b32_e64 v5, 0, 1, vcc
	v_cmp_gt_i32_e32 vcc, v0, v7
	v_cndmask_b32_e64 v6, 0, 1, vcc
	v_cmp_gt_i32_e32 vcc, v0, v8
	v_cndmask_b32_e64 v7, 0, 1, vcc
	v_cmp_gt_i32_e32 vcc, v0, v9
	v_add_u32_e32 v28, s30, v0
	v_cndmask_b32_e64 v0, 0, 1, vcc
	v_mov_b32_e32 v29, s45
	v_mov_b32_e32 v30, s47
	s_waitcnt vmcnt(0)
	v_subrev_co_u32_e32 v8, vcc, s30, v26
	v_subbrev_co_u32_e32 v9, vcc, 0, v27, vcc
	v_add_co_u32_e32 v1, vcc, v8, v1
	v_addc_co_u32_e32 v8, vcc, 0, v9, vcc
	v_add_co_u32_e32 v1, vcc, v1, v2
	v_addc_co_u32_e32 v2, vcc, 0, v8, vcc
	;; [unrolled: 2-line block ×8, first 2 shown]
	v_lshlrev_b64 v[2:3], 2, v[0:1]
	v_add_co_u32_e32 v2, vcc, s44, v2
	v_lshlrev_b64 v[0:1], 6, v[0:1]
	v_addc_co_u32_e32 v3, vcc, v29, v3, vcc
	v_add_co_u32_e32 v0, vcc, s46, v0
	v_addc_co_u32_e32 v1, vcc, v30, v1, vcc
	global_store_dword v[2:3], v28, off
	s_waitcnt lgkmcnt(3)
	global_store_dwordx4 v[0:1], v[10:13], off
	s_waitcnt lgkmcnt(1)
	global_store_dwordx4 v[0:1], v[18:21], off offset:16
	s_waitcnt lgkmcnt(0)
	global_store_dwordx4 v[0:1], v[22:25], off offset:32
	global_store_dwordx4 v[0:1], v[14:17], off offset:48
	s_endpgm
	.section	.rodata,"a",@progbits
	.p2align	6, 0x0
	.amdhsa_kernel _ZN9rocsparseL27bsrgemm_fill_wf_per_row_2x2ILj256ELj16ELj8ELj137Eli21rocsparse_complex_numIdEEEv20rocsparse_direction_T4_S4_PKS4_S6_NS_24const_host_device_scalarIT5_EEPKT3_S6_PKS8_SC_S6_SE_S9_SC_S6_SE_SC_PS4_PS8_21rocsparse_index_base_SH_SH_SH_bbb
		.amdhsa_group_segment_fixed_size 8704
		.amdhsa_private_segment_fixed_size 24
		.amdhsa_kernarg_size 180
		.amdhsa_user_sgpr_count 8
		.amdhsa_user_sgpr_private_segment_buffer 1
		.amdhsa_user_sgpr_dispatch_ptr 0
		.amdhsa_user_sgpr_queue_ptr 0
		.amdhsa_user_sgpr_kernarg_segment_ptr 1
		.amdhsa_user_sgpr_dispatch_id 0
		.amdhsa_user_sgpr_flat_scratch_init 1
		.amdhsa_user_sgpr_kernarg_preload_length 0
		.amdhsa_user_sgpr_kernarg_preload_offset 0
		.amdhsa_user_sgpr_private_segment_size 0
		.amdhsa_uses_dynamic_stack 0
		.amdhsa_system_sgpr_private_segment_wavefront_offset 1
		.amdhsa_system_sgpr_workgroup_id_x 1
		.amdhsa_system_sgpr_workgroup_id_y 0
		.amdhsa_system_sgpr_workgroup_id_z 0
		.amdhsa_system_sgpr_workgroup_info 0
		.amdhsa_system_vgpr_workitem_id 0
		.amdhsa_next_free_vgpr 67
		.amdhsa_next_free_sgpr 61
		.amdhsa_accum_offset 68
		.amdhsa_reserve_vcc 1
		.amdhsa_reserve_flat_scratch 1
		.amdhsa_float_round_mode_32 0
		.amdhsa_float_round_mode_16_64 0
		.amdhsa_float_denorm_mode_32 3
		.amdhsa_float_denorm_mode_16_64 3
		.amdhsa_dx10_clamp 1
		.amdhsa_ieee_mode 1
		.amdhsa_fp16_overflow 0
		.amdhsa_tg_split 0
		.amdhsa_exception_fp_ieee_invalid_op 0
		.amdhsa_exception_fp_denorm_src 0
		.amdhsa_exception_fp_ieee_div_zero 0
		.amdhsa_exception_fp_ieee_overflow 0
		.amdhsa_exception_fp_ieee_underflow 0
		.amdhsa_exception_fp_ieee_inexact 0
		.amdhsa_exception_int_div_zero 0
	.end_amdhsa_kernel
	.section	.text._ZN9rocsparseL27bsrgemm_fill_wf_per_row_2x2ILj256ELj16ELj8ELj137Eli21rocsparse_complex_numIdEEEv20rocsparse_direction_T4_S4_PKS4_S6_NS_24const_host_device_scalarIT5_EEPKT3_S6_PKS8_SC_S6_SE_S9_SC_S6_SE_SC_PS4_PS8_21rocsparse_index_base_SH_SH_SH_bbb,"axG",@progbits,_ZN9rocsparseL27bsrgemm_fill_wf_per_row_2x2ILj256ELj16ELj8ELj137Eli21rocsparse_complex_numIdEEEv20rocsparse_direction_T4_S4_PKS4_S6_NS_24const_host_device_scalarIT5_EEPKT3_S6_PKS8_SC_S6_SE_S9_SC_S6_SE_SC_PS4_PS8_21rocsparse_index_base_SH_SH_SH_bbb,comdat
.Lfunc_end227:
	.size	_ZN9rocsparseL27bsrgemm_fill_wf_per_row_2x2ILj256ELj16ELj8ELj137Eli21rocsparse_complex_numIdEEEv20rocsparse_direction_T4_S4_PKS4_S6_NS_24const_host_device_scalarIT5_EEPKT3_S6_PKS8_SC_S6_SE_S9_SC_S6_SE_SC_PS4_PS8_21rocsparse_index_base_SH_SH_SH_bbb, .Lfunc_end227-_ZN9rocsparseL27bsrgemm_fill_wf_per_row_2x2ILj256ELj16ELj8ELj137Eli21rocsparse_complex_numIdEEEv20rocsparse_direction_T4_S4_PKS4_S6_NS_24const_host_device_scalarIT5_EEPKT3_S6_PKS8_SC_S6_SE_S9_SC_S6_SE_SC_PS4_PS8_21rocsparse_index_base_SH_SH_SH_bbb
                                        ; -- End function
	.section	.AMDGPU.csdata,"",@progbits
; Kernel info:
; codeLenInByte = 4164
; NumSgprs: 67
; NumVgprs: 67
; NumAgprs: 0
; TotalNumVgprs: 67
; ScratchSize: 24
; MemoryBound: 0
; FloatMode: 240
; IeeeMode: 1
; LDSByteSize: 8704 bytes/workgroup (compile time only)
; SGPRBlocks: 8
; VGPRBlocks: 8
; NumSGPRsForWavesPerEU: 67
; NumVGPRsForWavesPerEU: 67
; AccumOffset: 68
; Occupancy: 7
; WaveLimiterHint : 1
; COMPUTE_PGM_RSRC2:SCRATCH_EN: 1
; COMPUTE_PGM_RSRC2:USER_SGPR: 8
; COMPUTE_PGM_RSRC2:TRAP_HANDLER: 0
; COMPUTE_PGM_RSRC2:TGID_X_EN: 1
; COMPUTE_PGM_RSRC2:TGID_Y_EN: 0
; COMPUTE_PGM_RSRC2:TGID_Z_EN: 0
; COMPUTE_PGM_RSRC2:TIDIG_COMP_CNT: 0
; COMPUTE_PGM_RSRC3_GFX90A:ACCUM_OFFSET: 16
; COMPUTE_PGM_RSRC3_GFX90A:TG_SPLIT: 0
	.section	.text._ZN9rocsparseL27bsrgemm_fill_wf_per_row_2x2ILj256ELj16ELj16ELj137Eli21rocsparse_complex_numIdEEEv20rocsparse_direction_T4_S4_PKS4_S6_NS_24const_host_device_scalarIT5_EEPKT3_S6_PKS8_SC_S6_SE_S9_SC_S6_SE_SC_PS4_PS8_21rocsparse_index_base_SH_SH_SH_bbb,"axG",@progbits,_ZN9rocsparseL27bsrgemm_fill_wf_per_row_2x2ILj256ELj16ELj16ELj137Eli21rocsparse_complex_numIdEEEv20rocsparse_direction_T4_S4_PKS4_S6_NS_24const_host_device_scalarIT5_EEPKT3_S6_PKS8_SC_S6_SE_S9_SC_S6_SE_SC_PS4_PS8_21rocsparse_index_base_SH_SH_SH_bbb,comdat
	.globl	_ZN9rocsparseL27bsrgemm_fill_wf_per_row_2x2ILj256ELj16ELj16ELj137Eli21rocsparse_complex_numIdEEEv20rocsparse_direction_T4_S4_PKS4_S6_NS_24const_host_device_scalarIT5_EEPKT3_S6_PKS8_SC_S6_SE_S9_SC_S6_SE_SC_PS4_PS8_21rocsparse_index_base_SH_SH_SH_bbb ; -- Begin function _ZN9rocsparseL27bsrgemm_fill_wf_per_row_2x2ILj256ELj16ELj16ELj137Eli21rocsparse_complex_numIdEEEv20rocsparse_direction_T4_S4_PKS4_S6_NS_24const_host_device_scalarIT5_EEPKT3_S6_PKS8_SC_S6_SE_S9_SC_S6_SE_SC_PS4_PS8_21rocsparse_index_base_SH_SH_SH_bbb
	.p2align	8
	.type	_ZN9rocsparseL27bsrgemm_fill_wf_per_row_2x2ILj256ELj16ELj16ELj137Eli21rocsparse_complex_numIdEEEv20rocsparse_direction_T4_S4_PKS4_S6_NS_24const_host_device_scalarIT5_EEPKT3_S6_PKS8_SC_S6_SE_S9_SC_S6_SE_SC_PS4_PS8_21rocsparse_index_base_SH_SH_SH_bbb,@function
_ZN9rocsparseL27bsrgemm_fill_wf_per_row_2x2ILj256ELj16ELj16ELj137Eli21rocsparse_complex_numIdEEEv20rocsparse_direction_T4_S4_PKS4_S6_NS_24const_host_device_scalarIT5_EEPKT3_S6_PKS8_SC_S6_SE_S9_SC_S6_SE_SC_PS4_PS8_21rocsparse_index_base_SH_SH_SH_bbb: ; @_ZN9rocsparseL27bsrgemm_fill_wf_per_row_2x2ILj256ELj16ELj16ELj137Eli21rocsparse_complex_numIdEEEv20rocsparse_direction_T4_S4_PKS4_S6_NS_24const_host_device_scalarIT5_EEPKT3_S6_PKS8_SC_S6_SE_S9_SC_S6_SE_SC_PS4_PS8_21rocsparse_index_base_SH_SH_SH_bbb
; %bb.0:
	s_load_dword s9, s[6:7], 0xb0
	s_load_dwordx4 s[28:31], s[6:7], 0xa0
	s_load_dwordx2 s[2:3], s[4:5], 0x4
	s_load_dwordx4 s[12:15], s[6:7], 0x20
	s_load_dwordx4 s[48:51], s[6:7], 0x60
	v_and_b32_e32 v1, 0x3ff, v0
	s_waitcnt lgkmcnt(0)
	s_bitcmp1_b32 s9, 0
	s_cselect_b64 s[10:11], -1, 0
	s_bitcmp1_b32 s9, 16
	s_cselect_b64 s[0:1], -1, 0
	s_lshr_b32 s2, s2, 16
	s_mul_i32 s2, s2, s3
	v_mul_lo_u32 v2, s2, v1
	v_bfe_u32 v3, v0, 10, 10
	v_mad_u32_u24 v2, v3, s3, v2
	v_bfe_u32 v0, v0, 20, 10
	v_add_lshl_u32 v0, v2, v0, 3
	v_pk_mov_b32 v[2:3], s[12:13], s[12:13] op_sel:[0,1]
	v_pk_mov_b32 v[4:5], s[48:49], s[48:49] op_sel:[0,1]
	s_xor_b64 s[2:3], s[0:1], -1
	ds_write2st64_b64 v0, v[4:5], v[2:3] offset0:34 offset1:38
	v_pk_mov_b32 v[16:17], 0, 0
	v_cndmask_b32_e64 v2, 0, 1, s[2:3]
	s_bitcmp0_b32 s9, 0
	v_cmp_ne_u32_e64 s[2:3], 1, v2
	v_pk_mov_b32 v[22:23], v[16:17], v[16:17] op_sel:[0,1]
	v_pk_mov_b32 v[24:25], v[16:17], v[16:17] op_sel:[0,1]
	s_cbranch_scc1 .LBB228_3
; %bb.1:
	s_mov_b64 s[4:5], src_shared_base
	s_and_b64 s[16:17], s[0:1], exec
	v_add_u32_e32 v2, 0x4c00, v0
	s_cselect_b32 s4, s5, s13
	v_mov_b32_e32 v3, s12
	v_cndmask_b32_e64 v2, v3, v2, s[0:1]
	v_mov_b32_e32 v3, s4
	flat_load_dwordx2 v[22:23], v[2:3]
	s_and_b64 vcc, exec, s[2:3]
	v_pk_mov_b32 v[24:25], s[14:15], s[14:15] op_sel:[0,1]
	s_cbranch_vccnz .LBB228_3
; %bb.2:
	v_pk_mov_b32 v[2:3], s[12:13], s[12:13] op_sel:[0,1]
	flat_load_dwordx2 v[24:25], v[2:3] offset:8
.LBB228_3:
	s_load_dwordx4 s[36:39], s[6:7], 0x90
	s_load_dwordx8 s[12:19], s[6:7], 0x70
	s_load_dwordx4 s[40:43], s[6:7], 0x50
	s_load_dwordx4 s[44:47], s[6:7], 0x10
	s_load_dwordx8 s[20:27], s[6:7], 0x30
	s_bitcmp1_b32 s9, 8
	s_cselect_b64 s[4:5], -1, 0
	s_bfe_u32 s9, s9, 0x10008
	s_mov_b64 s[34:35], 0
	s_cmp_eq_u32 s9, 0
	v_pk_mov_b32 v[18:19], v[16:17], v[16:17] op_sel:[0,1]
	s_cbranch_scc1 .LBB228_6
; %bb.4:
	s_mov_b64 s[52:53], src_shared_base
	s_and_b64 s[54:55], s[0:1], exec
	v_add_u32_e32 v0, 0x4400, v0
	s_cselect_b32 s9, s53, s49
	v_mov_b32_e32 v2, s48
	v_cndmask_b32_e64 v2, v2, v0, s[0:1]
	v_mov_b32_e32 v3, s9
	flat_load_dwordx2 v[18:19], v[2:3]
	s_and_b64 vcc, exec, s[2:3]
	v_pk_mov_b32 v[16:17], s[50:51], s[50:51] op_sel:[0,1]
	s_cbranch_vccnz .LBB228_6
; %bb.5:
	v_pk_mov_b32 v[2:3], s[48:49], s[48:49] op_sel:[0,1]
	flat_load_dwordx2 v[16:17], v[2:3] offset:8
.LBB228_6:
	s_load_dwordx4 s[0:3], s[6:7], 0x0
	v_and_b32_e32 v54, 15, v1
	v_lshrrev_b32_e32 v4, 4, v1
	v_and_b32_e32 v0, 0xf0, v1
	v_mov_b32_e32 v1, 0x4000
	v_lshl_or_b32 v56, v0, 2, v1
	v_lshl_or_b32 v57, v54, 2, v56
	s_waitcnt lgkmcnt(0)
	v_mov_b32_e32 v0, s2
	ds_write_b32 v57, v0
	v_lshlrev_b32_e32 v0, 4, v54
	v_lshl_or_b32 v6, v4, 10, v0
	v_mov_b32_e32 v0, 0
	v_or_b32_e32 v5, -16, v54
	v_mov_b32_e32 v1, v0
	v_mov_b32_e32 v2, v0
	;; [unrolled: 1-line block ×3, first 2 shown]
.LBB228_7:                              ; =>This Inner Loop Header: Depth=1
	v_add_u32_e32 v5, 16, v5
	v_cmp_lt_u32_e32 vcc, 47, v5
	ds_write_b128 v6, v[0:3]
	s_or_b64 s[34:35], vcc, s[34:35]
	v_add_u32_e32 v6, 0x100, v6
	s_andn2_b64 exec, exec, s[34:35]
	s_cbranch_execnz .LBB228_7
; %bb.8:
	s_or_b64 exec, exec, s[34:35]
	v_lshl_or_b32 v0, s8, 4, v4
	v_cmp_gt_i32_e32 vcc, s1, v0
	s_waitcnt lgkmcnt(0)
	s_barrier
	s_and_saveexec_b64 s[6:7], vcc
	s_cbranch_execz .LBB228_122
; %bb.9:
	s_cmp_eq_u64 s[46:47], 0
	s_cbranch_scc1 .LBB228_11
; %bb.10:
	s_load_dword s1, s[44:45], 0x0
	v_mov_b32_e32 v2, s47
	s_waitcnt lgkmcnt(0)
	v_add_u32_e32 v0, s1, v0
	v_ashrrev_i32_e32 v1, 31, v0
	v_lshlrev_b64 v[0:1], 2, v[0:1]
	v_add_co_u32_e32 v0, vcc, s46, v0
	v_addc_co_u32_e32 v1, vcc, v2, v1, vcc
	global_load_dword v0, v[0:1], off
.LBB228_11:
	s_waitcnt vmcnt(0)
	v_ashrrev_i32_e32 v1, 31, v0
	v_lshlrev_b32_e32 v55, 10, v4
	s_andn2_b64 vcc, exec, s[10:11]
	v_lshlrev_b64 v[20:21], 3, v[0:1]
	s_cbranch_vccnz .LBB228_67
; %bb.12:
	v_mov_b32_e32 v1, s21
	v_add_co_u32_e32 v0, vcc, s20, v20
	v_addc_co_u32_e32 v1, vcc, v1, v21, vcc
	global_load_dwordx4 v[0:3], v[0:1], off
	v_subrev_co_u32_e32 v4, vcc, s28, v54
	v_subb_co_u32_e64 v5, s[6:7], 0, 0, vcc
	s_mov_b32 s1, 0
	s_waitcnt vmcnt(0)
	v_subrev_co_u32_e32 v26, vcc, s28, v2
	v_subbrev_co_u32_e32 v27, vcc, 0, v3, vcc
	v_add_co_u32_e32 v28, vcc, v0, v4
	v_addc_co_u32_e32 v29, vcc, v1, v5, vcc
	v_cmp_lt_i64_e32 vcc, v[28:29], v[26:27]
	s_and_saveexec_b64 s[6:7], vcc
	s_cbranch_execz .LBB228_66
; %bb.13:
	s_cmp_eq_u32 s0, 0
	s_mov_b32 s3, s29
	s_cselect_b32 s33, 1, 2
	s_cselect_b32 s54, 2, 1
	v_add_u32_e32 v58, 16, v55
	v_add_u32_e32 v59, 32, v55
	;; [unrolled: 1-line block ×3, first 2 shown]
	s_mov_b64 s[8:9], 0
	v_mov_b32_e32 v61, s23
	v_mov_b32_e32 v62, s27
	s_branch .LBB228_15
.LBB228_14:                             ;   in Loop: Header=BB228_15 Depth=1
	s_or_b64 exec, exec, s[10:11]
	v_add_co_u32_e32 v28, vcc, 16, v28
	v_addc_co_u32_e32 v29, vcc, 0, v29, vcc
	v_cmp_ge_i64_e32 vcc, v[28:29], v[26:27]
	s_or_b64 s[8:9], vcc, s[8:9]
	s_andn2_b64 exec, exec, s[8:9]
	s_cbranch_execz .LBB228_66
.LBB228_15:                             ; =>This Loop Header: Depth=1
                                        ;     Child Loop BB228_18 Depth 2
                                        ;       Child Loop BB228_20 Depth 3
                                        ;       Child Loop BB228_32 Depth 3
	;; [unrolled: 1-line block ×4, first 2 shown]
	v_lshlrev_b64 v[4:5], 2, v[28:29]
	v_add_co_u32_e32 v0, vcc, s22, v4
	v_addc_co_u32_e32 v1, vcc, v61, v5, vcc
	global_load_dword v0, v[0:1], off
	s_waitcnt vmcnt(0)
	v_subrev_u32_e32 v0, s28, v0
	v_ashrrev_i32_e32 v1, 31, v0
	v_lshlrev_b64 v[0:1], 3, v[0:1]
	v_add_co_u32_e32 v0, vcc, s26, v0
	v_addc_co_u32_e32 v1, vcc, v62, v1, vcc
	global_load_dwordx4 v[0:3], v[0:1], off
	s_waitcnt vmcnt(0)
	v_cmp_lt_i64_e32 vcc, v[0:1], v[2:3]
	s_and_saveexec_b64 s[10:11], vcc
	s_cbranch_execz .LBB228_14
; %bb.16:                               ;   in Loop: Header=BB228_15 Depth=1
	v_lshlrev_b64 v[6:7], 6, v[28:29]
	v_mov_b32_e32 v30, s25
	v_add_co_u32_e32 v14, vcc, s24, v6
	v_addc_co_u32_e32 v15, vcc, v30, v7, vcc
	global_load_dwordx4 v[6:9], v[14:15], off
	global_load_dwordx4 v[10:13], v[14:15], off offset:48
	v_or_b32_e32 v15, 0, v5
	v_or_b32_e32 v14, s33, v4
	v_lshlrev_b64 v[14:15], 4, v[14:15]
	v_add_co_u32_e32 v14, vcc, s24, v14
	v_or_b32_e32 v5, 0, v5
	v_or_b32_e32 v4, s54, v4
	v_addc_co_u32_e32 v15, vcc, v30, v15, vcc
	v_lshlrev_b64 v[4:5], 4, v[4:5]
	v_add_co_u32_e32 v4, vcc, s24, v4
	v_addc_co_u32_e32 v5, vcc, v30, v5, vcc
	global_load_dwordx4 v[50:53], v[14:15], off
	global_load_dwordx4 v[64:67], v[4:5], off
	v_mov_b32_e32 v4, s1
	v_subrev_co_u32_e32 v30, vcc, s3, v2
	v_subb_co_u32_e32 v31, vcc, v3, v4, vcc
	v_subrev_co_u32_e32 v32, vcc, s3, v0
	v_subb_co_u32_e32 v33, vcc, v1, v4, vcc
	s_mov_b64 s[20:21], 0
	s_waitcnt vmcnt(3)
	v_mul_f64 v[34:35], v[8:9], -v[24:25]
	v_mul_f64 v[36:37], v[22:23], v[8:9]
	s_waitcnt vmcnt(2)
	v_mul_f64 v[38:39], v[12:13], -v[24:25]
	v_mul_f64 v[40:41], v[22:23], v[12:13]
	v_fmac_f64_e32 v[34:35], v[22:23], v[6:7]
	v_fmac_f64_e32 v[36:37], v[24:25], v[6:7]
	;; [unrolled: 1-line block ×4, first 2 shown]
	s_waitcnt vmcnt(1)
	v_mul_f64 v[42:43], v[52:53], -v[24:25]
	v_mul_f64 v[44:45], v[22:23], v[52:53]
	s_waitcnt vmcnt(0)
	v_mul_f64 v[46:47], v[66:67], -v[24:25]
	v_mul_f64 v[48:49], v[22:23], v[66:67]
	v_fmac_f64_e32 v[42:43], v[22:23], v[50:51]
	v_fmac_f64_e32 v[44:45], v[24:25], v[50:51]
	;; [unrolled: 1-line block ×4, first 2 shown]
	s_branch .LBB228_18
.LBB228_17:                             ;   in Loop: Header=BB228_18 Depth=2
	s_or_b64 exec, exec, s[34:35]
	v_add_co_u32_e32 v32, vcc, 1, v32
	v_addc_co_u32_e32 v33, vcc, 0, v33, vcc
	v_cmp_ge_i64_e32 vcc, v[32:33], v[30:31]
	s_or_b64 s[20:21], vcc, s[20:21]
	s_andn2_b64 exec, exec, s[20:21]
	s_cbranch_execz .LBB228_14
.LBB228_18:                             ;   Parent Loop BB228_15 Depth=1
                                        ; =>  This Loop Header: Depth=2
                                        ;       Child Loop BB228_20 Depth 3
                                        ;       Child Loop BB228_32 Depth 3
	;; [unrolled: 1-line block ×4, first 2 shown]
	v_lshlrev_b64 v[0:1], 2, v[32:33]
	v_mov_b32_e32 v3, s41
	v_add_co_u32_e32 v2, vcc, s40, v0
	v_addc_co_u32_e32 v3, vcc, v3, v1, vcc
	global_load_dword v63, v[2:3], off
	v_or_b32_e32 v3, 0, v1
	v_or_b32_e32 v2, s33, v0
	;; [unrolled: 1-line block ×4, first 2 shown]
	v_lshlrev_b64 v[0:1], 4, v[0:1]
	v_mov_b32_e32 v6, s43
	v_add_co_u32_e32 v0, vcc, s42, v0
	v_lshlrev_b64 v[4:5], 6, v[32:33]
	v_addc_co_u32_e32 v1, vcc, v6, v1, vcc
	v_add_co_u32_e32 v50, vcc, s42, v4
	global_load_dwordx4 v[12:15], v[0:1], off
	v_addc_co_u32_e32 v51, vcc, v6, v5, vcc
	global_load_dwordx4 v[8:11], v[50:51], off
	v_lshlrev_b64 v[0:1], 4, v[2:3]
	v_add_co_u32_e32 v52, vcc, s42, v0
	v_addc_co_u32_e32 v53, vcc, v6, v1, vcc
	global_load_dwordx4 v[0:3], v[52:53], off
	global_load_dwordx4 v[4:7], v[50:51], off offset:48
	s_mov_b64 s[34:35], 0
	s_waitcnt vmcnt(4)
	v_subrev_u32_e32 v63, s29, v63
	v_lshl_add_u32 v64, v63, 3, v63
	v_and_b32_e32 v64, 15, v64
	v_mov_b32_e32 v65, v64
	s_waitcnt vmcnt(3)
	v_mul_f64 v[52:53], v[14:15], -v[44:45]
	v_mul_f64 v[50:51], v[42:43], v[14:15]
	v_fmac_f64_e32 v[52:53], v[42:43], v[12:13]
	v_fmac_f64_e32 v[50:51], v[44:45], v[12:13]
	s_waitcnt vmcnt(2)
	v_fmac_f64_e32 v[52:53], v[34:35], v[8:9]
	v_fmac_f64_e32 v[50:51], v[36:37], v[8:9]
	v_fma_f64 v[52:53], -v[36:37], v[10:11], v[52:53]
	v_fmac_f64_e32 v[50:51], v[34:35], v[10:11]
	s_branch .LBB228_20
.LBB228_19:                             ;   in Loop: Header=BB228_20 Depth=3
	s_or_b64 exec, exec, s[44:45]
	s_xor_b64 s[44:45], s[46:47], -1
	s_and_b64 s[44:45], exec, s[44:45]
	s_or_b64 s[34:35], s[44:45], s[34:35]
	s_andn2_b64 exec, exec, s[34:35]
	s_cbranch_execz .LBB228_30
.LBB228_20:                             ;   Parent Loop BB228_15 Depth=1
                                        ;     Parent Loop BB228_18 Depth=2
                                        ; =>    This Inner Loop Header: Depth=3
	v_lshl_add_u32 v66, v65, 2, v56
	ds_read_b32 v67, v66
                                        ; implicit-def: $sgpr46_sgpr47
	s_waitcnt lgkmcnt(0)
	v_cmp_ne_u32_e32 vcc, v67, v63
	s_and_saveexec_b64 s[44:45], vcc
	s_xor_b64 s[44:45], exec, s[44:45]
	s_cbranch_execz .LBB228_28
; %bb.21:                               ;   in Loop: Header=BB228_20 Depth=3
	v_cmp_ne_u32_e32 vcc, s2, v67
                                        ; implicit-def: $sgpr46_sgpr47
	s_and_saveexec_b64 s[48:49], vcc
	s_xor_b64 s[48:49], exec, s[48:49]
; %bb.22:                               ;   in Loop: Header=BB228_20 Depth=3
	v_add_u32_e32 v65, 1, v65
	v_and_b32_e32 v65, 15, v65
	s_mov_b64 s[46:47], -1
                                        ; implicit-def: $vgpr66
; %bb.23:                               ;   in Loop: Header=BB228_20 Depth=3
	s_andn2_saveexec_b64 s[48:49], s[48:49]
	s_cbranch_execz .LBB228_27
; %bb.24:                               ;   in Loop: Header=BB228_20 Depth=3
	v_mov_b32_e32 v67, s2
	ds_cmpst_rtn_b32 v66, v66, v67, v63
	s_mov_b64 s[50:51], -1
	s_waitcnt lgkmcnt(0)
	v_cmp_eq_u32_e32 vcc, s2, v66
	s_and_saveexec_b64 s[52:53], vcc
	s_cbranch_execz .LBB228_26
; %bb.25:                               ;   in Loop: Header=BB228_20 Depth=3
	v_lshl_add_u32 v66, v65, 6, v55
	ds_add_f64 v66, v[52:53]
	ds_add_f64 v66, v[50:51] offset:8
	s_xor_b64 s[50:51], exec, -1
.LBB228_26:                             ;   in Loop: Header=BB228_20 Depth=3
	s_or_b64 exec, exec, s[52:53]
	s_andn2_b64 s[46:47], s[46:47], exec
	s_and_b64 s[50:51], s[50:51], exec
	s_or_b64 s[46:47], s[46:47], s[50:51]
.LBB228_27:                             ;   in Loop: Header=BB228_20 Depth=3
	s_or_b64 exec, exec, s[48:49]
	s_and_b64 s[46:47], s[46:47], exec
.LBB228_28:                             ;   in Loop: Header=BB228_20 Depth=3
	s_andn2_saveexec_b64 s[44:45], s[44:45]
	s_cbranch_execz .LBB228_19
; %bb.29:                               ;   in Loop: Header=BB228_20 Depth=3
	v_lshl_add_u32 v66, v65, 6, v55
	ds_add_f64 v66, v[52:53]
	ds_add_f64 v66, v[50:51] offset:8
	s_andn2_b64 s[46:47], s[46:47], exec
	s_branch .LBB228_19
.LBB228_30:                             ;   in Loop: Header=BB228_18 Depth=2
	s_or_b64 exec, exec, s[34:35]
	s_waitcnt vmcnt(0)
	v_mul_f64 v[52:53], v[6:7], -v[44:45]
	v_mul_f64 v[50:51], v[42:43], v[6:7]
	v_fmac_f64_e32 v[52:53], v[42:43], v[4:5]
	v_fmac_f64_e32 v[50:51], v[44:45], v[4:5]
	;; [unrolled: 1-line block ×4, first 2 shown]
	v_fma_f64 v[52:53], -v[36:37], v[2:3], v[52:53]
	v_fmac_f64_e32 v[50:51], v[34:35], v[2:3]
	s_mov_b64 s[34:35], 0
	v_mov_b32_e32 v65, v64
	s_branch .LBB228_32
.LBB228_31:                             ;   in Loop: Header=BB228_32 Depth=3
	s_or_b64 exec, exec, s[44:45]
	s_xor_b64 s[44:45], s[46:47], -1
	s_and_b64 s[44:45], exec, s[44:45]
	s_or_b64 s[34:35], s[44:45], s[34:35]
	s_andn2_b64 exec, exec, s[34:35]
	s_cbranch_execz .LBB228_42
.LBB228_32:                             ;   Parent Loop BB228_15 Depth=1
                                        ;     Parent Loop BB228_18 Depth=2
                                        ; =>    This Inner Loop Header: Depth=3
	v_lshl_add_u32 v66, v65, 2, v56
	ds_read_b32 v67, v66
                                        ; implicit-def: $sgpr46_sgpr47
	s_waitcnt lgkmcnt(0)
	v_cmp_ne_u32_e32 vcc, v67, v63
	s_and_saveexec_b64 s[44:45], vcc
	s_xor_b64 s[44:45], exec, s[44:45]
	s_cbranch_execz .LBB228_40
; %bb.33:                               ;   in Loop: Header=BB228_32 Depth=3
	v_cmp_ne_u32_e32 vcc, s2, v67
                                        ; implicit-def: $sgpr46_sgpr47
	s_and_saveexec_b64 s[48:49], vcc
	s_xor_b64 s[48:49], exec, s[48:49]
; %bb.34:                               ;   in Loop: Header=BB228_32 Depth=3
	v_add_u32_e32 v65, 1, v65
	v_and_b32_e32 v65, 15, v65
	s_mov_b64 s[46:47], -1
                                        ; implicit-def: $vgpr66
; %bb.35:                               ;   in Loop: Header=BB228_32 Depth=3
	s_andn2_saveexec_b64 s[48:49], s[48:49]
	s_cbranch_execz .LBB228_39
; %bb.36:                               ;   in Loop: Header=BB228_32 Depth=3
	v_mov_b32_e32 v67, s2
	ds_cmpst_rtn_b32 v66, v66, v67, v63
	s_mov_b64 s[50:51], -1
	s_waitcnt lgkmcnt(0)
	v_cmp_eq_u32_e32 vcc, s2, v66
	s_and_saveexec_b64 s[52:53], vcc
	s_cbranch_execz .LBB228_38
; %bb.37:                               ;   in Loop: Header=BB228_32 Depth=3
	v_lshl_add_u32 v66, v65, 6, v58
	ds_add_f64 v66, v[52:53]
	ds_add_f64 v66, v[50:51] offset:8
	s_xor_b64 s[50:51], exec, -1
.LBB228_38:                             ;   in Loop: Header=BB228_32 Depth=3
	s_or_b64 exec, exec, s[52:53]
	s_andn2_b64 s[46:47], s[46:47], exec
	s_and_b64 s[50:51], s[50:51], exec
	s_or_b64 s[46:47], s[46:47], s[50:51]
.LBB228_39:                             ;   in Loop: Header=BB228_32 Depth=3
	s_or_b64 exec, exec, s[48:49]
	s_and_b64 s[46:47], s[46:47], exec
.LBB228_40:                             ;   in Loop: Header=BB228_32 Depth=3
	s_andn2_saveexec_b64 s[44:45], s[44:45]
	s_cbranch_execz .LBB228_31
; %bb.41:                               ;   in Loop: Header=BB228_32 Depth=3
	v_lshl_add_u32 v66, v65, 6, v58
	ds_add_f64 v66, v[52:53]
	ds_add_f64 v66, v[50:51] offset:8
	s_andn2_b64 s[46:47], s[46:47], exec
	s_branch .LBB228_31
.LBB228_42:                             ;   in Loop: Header=BB228_18 Depth=2
	s_or_b64 exec, exec, s[34:35]
	v_mul_f64 v[50:51], v[14:15], -v[40:41]
	v_mul_f64 v[14:15], v[38:39], v[14:15]
	v_fmac_f64_e32 v[50:51], v[38:39], v[12:13]
	v_fmac_f64_e32 v[14:15], v[40:41], v[12:13]
	;; [unrolled: 1-line block ×4, first 2 shown]
	v_fma_f64 v[12:13], -v[48:49], v[10:11], v[50:51]
	v_fmac_f64_e32 v[14:15], v[46:47], v[10:11]
	s_mov_b64 s[34:35], 0
	v_mov_b32_e32 v8, v64
	s_branch .LBB228_44
.LBB228_43:                             ;   in Loop: Header=BB228_44 Depth=3
	s_or_b64 exec, exec, s[44:45]
	s_xor_b64 s[44:45], s[46:47], -1
	s_and_b64 s[44:45], exec, s[44:45]
	s_or_b64 s[34:35], s[44:45], s[34:35]
	s_andn2_b64 exec, exec, s[34:35]
	s_cbranch_execz .LBB228_54
.LBB228_44:                             ;   Parent Loop BB228_15 Depth=1
                                        ;     Parent Loop BB228_18 Depth=2
                                        ; =>    This Inner Loop Header: Depth=3
	v_lshl_add_u32 v9, v8, 2, v56
	ds_read_b32 v10, v9
                                        ; implicit-def: $sgpr46_sgpr47
	s_waitcnt lgkmcnt(0)
	v_cmp_ne_u32_e32 vcc, v10, v63
	s_and_saveexec_b64 s[44:45], vcc
	s_xor_b64 s[44:45], exec, s[44:45]
	s_cbranch_execz .LBB228_52
; %bb.45:                               ;   in Loop: Header=BB228_44 Depth=3
	v_cmp_ne_u32_e32 vcc, s2, v10
                                        ; implicit-def: $sgpr46_sgpr47
	s_and_saveexec_b64 s[48:49], vcc
	s_xor_b64 s[48:49], exec, s[48:49]
; %bb.46:                               ;   in Loop: Header=BB228_44 Depth=3
	v_add_u32_e32 v8, 1, v8
	v_and_b32_e32 v8, 15, v8
	s_mov_b64 s[46:47], -1
                                        ; implicit-def: $vgpr9
; %bb.47:                               ;   in Loop: Header=BB228_44 Depth=3
	s_andn2_saveexec_b64 s[48:49], s[48:49]
	s_cbranch_execz .LBB228_51
; %bb.48:                               ;   in Loop: Header=BB228_44 Depth=3
	v_mov_b32_e32 v10, s2
	ds_cmpst_rtn_b32 v9, v9, v10, v63
	s_mov_b64 s[50:51], -1
	s_waitcnt lgkmcnt(0)
	v_cmp_eq_u32_e32 vcc, s2, v9
	s_and_saveexec_b64 s[52:53], vcc
	s_cbranch_execz .LBB228_50
; %bb.49:                               ;   in Loop: Header=BB228_44 Depth=3
	v_lshl_add_u32 v9, v8, 6, v59
	ds_add_f64 v9, v[12:13]
	ds_add_f64 v9, v[14:15] offset:8
	s_xor_b64 s[50:51], exec, -1
.LBB228_50:                             ;   in Loop: Header=BB228_44 Depth=3
	s_or_b64 exec, exec, s[52:53]
	s_andn2_b64 s[46:47], s[46:47], exec
	s_and_b64 s[50:51], s[50:51], exec
	s_or_b64 s[46:47], s[46:47], s[50:51]
.LBB228_51:                             ;   in Loop: Header=BB228_44 Depth=3
	s_or_b64 exec, exec, s[48:49]
	s_and_b64 s[46:47], s[46:47], exec
.LBB228_52:                             ;   in Loop: Header=BB228_44 Depth=3
	s_andn2_saveexec_b64 s[44:45], s[44:45]
	s_cbranch_execz .LBB228_43
; %bb.53:                               ;   in Loop: Header=BB228_44 Depth=3
	v_lshl_add_u32 v9, v8, 6, v59
	ds_add_f64 v9, v[12:13]
	ds_add_f64 v9, v[14:15] offset:8
	s_andn2_b64 s[46:47], s[46:47], exec
	s_branch .LBB228_43
.LBB228_54:                             ;   in Loop: Header=BB228_18 Depth=2
	s_or_b64 exec, exec, s[34:35]
	v_mul_f64 v[8:9], v[6:7], -v[40:41]
	v_mul_f64 v[6:7], v[38:39], v[6:7]
	v_fmac_f64_e32 v[8:9], v[38:39], v[4:5]
	v_fmac_f64_e32 v[6:7], v[40:41], v[4:5]
	;; [unrolled: 1-line block ×4, first 2 shown]
	v_fma_f64 v[4:5], -v[48:49], v[2:3], v[8:9]
	v_fmac_f64_e32 v[6:7], v[46:47], v[2:3]
	s_mov_b64 s[34:35], 0
	s_branch .LBB228_56
.LBB228_55:                             ;   in Loop: Header=BB228_56 Depth=3
	s_or_b64 exec, exec, s[44:45]
	s_xor_b64 s[44:45], s[46:47], -1
	s_and_b64 s[44:45], exec, s[44:45]
	s_or_b64 s[34:35], s[44:45], s[34:35]
	s_andn2_b64 exec, exec, s[34:35]
	s_cbranch_execz .LBB228_17
.LBB228_56:                             ;   Parent Loop BB228_15 Depth=1
                                        ;     Parent Loop BB228_18 Depth=2
                                        ; =>    This Inner Loop Header: Depth=3
	v_lshl_add_u32 v0, v64, 2, v56
	ds_read_b32 v1, v0
                                        ; implicit-def: $sgpr46_sgpr47
	s_waitcnt lgkmcnt(0)
	v_cmp_ne_u32_e32 vcc, v1, v63
	s_and_saveexec_b64 s[44:45], vcc
	s_xor_b64 s[44:45], exec, s[44:45]
	s_cbranch_execz .LBB228_64
; %bb.57:                               ;   in Loop: Header=BB228_56 Depth=3
	v_cmp_ne_u32_e32 vcc, s2, v1
                                        ; implicit-def: $sgpr46_sgpr47
	s_and_saveexec_b64 s[48:49], vcc
	s_xor_b64 s[48:49], exec, s[48:49]
; %bb.58:                               ;   in Loop: Header=BB228_56 Depth=3
	v_add_u32_e32 v0, 1, v64
	v_and_b32_e32 v64, 15, v0
	s_mov_b64 s[46:47], -1
                                        ; implicit-def: $vgpr0
; %bb.59:                               ;   in Loop: Header=BB228_56 Depth=3
	s_andn2_saveexec_b64 s[48:49], s[48:49]
	s_cbranch_execz .LBB228_63
; %bb.60:                               ;   in Loop: Header=BB228_56 Depth=3
	v_mov_b32_e32 v1, s2
	ds_cmpst_rtn_b32 v0, v0, v1, v63
	s_mov_b64 s[50:51], -1
	s_waitcnt lgkmcnt(0)
	v_cmp_eq_u32_e32 vcc, s2, v0
	s_and_saveexec_b64 s[52:53], vcc
	s_cbranch_execz .LBB228_62
; %bb.61:                               ;   in Loop: Header=BB228_56 Depth=3
	v_lshl_add_u32 v0, v64, 6, v60
	ds_add_f64 v0, v[4:5]
	ds_add_f64 v0, v[6:7] offset:8
	s_xor_b64 s[50:51], exec, -1
.LBB228_62:                             ;   in Loop: Header=BB228_56 Depth=3
	s_or_b64 exec, exec, s[52:53]
	s_andn2_b64 s[46:47], s[46:47], exec
	s_and_b64 s[50:51], s[50:51], exec
	s_or_b64 s[46:47], s[46:47], s[50:51]
.LBB228_63:                             ;   in Loop: Header=BB228_56 Depth=3
	s_or_b64 exec, exec, s[48:49]
	s_and_b64 s[46:47], s[46:47], exec
.LBB228_64:                             ;   in Loop: Header=BB228_56 Depth=3
	s_andn2_saveexec_b64 s[44:45], s[44:45]
	s_cbranch_execz .LBB228_55
; %bb.65:                               ;   in Loop: Header=BB228_56 Depth=3
	v_lshl_add_u32 v0, v64, 6, v60
	ds_add_f64 v0, v[4:5]
	ds_add_f64 v0, v[6:7] offset:8
	s_andn2_b64 s[46:47], s[46:47], exec
	s_branch .LBB228_55
.LBB228_66:
	s_or_b64 exec, exec, s[6:7]
.LBB228_67:
	s_andn2_b64 vcc, exec, s[4:5]
	s_waitcnt lgkmcnt(0)
	s_cbranch_vccnz .LBB228_120
; %bb.68:
	v_mov_b32_e32 v1, s13
	v_add_co_u32_e32 v0, vcc, s12, v20
	v_addc_co_u32_e32 v1, vcc, v1, v21, vcc
	global_load_dwordx4 v[0:3], v[0:1], off
	v_subrev_co_u32_e32 v4, vcc, s31, v54
	v_subb_co_u32_e64 v5, s[4:5], 0, 0, vcc
	s_waitcnt vmcnt(0)
	v_subrev_co_u32_e32 v12, vcc, s31, v2
	v_subbrev_co_u32_e32 v13, vcc, 0, v3, vcc
	v_add_co_u32_e32 v14, vcc, v0, v4
	v_addc_co_u32_e32 v15, vcc, v1, v5, vcc
	v_cmp_lt_i64_e32 vcc, v[14:15], v[12:13]
	s_and_saveexec_b64 s[4:5], vcc
	s_cbranch_execz .LBB228_119
; %bb.69:
	s_cmp_eq_u32 s0, 0
	s_cselect_b32 s1, 1, 2
	s_cselect_b32 s3, 2, 1
	v_add_u32_e32 v26, 16, v55
	v_add_u32_e32 v27, 32, v55
	;; [unrolled: 1-line block ×3, first 2 shown]
	s_mov_b64 s[6:7], 0
	v_mov_b32_e32 v29, s17
	v_mov_b32_e32 v30, s15
	s_branch .LBB228_71
.LBB228_70:                             ;   in Loop: Header=BB228_71 Depth=1
	s_or_b64 exec, exec, s[8:9]
	v_add_co_u32_e32 v14, vcc, 16, v14
	v_addc_co_u32_e32 v15, vcc, 0, v15, vcc
	v_cmp_ge_i64_e32 vcc, v[14:15], v[12:13]
	s_or_b64 s[6:7], vcc, s[6:7]
	s_andn2_b64 exec, exec, s[6:7]
	s_cbranch_execz .LBB228_119
.LBB228_71:                             ; =>This Loop Header: Depth=1
                                        ;     Child Loop BB228_73 Depth 2
                                        ;     Child Loop BB228_85 Depth 2
	;; [unrolled: 1-line block ×4, first 2 shown]
	v_lshlrev_b64 v[0:1], 6, v[14:15]
	v_add_co_u32_e32 v6, vcc, s16, v0
	v_lshlrev_b64 v[4:5], 2, v[14:15]
	v_addc_co_u32_e32 v7, vcc, v29, v1, vcc
	global_load_dwordx4 v[32:35], v[6:7], off
	global_load_dwordx4 v[0:3], v[6:7], off offset:48
	v_or_b32_e32 v7, 0, v5
	v_or_b32_e32 v6, s1, v4
	v_lshlrev_b64 v[6:7], 4, v[6:7]
	v_add_co_u32_e32 v22, vcc, s16, v6
	v_addc_co_u32_e32 v23, vcc, v29, v7, vcc
	v_or_b32_e32 v6, s3, v4
	v_add_co_u32_e32 v4, vcc, s14, v4
	v_or_b32_e32 v7, 0, v5
	v_addc_co_u32_e32 v5, vcc, v30, v5, vcc
	global_load_dword v31, v[4:5], off
	v_lshlrev_b64 v[4:5], 4, v[6:7]
	v_add_co_u32_e32 v24, vcc, s16, v4
	v_addc_co_u32_e32 v25, vcc, v29, v5, vcc
	global_load_dwordx4 v[8:11], v[22:23], off
	global_load_dwordx4 v[4:7], v[24:25], off
	s_mov_b64 s[8:9], 0
	s_waitcnt vmcnt(4)
	v_mul_f64 v[22:23], v[34:35], -v[16:17]
	v_mul_f64 v[24:25], v[18:19], v[34:35]
	v_fmac_f64_e32 v[22:23], v[18:19], v[32:33]
	v_fmac_f64_e32 v[24:25], v[16:17], v[32:33]
	s_waitcnt vmcnt(2)
	v_subrev_u32_e32 v31, s31, v31
	v_lshl_add_u32 v32, v31, 3, v31
	v_and_b32_e32 v32, 15, v32
	v_mov_b32_e32 v33, v32
	s_branch .LBB228_73
.LBB228_72:                             ;   in Loop: Header=BB228_73 Depth=2
	s_or_b64 exec, exec, s[10:11]
	s_xor_b64 s[10:11], s[12:13], -1
	s_and_b64 s[10:11], exec, s[10:11]
	s_or_b64 s[8:9], s[10:11], s[8:9]
	s_andn2_b64 exec, exec, s[8:9]
	s_cbranch_execz .LBB228_83
.LBB228_73:                             ;   Parent Loop BB228_71 Depth=1
                                        ; =>  This Inner Loop Header: Depth=2
	v_lshl_add_u32 v34, v33, 2, v56
	ds_read_b32 v35, v34
                                        ; implicit-def: $sgpr12_sgpr13
	s_waitcnt lgkmcnt(0)
	v_cmp_ne_u32_e32 vcc, v35, v31
	s_and_saveexec_b64 s[10:11], vcc
	s_xor_b64 s[10:11], exec, s[10:11]
	s_cbranch_execz .LBB228_81
; %bb.74:                               ;   in Loop: Header=BB228_73 Depth=2
	v_cmp_ne_u32_e32 vcc, s2, v35
                                        ; implicit-def: $sgpr12_sgpr13
	s_and_saveexec_b64 s[20:21], vcc
	s_xor_b64 s[20:21], exec, s[20:21]
; %bb.75:                               ;   in Loop: Header=BB228_73 Depth=2
	v_add_u32_e32 v33, 1, v33
	v_and_b32_e32 v33, 15, v33
	s_mov_b64 s[12:13], -1
                                        ; implicit-def: $vgpr34
; %bb.76:                               ;   in Loop: Header=BB228_73 Depth=2
	s_andn2_saveexec_b64 s[20:21], s[20:21]
	s_cbranch_execz .LBB228_80
; %bb.77:                               ;   in Loop: Header=BB228_73 Depth=2
	v_mov_b32_e32 v35, s2
	ds_cmpst_rtn_b32 v34, v34, v35, v31
	s_mov_b64 s[22:23], -1
	s_waitcnt lgkmcnt(0)
	v_cmp_eq_u32_e32 vcc, s2, v34
	s_and_saveexec_b64 s[24:25], vcc
	s_cbranch_execz .LBB228_79
; %bb.78:                               ;   in Loop: Header=BB228_73 Depth=2
	v_lshl_add_u32 v34, v33, 6, v55
	ds_add_f64 v34, v[22:23]
	ds_add_f64 v34, v[24:25] offset:8
	s_xor_b64 s[22:23], exec, -1
.LBB228_79:                             ;   in Loop: Header=BB228_73 Depth=2
	s_or_b64 exec, exec, s[24:25]
	s_andn2_b64 s[12:13], s[12:13], exec
	s_and_b64 s[22:23], s[22:23], exec
	s_or_b64 s[12:13], s[12:13], s[22:23]
.LBB228_80:                             ;   in Loop: Header=BB228_73 Depth=2
	s_or_b64 exec, exec, s[20:21]
	s_and_b64 s[12:13], s[12:13], exec
.LBB228_81:                             ;   in Loop: Header=BB228_73 Depth=2
	s_andn2_saveexec_b64 s[10:11], s[10:11]
	s_cbranch_execz .LBB228_72
; %bb.82:                               ;   in Loop: Header=BB228_73 Depth=2
	v_lshl_add_u32 v34, v33, 6, v55
	ds_add_f64 v34, v[22:23]
	ds_add_f64 v34, v[24:25] offset:8
	s_andn2_b64 s[12:13], s[12:13], exec
	s_branch .LBB228_72
.LBB228_83:                             ;   in Loop: Header=BB228_71 Depth=1
	s_or_b64 exec, exec, s[8:9]
	s_waitcnt vmcnt(1)
	v_mul_f64 v[22:23], v[10:11], -v[16:17]
	v_mul_f64 v[10:11], v[18:19], v[10:11]
	v_fmac_f64_e32 v[22:23], v[18:19], v[8:9]
	v_fmac_f64_e32 v[10:11], v[16:17], v[8:9]
	s_mov_b64 s[8:9], 0
	v_mov_b32_e32 v8, v32
	s_branch .LBB228_85
.LBB228_84:                             ;   in Loop: Header=BB228_85 Depth=2
	s_or_b64 exec, exec, s[10:11]
	s_xor_b64 s[10:11], s[12:13], -1
	s_and_b64 s[10:11], exec, s[10:11]
	s_or_b64 s[8:9], s[10:11], s[8:9]
	s_andn2_b64 exec, exec, s[8:9]
	s_cbranch_execz .LBB228_95
.LBB228_85:                             ;   Parent Loop BB228_71 Depth=1
                                        ; =>  This Inner Loop Header: Depth=2
	v_lshl_add_u32 v9, v8, 2, v56
	ds_read_b32 v24, v9
                                        ; implicit-def: $sgpr12_sgpr13
	s_waitcnt lgkmcnt(0)
	v_cmp_ne_u32_e32 vcc, v24, v31
	s_and_saveexec_b64 s[10:11], vcc
	s_xor_b64 s[10:11], exec, s[10:11]
	s_cbranch_execz .LBB228_93
; %bb.86:                               ;   in Loop: Header=BB228_85 Depth=2
	v_cmp_ne_u32_e32 vcc, s2, v24
                                        ; implicit-def: $sgpr12_sgpr13
	s_and_saveexec_b64 s[20:21], vcc
	s_xor_b64 s[20:21], exec, s[20:21]
; %bb.87:                               ;   in Loop: Header=BB228_85 Depth=2
	v_add_u32_e32 v8, 1, v8
	v_and_b32_e32 v8, 15, v8
	s_mov_b64 s[12:13], -1
                                        ; implicit-def: $vgpr9
; %bb.88:                               ;   in Loop: Header=BB228_85 Depth=2
	s_andn2_saveexec_b64 s[20:21], s[20:21]
	s_cbranch_execz .LBB228_92
; %bb.89:                               ;   in Loop: Header=BB228_85 Depth=2
	v_mov_b32_e32 v24, s2
	ds_cmpst_rtn_b32 v9, v9, v24, v31
	s_mov_b64 s[22:23], -1
	s_waitcnt lgkmcnt(0)
	v_cmp_eq_u32_e32 vcc, s2, v9
	s_and_saveexec_b64 s[24:25], vcc
	s_cbranch_execz .LBB228_91
; %bb.90:                               ;   in Loop: Header=BB228_85 Depth=2
	v_lshl_add_u32 v9, v8, 6, v26
	ds_add_f64 v9, v[22:23]
	ds_add_f64 v9, v[10:11] offset:8
	s_xor_b64 s[22:23], exec, -1
.LBB228_91:                             ;   in Loop: Header=BB228_85 Depth=2
	s_or_b64 exec, exec, s[24:25]
	s_andn2_b64 s[12:13], s[12:13], exec
	s_and_b64 s[22:23], s[22:23], exec
	s_or_b64 s[12:13], s[12:13], s[22:23]
.LBB228_92:                             ;   in Loop: Header=BB228_85 Depth=2
	s_or_b64 exec, exec, s[20:21]
	s_and_b64 s[12:13], s[12:13], exec
.LBB228_93:                             ;   in Loop: Header=BB228_85 Depth=2
	s_andn2_saveexec_b64 s[10:11], s[10:11]
	s_cbranch_execz .LBB228_84
; %bb.94:                               ;   in Loop: Header=BB228_85 Depth=2
	v_lshl_add_u32 v9, v8, 6, v26
	ds_add_f64 v9, v[22:23]
	ds_add_f64 v9, v[10:11] offset:8
	s_andn2_b64 s[12:13], s[12:13], exec
	s_branch .LBB228_84
.LBB228_95:                             ;   in Loop: Header=BB228_71 Depth=1
	s_or_b64 exec, exec, s[8:9]
	s_waitcnt vmcnt(0)
	v_mul_f64 v[8:9], v[6:7], -v[16:17]
	v_mul_f64 v[6:7], v[18:19], v[6:7]
	v_fmac_f64_e32 v[8:9], v[18:19], v[4:5]
	v_fmac_f64_e32 v[6:7], v[16:17], v[4:5]
	s_mov_b64 s[8:9], 0
	v_mov_b32_e32 v4, v32
	s_branch .LBB228_97
.LBB228_96:                             ;   in Loop: Header=BB228_97 Depth=2
	s_or_b64 exec, exec, s[10:11]
	s_xor_b64 s[10:11], s[12:13], -1
	s_and_b64 s[10:11], exec, s[10:11]
	s_or_b64 s[8:9], s[10:11], s[8:9]
	s_andn2_b64 exec, exec, s[8:9]
	s_cbranch_execz .LBB228_107
.LBB228_97:                             ;   Parent Loop BB228_71 Depth=1
                                        ; =>  This Inner Loop Header: Depth=2
	v_lshl_add_u32 v5, v4, 2, v56
	ds_read_b32 v10, v5
                                        ; implicit-def: $sgpr12_sgpr13
	s_waitcnt lgkmcnt(0)
	v_cmp_ne_u32_e32 vcc, v10, v31
	s_and_saveexec_b64 s[10:11], vcc
	s_xor_b64 s[10:11], exec, s[10:11]
	s_cbranch_execz .LBB228_105
; %bb.98:                               ;   in Loop: Header=BB228_97 Depth=2
	v_cmp_ne_u32_e32 vcc, s2, v10
                                        ; implicit-def: $sgpr12_sgpr13
	s_and_saveexec_b64 s[20:21], vcc
	s_xor_b64 s[20:21], exec, s[20:21]
; %bb.99:                               ;   in Loop: Header=BB228_97 Depth=2
	v_add_u32_e32 v4, 1, v4
	v_and_b32_e32 v4, 15, v4
	s_mov_b64 s[12:13], -1
                                        ; implicit-def: $vgpr5
; %bb.100:                              ;   in Loop: Header=BB228_97 Depth=2
	s_andn2_saveexec_b64 s[20:21], s[20:21]
	s_cbranch_execz .LBB228_104
; %bb.101:                              ;   in Loop: Header=BB228_97 Depth=2
	v_mov_b32_e32 v10, s2
	ds_cmpst_rtn_b32 v5, v5, v10, v31
	s_mov_b64 s[22:23], -1
	s_waitcnt lgkmcnt(0)
	v_cmp_eq_u32_e32 vcc, s2, v5
	s_and_saveexec_b64 s[24:25], vcc
	s_cbranch_execz .LBB228_103
; %bb.102:                              ;   in Loop: Header=BB228_97 Depth=2
	v_lshl_add_u32 v5, v4, 6, v27
	ds_add_f64 v5, v[8:9]
	ds_add_f64 v5, v[6:7] offset:8
	s_xor_b64 s[22:23], exec, -1
.LBB228_103:                            ;   in Loop: Header=BB228_97 Depth=2
	s_or_b64 exec, exec, s[24:25]
	s_andn2_b64 s[12:13], s[12:13], exec
	s_and_b64 s[22:23], s[22:23], exec
	s_or_b64 s[12:13], s[12:13], s[22:23]
.LBB228_104:                            ;   in Loop: Header=BB228_97 Depth=2
	s_or_b64 exec, exec, s[20:21]
	s_and_b64 s[12:13], s[12:13], exec
.LBB228_105:                            ;   in Loop: Header=BB228_97 Depth=2
	s_andn2_saveexec_b64 s[10:11], s[10:11]
	s_cbranch_execz .LBB228_96
; %bb.106:                              ;   in Loop: Header=BB228_97 Depth=2
	v_lshl_add_u32 v5, v4, 6, v27
	ds_add_f64 v5, v[8:9]
	ds_add_f64 v5, v[6:7] offset:8
	s_andn2_b64 s[12:13], s[12:13], exec
	s_branch .LBB228_96
.LBB228_107:                            ;   in Loop: Header=BB228_71 Depth=1
	s_or_b64 exec, exec, s[8:9]
	v_mul_f64 v[4:5], v[2:3], -v[16:17]
	v_mul_f64 v[2:3], v[18:19], v[2:3]
	v_fmac_f64_e32 v[4:5], v[18:19], v[0:1]
	v_fmac_f64_e32 v[2:3], v[16:17], v[0:1]
	s_mov_b64 s[8:9], 0
	s_branch .LBB228_109
.LBB228_108:                            ;   in Loop: Header=BB228_109 Depth=2
	s_or_b64 exec, exec, s[10:11]
	s_xor_b64 s[10:11], s[12:13], -1
	s_and_b64 s[10:11], exec, s[10:11]
	s_or_b64 s[8:9], s[10:11], s[8:9]
	s_andn2_b64 exec, exec, s[8:9]
	s_cbranch_execz .LBB228_70
.LBB228_109:                            ;   Parent Loop BB228_71 Depth=1
                                        ; =>  This Inner Loop Header: Depth=2
	v_lshl_add_u32 v0, v32, 2, v56
	ds_read_b32 v1, v0
                                        ; implicit-def: $sgpr12_sgpr13
	s_waitcnt lgkmcnt(0)
	v_cmp_ne_u32_e32 vcc, v1, v31
	s_and_saveexec_b64 s[10:11], vcc
	s_xor_b64 s[10:11], exec, s[10:11]
	s_cbranch_execz .LBB228_117
; %bb.110:                              ;   in Loop: Header=BB228_109 Depth=2
	v_cmp_ne_u32_e32 vcc, s2, v1
                                        ; implicit-def: $sgpr12_sgpr13
	s_and_saveexec_b64 s[20:21], vcc
	s_xor_b64 s[20:21], exec, s[20:21]
; %bb.111:                              ;   in Loop: Header=BB228_109 Depth=2
	v_add_u32_e32 v0, 1, v32
	v_and_b32_e32 v32, 15, v0
	s_mov_b64 s[12:13], -1
                                        ; implicit-def: $vgpr0
; %bb.112:                              ;   in Loop: Header=BB228_109 Depth=2
	s_andn2_saveexec_b64 s[20:21], s[20:21]
	s_cbranch_execz .LBB228_116
; %bb.113:                              ;   in Loop: Header=BB228_109 Depth=2
	v_mov_b32_e32 v1, s2
	ds_cmpst_rtn_b32 v0, v0, v1, v31
	s_mov_b64 s[22:23], -1
	s_waitcnt lgkmcnt(0)
	v_cmp_eq_u32_e32 vcc, s2, v0
	s_and_saveexec_b64 s[24:25], vcc
	s_cbranch_execz .LBB228_115
; %bb.114:                              ;   in Loop: Header=BB228_109 Depth=2
	v_lshl_add_u32 v0, v32, 6, v28
	ds_add_f64 v0, v[4:5]
	ds_add_f64 v0, v[2:3] offset:8
	s_xor_b64 s[22:23], exec, -1
.LBB228_115:                            ;   in Loop: Header=BB228_109 Depth=2
	s_or_b64 exec, exec, s[24:25]
	s_andn2_b64 s[12:13], s[12:13], exec
	s_and_b64 s[22:23], s[22:23], exec
	s_or_b64 s[12:13], s[12:13], s[22:23]
.LBB228_116:                            ;   in Loop: Header=BB228_109 Depth=2
	s_or_b64 exec, exec, s[20:21]
	s_and_b64 s[12:13], s[12:13], exec
.LBB228_117:                            ;   in Loop: Header=BB228_109 Depth=2
	s_andn2_saveexec_b64 s[10:11], s[10:11]
	s_cbranch_execz .LBB228_108
; %bb.118:                              ;   in Loop: Header=BB228_109 Depth=2
	v_lshl_add_u32 v0, v32, 6, v28
	ds_add_f64 v0, v[4:5]
	ds_add_f64 v0, v[2:3] offset:8
	s_andn2_b64 s[12:13], s[12:13], exec
	s_branch .LBB228_108
.LBB228_119:
	s_or_b64 exec, exec, s[4:5]
.LBB228_120:
	s_waitcnt lgkmcnt(0)
	ds_read_b32 v0, v57
	s_waitcnt lgkmcnt(0)
	v_cmp_gt_i32_e32 vcc, s2, v0
	s_and_b64 exec, exec, vcc
	s_cbranch_execz .LBB228_122
; %bb.121:
	v_mov_b32_e32 v1, s19
	v_add_co_u32_e32 v2, vcc, s18, v20
	v_addc_co_u32_e32 v3, vcc, v1, v21, vcc
	global_load_dwordx2 v[18:19], v[2:3], off
	ds_read_b128 v[2:5], v56
	ds_read_b128 v[6:9], v56 offset:16
	ds_read_b128 v[10:13], v56 offset:32
	;; [unrolled: 1-line block ×3, first 2 shown]
	s_cmp_eq_u32 s0, 0
	s_cselect_b32 s0, 1, 2
	s_cselect_b32 s1, 2, 1
	s_waitcnt lgkmcnt(3)
	v_cmp_gt_i32_e32 vcc, v0, v2
	v_cndmask_b32_e64 v1, 0, 1, vcc
	v_cmp_gt_i32_e32 vcc, v0, v3
	v_cndmask_b32_e64 v2, 0, 1, vcc
	v_cmp_gt_i32_e32 vcc, v0, v4
	v_cndmask_b32_e64 v3, 0, 1, vcc
	v_cmp_gt_i32_e32 vcc, v0, v5
	v_cndmask_b32_e64 v4, 0, 1, vcc
	s_waitcnt lgkmcnt(2)
	v_cmp_gt_i32_e32 vcc, v0, v6
	v_cndmask_b32_e64 v5, 0, 1, vcc
	v_cmp_gt_i32_e32 vcc, v0, v7
	v_cndmask_b32_e64 v6, 0, 1, vcc
	v_cmp_gt_i32_e32 vcc, v0, v8
	v_cndmask_b32_e64 v7, 0, 1, vcc
	v_cmp_gt_i32_e32 vcc, v0, v9
	v_cndmask_b32_e64 v8, 0, 1, vcc
	s_waitcnt lgkmcnt(1)
	v_cmp_gt_i32_e32 vcc, v0, v10
	v_cndmask_b32_e64 v9, 0, 1, vcc
	v_cmp_gt_i32_e32 vcc, v0, v11
	v_cndmask_b32_e64 v10, 0, 1, vcc
	v_cmp_gt_i32_e32 vcc, v0, v12
	v_cndmask_b32_e64 v11, 0, 1, vcc
	v_cmp_gt_i32_e32 vcc, v0, v13
	v_cndmask_b32_e64 v12, 0, 1, vcc
	s_waitcnt lgkmcnt(0)
	v_cmp_gt_i32_e32 vcc, v0, v14
	v_cndmask_b32_e64 v13, 0, 1, vcc
	v_cmp_gt_i32_e32 vcc, v0, v15
	v_cndmask_b32_e64 v14, 0, 1, vcc
	s_waitcnt vmcnt(0)
	v_subrev_co_u32_e32 v15, vcc, s30, v18
	v_subbrev_co_u32_e32 v18, vcc, 0, v19, vcc
	v_add_co_u32_e32 v1, vcc, v15, v1
	v_addc_co_u32_e32 v15, vcc, 0, v18, vcc
	v_add_co_u32_e32 v1, vcc, v1, v2
	v_addc_co_u32_e32 v2, vcc, 0, v15, vcc
	;; [unrolled: 2-line block ×14, first 2 shown]
	v_cmp_gt_i32_e32 vcc, v0, v16
	v_cndmask_b32_e64 v3, 0, 1, vcc
	v_add_co_u32_e32 v1, vcc, v1, v3
	v_addc_co_u32_e32 v3, vcc, 0, v2, vcc
	v_cmp_gt_i32_e32 vcc, v0, v17
	v_cndmask_b32_e64 v2, 0, 1, vcc
	v_add_co_u32_e32 v2, vcc, v1, v2
	v_addc_co_u32_e32 v3, vcc, 0, v3, vcc
	v_add_u32_e32 v4, s30, v0
	v_lshlrev_b64 v[0:1], 2, v[2:3]
	v_mov_b32_e32 v5, s37
	v_add_co_u32_e32 v0, vcc, s36, v0
	v_addc_co_u32_e32 v1, vcc, v5, v1, vcc
	global_store_dword v[0:1], v4, off
	v_lshlrev_b32_e32 v0, 2, v54
	v_or_b32_e32 v1, s0, v0
	v_or_b32_e32 v0, s1, v0
	v_lshl_add_u32 v12, v54, 6, v55
	v_lshl_add_u32 v1, v1, 4, v55
	;; [unrolled: 1-line block ×3, first 2 shown]
	v_lshlrev_b64 v[16:17], 6, v[2:3]
	ds_read2_b64 v[0:3], v1 offset1:1
	ds_read2_b64 v[4:7], v4 offset1:1
	;; [unrolled: 1-line block ×3, first 2 shown]
	ds_read2_b64 v[12:15], v12 offset0:6 offset1:7
	v_mov_b32_e32 v18, s39
	v_add_co_u32_e32 v16, vcc, s38, v16
	v_addc_co_u32_e32 v17, vcc, v18, v17, vcc
	s_waitcnt lgkmcnt(1)
	global_store_dwordx4 v[16:17], v[8:11], off
	global_store_dwordx4 v[16:17], v[0:3], off offset:16
	global_store_dwordx4 v[16:17], v[4:7], off offset:32
	s_waitcnt lgkmcnt(0)
	global_store_dwordx4 v[16:17], v[12:15], off offset:48
.LBB228_122:
	s_endpgm
	.section	.rodata,"a",@progbits
	.p2align	6, 0x0
	.amdhsa_kernel _ZN9rocsparseL27bsrgemm_fill_wf_per_row_2x2ILj256ELj16ELj16ELj137Eli21rocsparse_complex_numIdEEEv20rocsparse_direction_T4_S4_PKS4_S6_NS_24const_host_device_scalarIT5_EEPKT3_S6_PKS8_SC_S6_SE_S9_SC_S6_SE_SC_PS4_PS8_21rocsparse_index_base_SH_SH_SH_bbb
		.amdhsa_group_segment_fixed_size 21504
		.amdhsa_private_segment_fixed_size 0
		.amdhsa_kernarg_size 180
		.amdhsa_user_sgpr_count 8
		.amdhsa_user_sgpr_private_segment_buffer 1
		.amdhsa_user_sgpr_dispatch_ptr 1
		.amdhsa_user_sgpr_queue_ptr 0
		.amdhsa_user_sgpr_kernarg_segment_ptr 1
		.amdhsa_user_sgpr_dispatch_id 0
		.amdhsa_user_sgpr_flat_scratch_init 0
		.amdhsa_user_sgpr_kernarg_preload_length 0
		.amdhsa_user_sgpr_kernarg_preload_offset 0
		.amdhsa_user_sgpr_private_segment_size 0
		.amdhsa_uses_dynamic_stack 0
		.amdhsa_system_sgpr_private_segment_wavefront_offset 0
		.amdhsa_system_sgpr_workgroup_id_x 1
		.amdhsa_system_sgpr_workgroup_id_y 0
		.amdhsa_system_sgpr_workgroup_id_z 0
		.amdhsa_system_sgpr_workgroup_info 0
		.amdhsa_system_vgpr_workitem_id 2
		.amdhsa_next_free_vgpr 68
		.amdhsa_next_free_sgpr 56
		.amdhsa_accum_offset 68
		.amdhsa_reserve_vcc 1
		.amdhsa_reserve_flat_scratch 0
		.amdhsa_float_round_mode_32 0
		.amdhsa_float_round_mode_16_64 0
		.amdhsa_float_denorm_mode_32 3
		.amdhsa_float_denorm_mode_16_64 3
		.amdhsa_dx10_clamp 1
		.amdhsa_ieee_mode 1
		.amdhsa_fp16_overflow 0
		.amdhsa_tg_split 0
		.amdhsa_exception_fp_ieee_invalid_op 0
		.amdhsa_exception_fp_denorm_src 0
		.amdhsa_exception_fp_ieee_div_zero 0
		.amdhsa_exception_fp_ieee_overflow 0
		.amdhsa_exception_fp_ieee_underflow 0
		.amdhsa_exception_fp_ieee_inexact 0
		.amdhsa_exception_int_div_zero 0
	.end_amdhsa_kernel
	.section	.text._ZN9rocsparseL27bsrgemm_fill_wf_per_row_2x2ILj256ELj16ELj16ELj137Eli21rocsparse_complex_numIdEEEv20rocsparse_direction_T4_S4_PKS4_S6_NS_24const_host_device_scalarIT5_EEPKT3_S6_PKS8_SC_S6_SE_S9_SC_S6_SE_SC_PS4_PS8_21rocsparse_index_base_SH_SH_SH_bbb,"axG",@progbits,_ZN9rocsparseL27bsrgemm_fill_wf_per_row_2x2ILj256ELj16ELj16ELj137Eli21rocsparse_complex_numIdEEEv20rocsparse_direction_T4_S4_PKS4_S6_NS_24const_host_device_scalarIT5_EEPKT3_S6_PKS8_SC_S6_SE_S9_SC_S6_SE_SC_PS4_PS8_21rocsparse_index_base_SH_SH_SH_bbb,comdat
.Lfunc_end228:
	.size	_ZN9rocsparseL27bsrgemm_fill_wf_per_row_2x2ILj256ELj16ELj16ELj137Eli21rocsparse_complex_numIdEEEv20rocsparse_direction_T4_S4_PKS4_S6_NS_24const_host_device_scalarIT5_EEPKT3_S6_PKS8_SC_S6_SE_S9_SC_S6_SE_SC_PS4_PS8_21rocsparse_index_base_SH_SH_SH_bbb, .Lfunc_end228-_ZN9rocsparseL27bsrgemm_fill_wf_per_row_2x2ILj256ELj16ELj16ELj137Eli21rocsparse_complex_numIdEEEv20rocsparse_direction_T4_S4_PKS4_S6_NS_24const_host_device_scalarIT5_EEPKT3_S6_PKS8_SC_S6_SE_S9_SC_S6_SE_SC_PS4_PS8_21rocsparse_index_base_SH_SH_SH_bbb
                                        ; -- End function
	.section	.AMDGPU.csdata,"",@progbits
; Kernel info:
; codeLenInByte = 4332
; NumSgprs: 60
; NumVgprs: 68
; NumAgprs: 0
; TotalNumVgprs: 68
; ScratchSize: 0
; MemoryBound: 0
; FloatMode: 240
; IeeeMode: 1
; LDSByteSize: 21504 bytes/workgroup (compile time only)
; SGPRBlocks: 7
; VGPRBlocks: 8
; NumSGPRsForWavesPerEU: 60
; NumVGPRsForWavesPerEU: 68
; AccumOffset: 68
; Occupancy: 3
; WaveLimiterHint : 1
; COMPUTE_PGM_RSRC2:SCRATCH_EN: 0
; COMPUTE_PGM_RSRC2:USER_SGPR: 8
; COMPUTE_PGM_RSRC2:TRAP_HANDLER: 0
; COMPUTE_PGM_RSRC2:TGID_X_EN: 1
; COMPUTE_PGM_RSRC2:TGID_Y_EN: 0
; COMPUTE_PGM_RSRC2:TGID_Z_EN: 0
; COMPUTE_PGM_RSRC2:TIDIG_COMP_CNT: 2
; COMPUTE_PGM_RSRC3_GFX90A:ACCUM_OFFSET: 16
; COMPUTE_PGM_RSRC3_GFX90A:TG_SPLIT: 0
	.section	.text._ZN9rocsparseL27bsrgemm_fill_wf_per_row_2x2ILj256ELj16ELj32ELj137Eli21rocsparse_complex_numIdEEEv20rocsparse_direction_T4_S4_PKS4_S6_NS_24const_host_device_scalarIT5_EEPKT3_S6_PKS8_SC_S6_SE_S9_SC_S6_SE_SC_PS4_PS8_21rocsparse_index_base_SH_SH_SH_bbb,"axG",@progbits,_ZN9rocsparseL27bsrgemm_fill_wf_per_row_2x2ILj256ELj16ELj32ELj137Eli21rocsparse_complex_numIdEEEv20rocsparse_direction_T4_S4_PKS4_S6_NS_24const_host_device_scalarIT5_EEPKT3_S6_PKS8_SC_S6_SE_S9_SC_S6_SE_SC_PS4_PS8_21rocsparse_index_base_SH_SH_SH_bbb,comdat
	.globl	_ZN9rocsparseL27bsrgemm_fill_wf_per_row_2x2ILj256ELj16ELj32ELj137Eli21rocsparse_complex_numIdEEEv20rocsparse_direction_T4_S4_PKS4_S6_NS_24const_host_device_scalarIT5_EEPKT3_S6_PKS8_SC_S6_SE_S9_SC_S6_SE_SC_PS4_PS8_21rocsparse_index_base_SH_SH_SH_bbb ; -- Begin function _ZN9rocsparseL27bsrgemm_fill_wf_per_row_2x2ILj256ELj16ELj32ELj137Eli21rocsparse_complex_numIdEEEv20rocsparse_direction_T4_S4_PKS4_S6_NS_24const_host_device_scalarIT5_EEPKT3_S6_PKS8_SC_S6_SE_S9_SC_S6_SE_SC_PS4_PS8_21rocsparse_index_base_SH_SH_SH_bbb
	.p2align	8
	.type	_ZN9rocsparseL27bsrgemm_fill_wf_per_row_2x2ILj256ELj16ELj32ELj137Eli21rocsparse_complex_numIdEEEv20rocsparse_direction_T4_S4_PKS4_S6_NS_24const_host_device_scalarIT5_EEPKT3_S6_PKS8_SC_S6_SE_S9_SC_S6_SE_SC_PS4_PS8_21rocsparse_index_base_SH_SH_SH_bbb,@function
_ZN9rocsparseL27bsrgemm_fill_wf_per_row_2x2ILj256ELj16ELj32ELj137Eli21rocsparse_complex_numIdEEEv20rocsparse_direction_T4_S4_PKS4_S6_NS_24const_host_device_scalarIT5_EEPKT3_S6_PKS8_SC_S6_SE_S9_SC_S6_SE_SC_PS4_PS8_21rocsparse_index_base_SH_SH_SH_bbb: ; @_ZN9rocsparseL27bsrgemm_fill_wf_per_row_2x2ILj256ELj16ELj32ELj137Eli21rocsparse_complex_numIdEEEv20rocsparse_direction_T4_S4_PKS4_S6_NS_24const_host_device_scalarIT5_EEPKT3_S6_PKS8_SC_S6_SE_S9_SC_S6_SE_SC_PS4_PS8_21rocsparse_index_base_SH_SH_SH_bbb
; %bb.0:
	s_load_dword s9, s[6:7], 0xb0
	s_load_dwordx4 s[28:31], s[6:7], 0xa0
	s_load_dwordx2 s[2:3], s[4:5], 0x4
	s_load_dwordx4 s[12:15], s[6:7], 0x20
	s_load_dwordx4 s[48:51], s[6:7], 0x60
	v_and_b32_e32 v1, 0x3ff, v0
	s_waitcnt lgkmcnt(0)
	s_bitcmp1_b32 s9, 0
	s_cselect_b64 s[10:11], -1, 0
	s_bitcmp1_b32 s9, 16
	s_cselect_b64 s[0:1], -1, 0
	s_lshr_b32 s2, s2, 16
	s_mul_i32 s2, s2, s3
	v_mul_lo_u32 v2, s2, v1
	v_bfe_u32 v3, v0, 10, 10
	v_mad_u32_u24 v2, v3, s3, v2
	v_bfe_u32 v0, v0, 20, 10
	v_add_lshl_u32 v0, v2, v0, 3
	v_pk_mov_b32 v[2:3], s[12:13], s[12:13] op_sel:[0,1]
	v_pk_mov_b32 v[4:5], s[48:49], s[48:49] op_sel:[0,1]
	s_xor_b64 s[2:3], s[0:1], -1
	ds_write2st64_b64 v0, v[4:5], v[2:3] offset0:68 offset1:72
	v_pk_mov_b32 v[16:17], 0, 0
	v_cndmask_b32_e64 v2, 0, 1, s[2:3]
	s_bitcmp0_b32 s9, 0
	v_cmp_ne_u32_e64 s[2:3], 1, v2
	v_pk_mov_b32 v[22:23], v[16:17], v[16:17] op_sel:[0,1]
	v_pk_mov_b32 v[24:25], v[16:17], v[16:17] op_sel:[0,1]
	s_cbranch_scc1 .LBB229_3
; %bb.1:
	s_mov_b64 s[4:5], src_shared_base
	s_and_b64 s[16:17], s[0:1], exec
	v_add_u32_e32 v2, 0x9000, v0
	s_cselect_b32 s4, s5, s13
	v_mov_b32_e32 v3, s12
	v_cndmask_b32_e64 v2, v3, v2, s[0:1]
	v_mov_b32_e32 v3, s4
	flat_load_dwordx2 v[22:23], v[2:3]
	s_and_b64 vcc, exec, s[2:3]
	v_pk_mov_b32 v[24:25], s[14:15], s[14:15] op_sel:[0,1]
	s_cbranch_vccnz .LBB229_3
; %bb.2:
	v_pk_mov_b32 v[2:3], s[12:13], s[12:13] op_sel:[0,1]
	flat_load_dwordx2 v[24:25], v[2:3] offset:8
.LBB229_3:
	s_load_dwordx4 s[36:39], s[6:7], 0x90
	s_load_dwordx8 s[12:19], s[6:7], 0x70
	s_load_dwordx4 s[40:43], s[6:7], 0x50
	s_load_dwordx4 s[44:47], s[6:7], 0x10
	s_load_dwordx8 s[20:27], s[6:7], 0x30
	s_bitcmp1_b32 s9, 8
	s_cselect_b64 s[4:5], -1, 0
	s_bfe_u32 s9, s9, 0x10008
	s_mov_b64 s[34:35], 0
	s_cmp_eq_u32 s9, 0
	v_pk_mov_b32 v[18:19], v[16:17], v[16:17] op_sel:[0,1]
	s_cbranch_scc1 .LBB229_6
; %bb.4:
	s_mov_b64 s[52:53], src_shared_base
	s_and_b64 s[54:55], s[0:1], exec
	v_add_u32_e32 v0, 0x8800, v0
	s_cselect_b32 s9, s53, s49
	v_mov_b32_e32 v2, s48
	v_cndmask_b32_e64 v2, v2, v0, s[0:1]
	v_mov_b32_e32 v3, s9
	flat_load_dwordx2 v[18:19], v[2:3]
	s_and_b64 vcc, exec, s[2:3]
	v_pk_mov_b32 v[16:17], s[50:51], s[50:51] op_sel:[0,1]
	s_cbranch_vccnz .LBB229_6
; %bb.5:
	v_pk_mov_b32 v[2:3], s[48:49], s[48:49] op_sel:[0,1]
	flat_load_dwordx2 v[16:17], v[2:3] offset:8
.LBB229_6:
	s_load_dwordx4 s[0:3], s[6:7], 0x0
	v_lshrrev_b32_e32 v58, 4, v1
	v_mov_b32_e32 v0, 0x8000
	v_and_b32_e32 v56, 15, v1
	v_lshl_or_b32 v54, v58, 7, v0
	v_lshl_or_b32 v0, v56, 2, v54
	s_waitcnt lgkmcnt(0)
	v_mov_b32_e32 v1, s2
	ds_write2_b32 v0, v1, v1 offset1:16
	v_or_b32_e32 v55, -16, v56
	v_lshlrev_b32_e32 v57, 11, v58
	v_mov_b32_e32 v0, 0
	v_lshl_or_b32 v4, v56, 4, v57
	v_mov_b32_e32 v1, v0
	v_mov_b32_e32 v2, v0
	;; [unrolled: 1-line block ×3, first 2 shown]
	s_movk_i32 s3, 0x6f
	v_mov_b32_e32 v5, v55
.LBB229_7:                              ; =>This Inner Loop Header: Depth=1
	v_add_u32_e32 v5, 16, v5
	v_cmp_lt_u32_e32 vcc, s3, v5
	ds_write_b128 v4, v[0:3]
	s_or_b64 s[34:35], vcc, s[34:35]
	v_add_u32_e32 v4, 0x100, v4
	s_andn2_b64 exec, exec, s[34:35]
	s_cbranch_execnz .LBB229_7
; %bb.8:
	s_or_b64 exec, exec, s[34:35]
	v_lshl_or_b32 v0, s8, 4, v58
	v_cmp_gt_i32_e32 vcc, s1, v0
	s_waitcnt lgkmcnt(0)
	s_barrier
	s_and_saveexec_b64 s[6:7], vcc
	s_cbranch_execz .LBB229_124
; %bb.9:
	s_cmp_eq_u64 s[46:47], 0
	s_cbranch_scc1 .LBB229_11
; %bb.10:
	s_load_dword s1, s[44:45], 0x0
	v_mov_b32_e32 v2, s47
	s_waitcnt lgkmcnt(0)
	v_add_u32_e32 v0, s1, v0
	v_ashrrev_i32_e32 v1, 31, v0
	v_lshlrev_b64 v[0:1], 2, v[0:1]
	v_add_co_u32_e32 v0, vcc, s46, v0
	v_addc_co_u32_e32 v1, vcc, v2, v1, vcc
	global_load_dword v0, v[0:1], off
.LBB229_11:
	s_waitcnt vmcnt(0)
	v_ashrrev_i32_e32 v1, 31, v0
	s_andn2_b64 vcc, exec, s[10:11]
	v_lshlrev_b64 v[20:21], 3, v[0:1]
	s_cbranch_vccnz .LBB229_67
; %bb.12:
	v_mov_b32_e32 v1, s21
	v_add_co_u32_e32 v0, vcc, s20, v20
	v_addc_co_u32_e32 v1, vcc, v1, v21, vcc
	global_load_dwordx4 v[0:3], v[0:1], off
	v_subrev_co_u32_e32 v4, vcc, s28, v56
	v_subb_co_u32_e64 v5, s[6:7], 0, 0, vcc
	s_mov_b32 s1, 0
	s_waitcnt vmcnt(0)
	v_subrev_co_u32_e32 v26, vcc, s28, v2
	v_subbrev_co_u32_e32 v27, vcc, 0, v3, vcc
	v_add_co_u32_e32 v28, vcc, v0, v4
	v_addc_co_u32_e32 v29, vcc, v1, v5, vcc
	v_cmp_lt_i64_e32 vcc, v[28:29], v[26:27]
	s_and_saveexec_b64 s[6:7], vcc
	s_cbranch_execz .LBB229_66
; %bb.13:
	s_cmp_eq_u32 s0, 0
	s_mov_b32 s3, s29
	s_cselect_b32 s33, 1, 2
	s_cselect_b32 s54, 2, 1
	v_add_u32_e32 v59, 16, v57
	v_add_u32_e32 v60, 32, v57
	;; [unrolled: 1-line block ×3, first 2 shown]
	s_mov_b64 s[8:9], 0
	v_mov_b32_e32 v62, s23
	v_mov_b32_e32 v63, s27
	s_branch .LBB229_15
.LBB229_14:                             ;   in Loop: Header=BB229_15 Depth=1
	s_or_b64 exec, exec, s[10:11]
	v_add_co_u32_e32 v28, vcc, 16, v28
	v_addc_co_u32_e32 v29, vcc, 0, v29, vcc
	v_cmp_ge_i64_e32 vcc, v[28:29], v[26:27]
	s_or_b64 s[8:9], vcc, s[8:9]
	s_andn2_b64 exec, exec, s[8:9]
	s_cbranch_execz .LBB229_66
.LBB229_15:                             ; =>This Loop Header: Depth=1
                                        ;     Child Loop BB229_18 Depth 2
                                        ;       Child Loop BB229_20 Depth 3
                                        ;       Child Loop BB229_32 Depth 3
	;; [unrolled: 1-line block ×4, first 2 shown]
	v_lshlrev_b64 v[4:5], 2, v[28:29]
	v_add_co_u32_e32 v0, vcc, s22, v4
	v_addc_co_u32_e32 v1, vcc, v62, v5, vcc
	global_load_dword v0, v[0:1], off
	s_waitcnt vmcnt(0)
	v_subrev_u32_e32 v0, s28, v0
	v_ashrrev_i32_e32 v1, 31, v0
	v_lshlrev_b64 v[0:1], 3, v[0:1]
	v_add_co_u32_e32 v0, vcc, s26, v0
	v_addc_co_u32_e32 v1, vcc, v63, v1, vcc
	global_load_dwordx4 v[0:3], v[0:1], off
	s_waitcnt vmcnt(0)
	v_cmp_lt_i64_e32 vcc, v[0:1], v[2:3]
	s_and_saveexec_b64 s[10:11], vcc
	s_cbranch_execz .LBB229_14
; %bb.16:                               ;   in Loop: Header=BB229_15 Depth=1
	v_lshlrev_b64 v[6:7], 6, v[28:29]
	v_mov_b32_e32 v30, s25
	v_add_co_u32_e32 v14, vcc, s24, v6
	v_addc_co_u32_e32 v15, vcc, v30, v7, vcc
	global_load_dwordx4 v[6:9], v[14:15], off
	global_load_dwordx4 v[10:13], v[14:15], off offset:48
	v_or_b32_e32 v15, 0, v5
	v_or_b32_e32 v14, s33, v4
	v_lshlrev_b64 v[14:15], 4, v[14:15]
	v_add_co_u32_e32 v14, vcc, s24, v14
	v_or_b32_e32 v5, 0, v5
	v_or_b32_e32 v4, s54, v4
	v_addc_co_u32_e32 v15, vcc, v30, v15, vcc
	v_lshlrev_b64 v[4:5], 4, v[4:5]
	v_add_co_u32_e32 v4, vcc, s24, v4
	v_addc_co_u32_e32 v5, vcc, v30, v5, vcc
	global_load_dwordx4 v[50:53], v[14:15], off
	global_load_dwordx4 v[64:67], v[4:5], off
	v_mov_b32_e32 v4, s1
	v_subrev_co_u32_e32 v30, vcc, s3, v2
	v_subb_co_u32_e32 v31, vcc, v3, v4, vcc
	v_subrev_co_u32_e32 v32, vcc, s3, v0
	v_subb_co_u32_e32 v33, vcc, v1, v4, vcc
	s_mov_b64 s[20:21], 0
	s_waitcnt vmcnt(3)
	v_mul_f64 v[34:35], v[8:9], -v[24:25]
	v_mul_f64 v[36:37], v[22:23], v[8:9]
	s_waitcnt vmcnt(2)
	v_mul_f64 v[38:39], v[12:13], -v[24:25]
	v_mul_f64 v[40:41], v[22:23], v[12:13]
	v_fmac_f64_e32 v[34:35], v[22:23], v[6:7]
	v_fmac_f64_e32 v[36:37], v[24:25], v[6:7]
	;; [unrolled: 1-line block ×4, first 2 shown]
	s_waitcnt vmcnt(1)
	v_mul_f64 v[42:43], v[52:53], -v[24:25]
	v_mul_f64 v[44:45], v[22:23], v[52:53]
	s_waitcnt vmcnt(0)
	v_mul_f64 v[46:47], v[66:67], -v[24:25]
	v_mul_f64 v[48:49], v[22:23], v[66:67]
	v_fmac_f64_e32 v[42:43], v[22:23], v[50:51]
	v_fmac_f64_e32 v[44:45], v[24:25], v[50:51]
	;; [unrolled: 1-line block ×4, first 2 shown]
	s_branch .LBB229_18
.LBB229_17:                             ;   in Loop: Header=BB229_18 Depth=2
	s_or_b64 exec, exec, s[34:35]
	v_add_co_u32_e32 v32, vcc, 1, v32
	v_addc_co_u32_e32 v33, vcc, 0, v33, vcc
	v_cmp_ge_i64_e32 vcc, v[32:33], v[30:31]
	s_or_b64 s[20:21], vcc, s[20:21]
	s_andn2_b64 exec, exec, s[20:21]
	s_cbranch_execz .LBB229_14
.LBB229_18:                             ;   Parent Loop BB229_15 Depth=1
                                        ; =>  This Loop Header: Depth=2
                                        ;       Child Loop BB229_20 Depth 3
                                        ;       Child Loop BB229_32 Depth 3
	;; [unrolled: 1-line block ×4, first 2 shown]
	v_lshlrev_b64 v[0:1], 2, v[32:33]
	v_mov_b32_e32 v3, s41
	v_add_co_u32_e32 v2, vcc, s40, v0
	v_addc_co_u32_e32 v3, vcc, v3, v1, vcc
	global_load_dword v64, v[2:3], off
	v_or_b32_e32 v3, 0, v1
	v_or_b32_e32 v2, s33, v0
	;; [unrolled: 1-line block ×4, first 2 shown]
	v_lshlrev_b64 v[0:1], 4, v[0:1]
	v_mov_b32_e32 v6, s43
	v_add_co_u32_e32 v0, vcc, s42, v0
	v_lshlrev_b64 v[4:5], 6, v[32:33]
	v_addc_co_u32_e32 v1, vcc, v6, v1, vcc
	v_add_co_u32_e32 v50, vcc, s42, v4
	global_load_dwordx4 v[12:15], v[0:1], off
	v_addc_co_u32_e32 v51, vcc, v6, v5, vcc
	global_load_dwordx4 v[8:11], v[50:51], off
	v_lshlrev_b64 v[0:1], 4, v[2:3]
	v_add_co_u32_e32 v52, vcc, s42, v0
	v_addc_co_u32_e32 v53, vcc, v6, v1, vcc
	global_load_dwordx4 v[0:3], v[52:53], off
	global_load_dwordx4 v[4:7], v[50:51], off offset:48
	s_mov_b64 s[34:35], 0
	s_waitcnt vmcnt(4)
	v_subrev_u32_e32 v64, s29, v64
	v_lshl_add_u32 v65, v64, 3, v64
	v_and_b32_e32 v65, 31, v65
	v_mov_b32_e32 v66, v65
	s_waitcnt vmcnt(3)
	v_mul_f64 v[52:53], v[14:15], -v[44:45]
	v_mul_f64 v[50:51], v[42:43], v[14:15]
	v_fmac_f64_e32 v[52:53], v[42:43], v[12:13]
	v_fmac_f64_e32 v[50:51], v[44:45], v[12:13]
	s_waitcnt vmcnt(2)
	v_fmac_f64_e32 v[52:53], v[34:35], v[8:9]
	v_fmac_f64_e32 v[50:51], v[36:37], v[8:9]
	v_fma_f64 v[52:53], -v[36:37], v[10:11], v[52:53]
	v_fmac_f64_e32 v[50:51], v[34:35], v[10:11]
	s_branch .LBB229_20
.LBB229_19:                             ;   in Loop: Header=BB229_20 Depth=3
	s_or_b64 exec, exec, s[44:45]
	s_xor_b64 s[44:45], s[46:47], -1
	s_and_b64 s[44:45], exec, s[44:45]
	s_or_b64 s[34:35], s[44:45], s[34:35]
	s_andn2_b64 exec, exec, s[34:35]
	s_cbranch_execz .LBB229_30
.LBB229_20:                             ;   Parent Loop BB229_15 Depth=1
                                        ;     Parent Loop BB229_18 Depth=2
                                        ; =>    This Inner Loop Header: Depth=3
	v_lshl_add_u32 v67, v66, 2, v54
	ds_read_b32 v68, v67
                                        ; implicit-def: $sgpr46_sgpr47
	s_waitcnt lgkmcnt(0)
	v_cmp_ne_u32_e32 vcc, v68, v64
	s_and_saveexec_b64 s[44:45], vcc
	s_xor_b64 s[44:45], exec, s[44:45]
	s_cbranch_execz .LBB229_28
; %bb.21:                               ;   in Loop: Header=BB229_20 Depth=3
	v_cmp_ne_u32_e32 vcc, s2, v68
                                        ; implicit-def: $sgpr46_sgpr47
	s_and_saveexec_b64 s[48:49], vcc
	s_xor_b64 s[48:49], exec, s[48:49]
; %bb.22:                               ;   in Loop: Header=BB229_20 Depth=3
	v_add_u32_e32 v66, 1, v66
	v_and_b32_e32 v66, 31, v66
	s_mov_b64 s[46:47], -1
                                        ; implicit-def: $vgpr67
; %bb.23:                               ;   in Loop: Header=BB229_20 Depth=3
	s_andn2_saveexec_b64 s[48:49], s[48:49]
	s_cbranch_execz .LBB229_27
; %bb.24:                               ;   in Loop: Header=BB229_20 Depth=3
	v_mov_b32_e32 v68, s2
	ds_cmpst_rtn_b32 v67, v67, v68, v64
	s_mov_b64 s[50:51], -1
	s_waitcnt lgkmcnt(0)
	v_cmp_eq_u32_e32 vcc, s2, v67
	s_and_saveexec_b64 s[52:53], vcc
	s_cbranch_execz .LBB229_26
; %bb.25:                               ;   in Loop: Header=BB229_20 Depth=3
	v_lshl_add_u32 v67, v66, 6, v57
	ds_add_f64 v67, v[52:53]
	ds_add_f64 v67, v[50:51] offset:8
	s_xor_b64 s[50:51], exec, -1
.LBB229_26:                             ;   in Loop: Header=BB229_20 Depth=3
	s_or_b64 exec, exec, s[52:53]
	s_andn2_b64 s[46:47], s[46:47], exec
	s_and_b64 s[50:51], s[50:51], exec
	s_or_b64 s[46:47], s[46:47], s[50:51]
.LBB229_27:                             ;   in Loop: Header=BB229_20 Depth=3
	s_or_b64 exec, exec, s[48:49]
	s_and_b64 s[46:47], s[46:47], exec
.LBB229_28:                             ;   in Loop: Header=BB229_20 Depth=3
	s_andn2_saveexec_b64 s[44:45], s[44:45]
	s_cbranch_execz .LBB229_19
; %bb.29:                               ;   in Loop: Header=BB229_20 Depth=3
	v_lshl_add_u32 v67, v66, 6, v57
	ds_add_f64 v67, v[52:53]
	ds_add_f64 v67, v[50:51] offset:8
	s_andn2_b64 s[46:47], s[46:47], exec
	s_branch .LBB229_19
.LBB229_30:                             ;   in Loop: Header=BB229_18 Depth=2
	s_or_b64 exec, exec, s[34:35]
	s_waitcnt vmcnt(0)
	v_mul_f64 v[52:53], v[6:7], -v[44:45]
	v_mul_f64 v[50:51], v[42:43], v[6:7]
	v_fmac_f64_e32 v[52:53], v[42:43], v[4:5]
	v_fmac_f64_e32 v[50:51], v[44:45], v[4:5]
	;; [unrolled: 1-line block ×4, first 2 shown]
	v_fma_f64 v[52:53], -v[36:37], v[2:3], v[52:53]
	v_fmac_f64_e32 v[50:51], v[34:35], v[2:3]
	s_mov_b64 s[34:35], 0
	v_mov_b32_e32 v66, v65
	s_branch .LBB229_32
.LBB229_31:                             ;   in Loop: Header=BB229_32 Depth=3
	s_or_b64 exec, exec, s[44:45]
	s_xor_b64 s[44:45], s[46:47], -1
	s_and_b64 s[44:45], exec, s[44:45]
	s_or_b64 s[34:35], s[44:45], s[34:35]
	s_andn2_b64 exec, exec, s[34:35]
	s_cbranch_execz .LBB229_42
.LBB229_32:                             ;   Parent Loop BB229_15 Depth=1
                                        ;     Parent Loop BB229_18 Depth=2
                                        ; =>    This Inner Loop Header: Depth=3
	v_lshl_add_u32 v67, v66, 2, v54
	ds_read_b32 v68, v67
                                        ; implicit-def: $sgpr46_sgpr47
	s_waitcnt lgkmcnt(0)
	v_cmp_ne_u32_e32 vcc, v68, v64
	s_and_saveexec_b64 s[44:45], vcc
	s_xor_b64 s[44:45], exec, s[44:45]
	s_cbranch_execz .LBB229_40
; %bb.33:                               ;   in Loop: Header=BB229_32 Depth=3
	v_cmp_ne_u32_e32 vcc, s2, v68
                                        ; implicit-def: $sgpr46_sgpr47
	s_and_saveexec_b64 s[48:49], vcc
	s_xor_b64 s[48:49], exec, s[48:49]
; %bb.34:                               ;   in Loop: Header=BB229_32 Depth=3
	v_add_u32_e32 v66, 1, v66
	v_and_b32_e32 v66, 31, v66
	s_mov_b64 s[46:47], -1
                                        ; implicit-def: $vgpr67
; %bb.35:                               ;   in Loop: Header=BB229_32 Depth=3
	s_andn2_saveexec_b64 s[48:49], s[48:49]
	s_cbranch_execz .LBB229_39
; %bb.36:                               ;   in Loop: Header=BB229_32 Depth=3
	v_mov_b32_e32 v68, s2
	ds_cmpst_rtn_b32 v67, v67, v68, v64
	s_mov_b64 s[50:51], -1
	s_waitcnt lgkmcnt(0)
	v_cmp_eq_u32_e32 vcc, s2, v67
	s_and_saveexec_b64 s[52:53], vcc
	s_cbranch_execz .LBB229_38
; %bb.37:                               ;   in Loop: Header=BB229_32 Depth=3
	v_lshl_add_u32 v67, v66, 6, v59
	ds_add_f64 v67, v[52:53]
	ds_add_f64 v67, v[50:51] offset:8
	s_xor_b64 s[50:51], exec, -1
.LBB229_38:                             ;   in Loop: Header=BB229_32 Depth=3
	s_or_b64 exec, exec, s[52:53]
	s_andn2_b64 s[46:47], s[46:47], exec
	s_and_b64 s[50:51], s[50:51], exec
	s_or_b64 s[46:47], s[46:47], s[50:51]
.LBB229_39:                             ;   in Loop: Header=BB229_32 Depth=3
	s_or_b64 exec, exec, s[48:49]
	s_and_b64 s[46:47], s[46:47], exec
.LBB229_40:                             ;   in Loop: Header=BB229_32 Depth=3
	s_andn2_saveexec_b64 s[44:45], s[44:45]
	s_cbranch_execz .LBB229_31
; %bb.41:                               ;   in Loop: Header=BB229_32 Depth=3
	v_lshl_add_u32 v67, v66, 6, v59
	ds_add_f64 v67, v[52:53]
	ds_add_f64 v67, v[50:51] offset:8
	s_andn2_b64 s[46:47], s[46:47], exec
	s_branch .LBB229_31
.LBB229_42:                             ;   in Loop: Header=BB229_18 Depth=2
	s_or_b64 exec, exec, s[34:35]
	v_mul_f64 v[50:51], v[14:15], -v[40:41]
	v_mul_f64 v[14:15], v[38:39], v[14:15]
	v_fmac_f64_e32 v[50:51], v[38:39], v[12:13]
	v_fmac_f64_e32 v[14:15], v[40:41], v[12:13]
	;; [unrolled: 1-line block ×4, first 2 shown]
	v_fma_f64 v[12:13], -v[48:49], v[10:11], v[50:51]
	v_fmac_f64_e32 v[14:15], v[46:47], v[10:11]
	s_mov_b64 s[34:35], 0
	v_mov_b32_e32 v8, v65
	s_branch .LBB229_44
.LBB229_43:                             ;   in Loop: Header=BB229_44 Depth=3
	s_or_b64 exec, exec, s[44:45]
	s_xor_b64 s[44:45], s[46:47], -1
	s_and_b64 s[44:45], exec, s[44:45]
	s_or_b64 s[34:35], s[44:45], s[34:35]
	s_andn2_b64 exec, exec, s[34:35]
	s_cbranch_execz .LBB229_54
.LBB229_44:                             ;   Parent Loop BB229_15 Depth=1
                                        ;     Parent Loop BB229_18 Depth=2
                                        ; =>    This Inner Loop Header: Depth=3
	v_lshl_add_u32 v9, v8, 2, v54
	ds_read_b32 v10, v9
                                        ; implicit-def: $sgpr46_sgpr47
	s_waitcnt lgkmcnt(0)
	v_cmp_ne_u32_e32 vcc, v10, v64
	s_and_saveexec_b64 s[44:45], vcc
	s_xor_b64 s[44:45], exec, s[44:45]
	s_cbranch_execz .LBB229_52
; %bb.45:                               ;   in Loop: Header=BB229_44 Depth=3
	v_cmp_ne_u32_e32 vcc, s2, v10
                                        ; implicit-def: $sgpr46_sgpr47
	s_and_saveexec_b64 s[48:49], vcc
	s_xor_b64 s[48:49], exec, s[48:49]
; %bb.46:                               ;   in Loop: Header=BB229_44 Depth=3
	v_add_u32_e32 v8, 1, v8
	v_and_b32_e32 v8, 31, v8
	s_mov_b64 s[46:47], -1
                                        ; implicit-def: $vgpr9
; %bb.47:                               ;   in Loop: Header=BB229_44 Depth=3
	s_andn2_saveexec_b64 s[48:49], s[48:49]
	s_cbranch_execz .LBB229_51
; %bb.48:                               ;   in Loop: Header=BB229_44 Depth=3
	v_mov_b32_e32 v10, s2
	ds_cmpst_rtn_b32 v9, v9, v10, v64
	s_mov_b64 s[50:51], -1
	s_waitcnt lgkmcnt(0)
	v_cmp_eq_u32_e32 vcc, s2, v9
	s_and_saveexec_b64 s[52:53], vcc
	s_cbranch_execz .LBB229_50
; %bb.49:                               ;   in Loop: Header=BB229_44 Depth=3
	v_lshl_add_u32 v9, v8, 6, v60
	ds_add_f64 v9, v[12:13]
	ds_add_f64 v9, v[14:15] offset:8
	s_xor_b64 s[50:51], exec, -1
.LBB229_50:                             ;   in Loop: Header=BB229_44 Depth=3
	s_or_b64 exec, exec, s[52:53]
	s_andn2_b64 s[46:47], s[46:47], exec
	s_and_b64 s[50:51], s[50:51], exec
	s_or_b64 s[46:47], s[46:47], s[50:51]
.LBB229_51:                             ;   in Loop: Header=BB229_44 Depth=3
	s_or_b64 exec, exec, s[48:49]
	s_and_b64 s[46:47], s[46:47], exec
.LBB229_52:                             ;   in Loop: Header=BB229_44 Depth=3
	s_andn2_saveexec_b64 s[44:45], s[44:45]
	s_cbranch_execz .LBB229_43
; %bb.53:                               ;   in Loop: Header=BB229_44 Depth=3
	v_lshl_add_u32 v9, v8, 6, v60
	ds_add_f64 v9, v[12:13]
	ds_add_f64 v9, v[14:15] offset:8
	s_andn2_b64 s[46:47], s[46:47], exec
	s_branch .LBB229_43
.LBB229_54:                             ;   in Loop: Header=BB229_18 Depth=2
	s_or_b64 exec, exec, s[34:35]
	v_mul_f64 v[8:9], v[6:7], -v[40:41]
	v_mul_f64 v[6:7], v[38:39], v[6:7]
	v_fmac_f64_e32 v[8:9], v[38:39], v[4:5]
	v_fmac_f64_e32 v[6:7], v[40:41], v[4:5]
	;; [unrolled: 1-line block ×4, first 2 shown]
	v_fma_f64 v[4:5], -v[48:49], v[2:3], v[8:9]
	v_fmac_f64_e32 v[6:7], v[46:47], v[2:3]
	s_mov_b64 s[34:35], 0
	s_branch .LBB229_56
.LBB229_55:                             ;   in Loop: Header=BB229_56 Depth=3
	s_or_b64 exec, exec, s[44:45]
	s_xor_b64 s[44:45], s[46:47], -1
	s_and_b64 s[44:45], exec, s[44:45]
	s_or_b64 s[34:35], s[44:45], s[34:35]
	s_andn2_b64 exec, exec, s[34:35]
	s_cbranch_execz .LBB229_17
.LBB229_56:                             ;   Parent Loop BB229_15 Depth=1
                                        ;     Parent Loop BB229_18 Depth=2
                                        ; =>    This Inner Loop Header: Depth=3
	v_lshl_add_u32 v0, v65, 2, v54
	ds_read_b32 v1, v0
                                        ; implicit-def: $sgpr46_sgpr47
	s_waitcnt lgkmcnt(0)
	v_cmp_ne_u32_e32 vcc, v1, v64
	s_and_saveexec_b64 s[44:45], vcc
	s_xor_b64 s[44:45], exec, s[44:45]
	s_cbranch_execz .LBB229_64
; %bb.57:                               ;   in Loop: Header=BB229_56 Depth=3
	v_cmp_ne_u32_e32 vcc, s2, v1
                                        ; implicit-def: $sgpr46_sgpr47
	s_and_saveexec_b64 s[48:49], vcc
	s_xor_b64 s[48:49], exec, s[48:49]
; %bb.58:                               ;   in Loop: Header=BB229_56 Depth=3
	v_add_u32_e32 v0, 1, v65
	v_and_b32_e32 v65, 31, v0
	s_mov_b64 s[46:47], -1
                                        ; implicit-def: $vgpr0
; %bb.59:                               ;   in Loop: Header=BB229_56 Depth=3
	s_andn2_saveexec_b64 s[48:49], s[48:49]
	s_cbranch_execz .LBB229_63
; %bb.60:                               ;   in Loop: Header=BB229_56 Depth=3
	v_mov_b32_e32 v1, s2
	ds_cmpst_rtn_b32 v0, v0, v1, v64
	s_mov_b64 s[50:51], -1
	s_waitcnt lgkmcnt(0)
	v_cmp_eq_u32_e32 vcc, s2, v0
	s_and_saveexec_b64 s[52:53], vcc
	s_cbranch_execz .LBB229_62
; %bb.61:                               ;   in Loop: Header=BB229_56 Depth=3
	v_lshl_add_u32 v0, v65, 6, v61
	ds_add_f64 v0, v[4:5]
	ds_add_f64 v0, v[6:7] offset:8
	s_xor_b64 s[50:51], exec, -1
.LBB229_62:                             ;   in Loop: Header=BB229_56 Depth=3
	s_or_b64 exec, exec, s[52:53]
	s_andn2_b64 s[46:47], s[46:47], exec
	s_and_b64 s[50:51], s[50:51], exec
	s_or_b64 s[46:47], s[46:47], s[50:51]
.LBB229_63:                             ;   in Loop: Header=BB229_56 Depth=3
	s_or_b64 exec, exec, s[48:49]
	s_and_b64 s[46:47], s[46:47], exec
.LBB229_64:                             ;   in Loop: Header=BB229_56 Depth=3
	s_andn2_saveexec_b64 s[44:45], s[44:45]
	s_cbranch_execz .LBB229_55
; %bb.65:                               ;   in Loop: Header=BB229_56 Depth=3
	v_lshl_add_u32 v0, v65, 6, v61
	ds_add_f64 v0, v[4:5]
	ds_add_f64 v0, v[6:7] offset:8
	s_andn2_b64 s[46:47], s[46:47], exec
	s_branch .LBB229_55
.LBB229_66:
	s_or_b64 exec, exec, s[6:7]
.LBB229_67:
	v_lshlrev_b32_e32 v26, 7, v58
	s_andn2_b64 vcc, exec, s[4:5]
	s_waitcnt lgkmcnt(0)
	s_cbranch_vccnz .LBB229_120
; %bb.68:
	v_mov_b32_e32 v1, s13
	v_add_co_u32_e32 v0, vcc, s12, v20
	v_addc_co_u32_e32 v1, vcc, v1, v21, vcc
	global_load_dwordx4 v[0:3], v[0:1], off
	v_subrev_co_u32_e32 v4, vcc, s31, v56
	v_subb_co_u32_e64 v5, s[4:5], 0, 0, vcc
	s_waitcnt vmcnt(0)
	v_subrev_co_u32_e32 v12, vcc, s31, v2
	v_subbrev_co_u32_e32 v13, vcc, 0, v3, vcc
	v_add_co_u32_e32 v14, vcc, v0, v4
	v_addc_co_u32_e32 v15, vcc, v1, v5, vcc
	v_cmp_lt_i64_e32 vcc, v[14:15], v[12:13]
	s_and_saveexec_b64 s[4:5], vcc
	s_cbranch_execz .LBB229_119
; %bb.69:
	s_cmp_eq_u32 s0, 0
	s_cselect_b32 s1, 1, 2
	s_cselect_b32 s3, 2, 1
	v_add_u32_e32 v27, 16, v57
	v_add_u32_e32 v28, 32, v57
	v_add_u32_e32 v29, 48, v57
	s_mov_b64 s[6:7], 0
	v_mov_b32_e32 v30, s17
	v_mov_b32_e32 v31, s15
	s_branch .LBB229_71
.LBB229_70:                             ;   in Loop: Header=BB229_71 Depth=1
	s_or_b64 exec, exec, s[8:9]
	v_add_co_u32_e32 v14, vcc, 16, v14
	v_addc_co_u32_e32 v15, vcc, 0, v15, vcc
	v_cmp_ge_i64_e32 vcc, v[14:15], v[12:13]
	s_or_b64 s[6:7], vcc, s[6:7]
	s_andn2_b64 exec, exec, s[6:7]
	s_cbranch_execz .LBB229_119
.LBB229_71:                             ; =>This Loop Header: Depth=1
                                        ;     Child Loop BB229_73 Depth 2
                                        ;     Child Loop BB229_85 Depth 2
                                        ;     Child Loop BB229_97 Depth 2
                                        ;     Child Loop BB229_109 Depth 2
	v_lshlrev_b64 v[0:1], 6, v[14:15]
	v_add_co_u32_e32 v6, vcc, s16, v0
	v_lshlrev_b64 v[4:5], 2, v[14:15]
	v_addc_co_u32_e32 v7, vcc, v30, v1, vcc
	global_load_dwordx4 v[34:37], v[6:7], off
	global_load_dwordx4 v[0:3], v[6:7], off offset:48
	v_or_b32_e32 v7, 0, v5
	v_or_b32_e32 v6, s1, v4
	v_lshlrev_b64 v[6:7], 4, v[6:7]
	v_add_co_u32_e32 v22, vcc, s16, v6
	v_addc_co_u32_e32 v23, vcc, v30, v7, vcc
	v_or_b32_e32 v6, s3, v4
	v_add_co_u32_e32 v4, vcc, s14, v4
	v_or_b32_e32 v7, 0, v5
	v_addc_co_u32_e32 v5, vcc, v31, v5, vcc
	global_load_dword v32, v[4:5], off
	v_lshlrev_b64 v[4:5], 4, v[6:7]
	v_add_co_u32_e32 v24, vcc, s16, v4
	v_addc_co_u32_e32 v25, vcc, v30, v5, vcc
	global_load_dwordx4 v[8:11], v[22:23], off
	global_load_dwordx4 v[4:7], v[24:25], off
	s_mov_b64 s[8:9], 0
	s_waitcnt vmcnt(4)
	v_mul_f64 v[22:23], v[36:37], -v[16:17]
	v_mul_f64 v[24:25], v[18:19], v[36:37]
	v_fmac_f64_e32 v[22:23], v[18:19], v[34:35]
	v_fmac_f64_e32 v[24:25], v[16:17], v[34:35]
	s_waitcnt vmcnt(2)
	v_subrev_u32_e32 v32, s31, v32
	v_lshl_add_u32 v33, v32, 3, v32
	v_and_b32_e32 v33, 31, v33
	v_mov_b32_e32 v34, v33
	s_branch .LBB229_73
.LBB229_72:                             ;   in Loop: Header=BB229_73 Depth=2
	s_or_b64 exec, exec, s[10:11]
	s_xor_b64 s[10:11], s[12:13], -1
	s_and_b64 s[10:11], exec, s[10:11]
	s_or_b64 s[8:9], s[10:11], s[8:9]
	s_andn2_b64 exec, exec, s[8:9]
	s_cbranch_execz .LBB229_83
.LBB229_73:                             ;   Parent Loop BB229_71 Depth=1
                                        ; =>  This Inner Loop Header: Depth=2
	v_lshl_add_u32 v35, v34, 2, v54
	ds_read_b32 v36, v35
                                        ; implicit-def: $sgpr12_sgpr13
	s_waitcnt lgkmcnt(0)
	v_cmp_ne_u32_e32 vcc, v36, v32
	s_and_saveexec_b64 s[10:11], vcc
	s_xor_b64 s[10:11], exec, s[10:11]
	s_cbranch_execz .LBB229_81
; %bb.74:                               ;   in Loop: Header=BB229_73 Depth=2
	v_cmp_ne_u32_e32 vcc, s2, v36
                                        ; implicit-def: $sgpr12_sgpr13
	s_and_saveexec_b64 s[20:21], vcc
	s_xor_b64 s[20:21], exec, s[20:21]
; %bb.75:                               ;   in Loop: Header=BB229_73 Depth=2
	v_add_u32_e32 v34, 1, v34
	v_and_b32_e32 v34, 31, v34
	s_mov_b64 s[12:13], -1
                                        ; implicit-def: $vgpr35
; %bb.76:                               ;   in Loop: Header=BB229_73 Depth=2
	s_andn2_saveexec_b64 s[20:21], s[20:21]
	s_cbranch_execz .LBB229_80
; %bb.77:                               ;   in Loop: Header=BB229_73 Depth=2
	v_mov_b32_e32 v36, s2
	ds_cmpst_rtn_b32 v35, v35, v36, v32
	s_mov_b64 s[22:23], -1
	s_waitcnt lgkmcnt(0)
	v_cmp_eq_u32_e32 vcc, s2, v35
	s_and_saveexec_b64 s[24:25], vcc
	s_cbranch_execz .LBB229_79
; %bb.78:                               ;   in Loop: Header=BB229_73 Depth=2
	v_lshl_add_u32 v35, v34, 6, v57
	ds_add_f64 v35, v[22:23]
	ds_add_f64 v35, v[24:25] offset:8
	s_xor_b64 s[22:23], exec, -1
.LBB229_79:                             ;   in Loop: Header=BB229_73 Depth=2
	s_or_b64 exec, exec, s[24:25]
	s_andn2_b64 s[12:13], s[12:13], exec
	s_and_b64 s[22:23], s[22:23], exec
	s_or_b64 s[12:13], s[12:13], s[22:23]
.LBB229_80:                             ;   in Loop: Header=BB229_73 Depth=2
	s_or_b64 exec, exec, s[20:21]
	s_and_b64 s[12:13], s[12:13], exec
.LBB229_81:                             ;   in Loop: Header=BB229_73 Depth=2
	s_andn2_saveexec_b64 s[10:11], s[10:11]
	s_cbranch_execz .LBB229_72
; %bb.82:                               ;   in Loop: Header=BB229_73 Depth=2
	v_lshl_add_u32 v35, v34, 6, v57
	ds_add_f64 v35, v[22:23]
	ds_add_f64 v35, v[24:25] offset:8
	s_andn2_b64 s[12:13], s[12:13], exec
	s_branch .LBB229_72
.LBB229_83:                             ;   in Loop: Header=BB229_71 Depth=1
	s_or_b64 exec, exec, s[8:9]
	s_waitcnt vmcnt(1)
	v_mul_f64 v[22:23], v[10:11], -v[16:17]
	v_mul_f64 v[10:11], v[18:19], v[10:11]
	v_fmac_f64_e32 v[22:23], v[18:19], v[8:9]
	v_fmac_f64_e32 v[10:11], v[16:17], v[8:9]
	s_mov_b64 s[8:9], 0
	v_mov_b32_e32 v8, v33
	s_branch .LBB229_85
.LBB229_84:                             ;   in Loop: Header=BB229_85 Depth=2
	s_or_b64 exec, exec, s[10:11]
	s_xor_b64 s[10:11], s[12:13], -1
	s_and_b64 s[10:11], exec, s[10:11]
	s_or_b64 s[8:9], s[10:11], s[8:9]
	s_andn2_b64 exec, exec, s[8:9]
	s_cbranch_execz .LBB229_95
.LBB229_85:                             ;   Parent Loop BB229_71 Depth=1
                                        ; =>  This Inner Loop Header: Depth=2
	v_lshl_add_u32 v9, v8, 2, v54
	ds_read_b32 v24, v9
                                        ; implicit-def: $sgpr12_sgpr13
	s_waitcnt lgkmcnt(0)
	v_cmp_ne_u32_e32 vcc, v24, v32
	s_and_saveexec_b64 s[10:11], vcc
	s_xor_b64 s[10:11], exec, s[10:11]
	s_cbranch_execz .LBB229_93
; %bb.86:                               ;   in Loop: Header=BB229_85 Depth=2
	v_cmp_ne_u32_e32 vcc, s2, v24
                                        ; implicit-def: $sgpr12_sgpr13
	s_and_saveexec_b64 s[20:21], vcc
	s_xor_b64 s[20:21], exec, s[20:21]
; %bb.87:                               ;   in Loop: Header=BB229_85 Depth=2
	v_add_u32_e32 v8, 1, v8
	v_and_b32_e32 v8, 31, v8
	s_mov_b64 s[12:13], -1
                                        ; implicit-def: $vgpr9
; %bb.88:                               ;   in Loop: Header=BB229_85 Depth=2
	s_andn2_saveexec_b64 s[20:21], s[20:21]
	s_cbranch_execz .LBB229_92
; %bb.89:                               ;   in Loop: Header=BB229_85 Depth=2
	v_mov_b32_e32 v24, s2
	ds_cmpst_rtn_b32 v9, v9, v24, v32
	s_mov_b64 s[22:23], -1
	s_waitcnt lgkmcnt(0)
	v_cmp_eq_u32_e32 vcc, s2, v9
	s_and_saveexec_b64 s[24:25], vcc
	s_cbranch_execz .LBB229_91
; %bb.90:                               ;   in Loop: Header=BB229_85 Depth=2
	v_lshl_add_u32 v9, v8, 6, v27
	ds_add_f64 v9, v[22:23]
	ds_add_f64 v9, v[10:11] offset:8
	s_xor_b64 s[22:23], exec, -1
.LBB229_91:                             ;   in Loop: Header=BB229_85 Depth=2
	s_or_b64 exec, exec, s[24:25]
	s_andn2_b64 s[12:13], s[12:13], exec
	s_and_b64 s[22:23], s[22:23], exec
	s_or_b64 s[12:13], s[12:13], s[22:23]
.LBB229_92:                             ;   in Loop: Header=BB229_85 Depth=2
	s_or_b64 exec, exec, s[20:21]
	s_and_b64 s[12:13], s[12:13], exec
.LBB229_93:                             ;   in Loop: Header=BB229_85 Depth=2
	s_andn2_saveexec_b64 s[10:11], s[10:11]
	s_cbranch_execz .LBB229_84
; %bb.94:                               ;   in Loop: Header=BB229_85 Depth=2
	v_lshl_add_u32 v9, v8, 6, v27
	ds_add_f64 v9, v[22:23]
	ds_add_f64 v9, v[10:11] offset:8
	s_andn2_b64 s[12:13], s[12:13], exec
	s_branch .LBB229_84
.LBB229_95:                             ;   in Loop: Header=BB229_71 Depth=1
	s_or_b64 exec, exec, s[8:9]
	s_waitcnt vmcnt(0)
	v_mul_f64 v[8:9], v[6:7], -v[16:17]
	v_mul_f64 v[6:7], v[18:19], v[6:7]
	v_fmac_f64_e32 v[8:9], v[18:19], v[4:5]
	v_fmac_f64_e32 v[6:7], v[16:17], v[4:5]
	s_mov_b64 s[8:9], 0
	v_mov_b32_e32 v4, v33
	s_branch .LBB229_97
.LBB229_96:                             ;   in Loop: Header=BB229_97 Depth=2
	s_or_b64 exec, exec, s[10:11]
	s_xor_b64 s[10:11], s[12:13], -1
	s_and_b64 s[10:11], exec, s[10:11]
	s_or_b64 s[8:9], s[10:11], s[8:9]
	s_andn2_b64 exec, exec, s[8:9]
	s_cbranch_execz .LBB229_107
.LBB229_97:                             ;   Parent Loop BB229_71 Depth=1
                                        ; =>  This Inner Loop Header: Depth=2
	v_lshl_add_u32 v5, v4, 2, v54
	ds_read_b32 v10, v5
                                        ; implicit-def: $sgpr12_sgpr13
	s_waitcnt lgkmcnt(0)
	v_cmp_ne_u32_e32 vcc, v10, v32
	s_and_saveexec_b64 s[10:11], vcc
	s_xor_b64 s[10:11], exec, s[10:11]
	s_cbranch_execz .LBB229_105
; %bb.98:                               ;   in Loop: Header=BB229_97 Depth=2
	v_cmp_ne_u32_e32 vcc, s2, v10
                                        ; implicit-def: $sgpr12_sgpr13
	s_and_saveexec_b64 s[20:21], vcc
	s_xor_b64 s[20:21], exec, s[20:21]
; %bb.99:                               ;   in Loop: Header=BB229_97 Depth=2
	v_add_u32_e32 v4, 1, v4
	v_and_b32_e32 v4, 31, v4
	s_mov_b64 s[12:13], -1
                                        ; implicit-def: $vgpr5
; %bb.100:                              ;   in Loop: Header=BB229_97 Depth=2
	s_andn2_saveexec_b64 s[20:21], s[20:21]
	s_cbranch_execz .LBB229_104
; %bb.101:                              ;   in Loop: Header=BB229_97 Depth=2
	v_mov_b32_e32 v10, s2
	ds_cmpst_rtn_b32 v5, v5, v10, v32
	s_mov_b64 s[22:23], -1
	s_waitcnt lgkmcnt(0)
	v_cmp_eq_u32_e32 vcc, s2, v5
	s_and_saveexec_b64 s[24:25], vcc
	s_cbranch_execz .LBB229_103
; %bb.102:                              ;   in Loop: Header=BB229_97 Depth=2
	v_lshl_add_u32 v5, v4, 6, v28
	ds_add_f64 v5, v[8:9]
	ds_add_f64 v5, v[6:7] offset:8
	s_xor_b64 s[22:23], exec, -1
.LBB229_103:                            ;   in Loop: Header=BB229_97 Depth=2
	s_or_b64 exec, exec, s[24:25]
	s_andn2_b64 s[12:13], s[12:13], exec
	s_and_b64 s[22:23], s[22:23], exec
	s_or_b64 s[12:13], s[12:13], s[22:23]
.LBB229_104:                            ;   in Loop: Header=BB229_97 Depth=2
	s_or_b64 exec, exec, s[20:21]
	s_and_b64 s[12:13], s[12:13], exec
.LBB229_105:                            ;   in Loop: Header=BB229_97 Depth=2
	s_andn2_saveexec_b64 s[10:11], s[10:11]
	s_cbranch_execz .LBB229_96
; %bb.106:                              ;   in Loop: Header=BB229_97 Depth=2
	v_lshl_add_u32 v5, v4, 6, v28
	ds_add_f64 v5, v[8:9]
	ds_add_f64 v5, v[6:7] offset:8
	s_andn2_b64 s[12:13], s[12:13], exec
	s_branch .LBB229_96
.LBB229_107:                            ;   in Loop: Header=BB229_71 Depth=1
	s_or_b64 exec, exec, s[8:9]
	v_mul_f64 v[4:5], v[2:3], -v[16:17]
	v_mul_f64 v[2:3], v[18:19], v[2:3]
	v_fmac_f64_e32 v[4:5], v[18:19], v[0:1]
	v_fmac_f64_e32 v[2:3], v[16:17], v[0:1]
	s_mov_b64 s[8:9], 0
	s_branch .LBB229_109
.LBB229_108:                            ;   in Loop: Header=BB229_109 Depth=2
	s_or_b64 exec, exec, s[10:11]
	s_xor_b64 s[10:11], s[12:13], -1
	s_and_b64 s[10:11], exec, s[10:11]
	s_or_b64 s[8:9], s[10:11], s[8:9]
	s_andn2_b64 exec, exec, s[8:9]
	s_cbranch_execz .LBB229_70
.LBB229_109:                            ;   Parent Loop BB229_71 Depth=1
                                        ; =>  This Inner Loop Header: Depth=2
	v_lshl_add_u32 v0, v33, 2, v54
	ds_read_b32 v1, v0
                                        ; implicit-def: $sgpr12_sgpr13
	s_waitcnt lgkmcnt(0)
	v_cmp_ne_u32_e32 vcc, v1, v32
	s_and_saveexec_b64 s[10:11], vcc
	s_xor_b64 s[10:11], exec, s[10:11]
	s_cbranch_execz .LBB229_117
; %bb.110:                              ;   in Loop: Header=BB229_109 Depth=2
	v_cmp_ne_u32_e32 vcc, s2, v1
                                        ; implicit-def: $sgpr12_sgpr13
	s_and_saveexec_b64 s[20:21], vcc
	s_xor_b64 s[20:21], exec, s[20:21]
; %bb.111:                              ;   in Loop: Header=BB229_109 Depth=2
	v_add_u32_e32 v0, 1, v33
	v_and_b32_e32 v33, 31, v0
	s_mov_b64 s[12:13], -1
                                        ; implicit-def: $vgpr0
; %bb.112:                              ;   in Loop: Header=BB229_109 Depth=2
	s_andn2_saveexec_b64 s[20:21], s[20:21]
	s_cbranch_execz .LBB229_116
; %bb.113:                              ;   in Loop: Header=BB229_109 Depth=2
	v_mov_b32_e32 v1, s2
	ds_cmpst_rtn_b32 v0, v0, v1, v32
	s_mov_b64 s[22:23], -1
	s_waitcnt lgkmcnt(0)
	v_cmp_eq_u32_e32 vcc, s2, v0
	s_and_saveexec_b64 s[24:25], vcc
	s_cbranch_execz .LBB229_115
; %bb.114:                              ;   in Loop: Header=BB229_109 Depth=2
	v_lshl_add_u32 v0, v33, 6, v29
	ds_add_f64 v0, v[4:5]
	ds_add_f64 v0, v[2:3] offset:8
	s_xor_b64 s[22:23], exec, -1
.LBB229_115:                            ;   in Loop: Header=BB229_109 Depth=2
	s_or_b64 exec, exec, s[24:25]
	s_andn2_b64 s[12:13], s[12:13], exec
	s_and_b64 s[22:23], s[22:23], exec
	s_or_b64 s[12:13], s[12:13], s[22:23]
.LBB229_116:                            ;   in Loop: Header=BB229_109 Depth=2
	s_or_b64 exec, exec, s[20:21]
	s_and_b64 s[12:13], s[12:13], exec
.LBB229_117:                            ;   in Loop: Header=BB229_109 Depth=2
	s_andn2_saveexec_b64 s[10:11], s[10:11]
	s_cbranch_execz .LBB229_108
; %bb.118:                              ;   in Loop: Header=BB229_109 Depth=2
	v_lshl_add_u32 v0, v33, 6, v29
	ds_add_f64 v0, v[4:5]
	ds_add_f64 v0, v[2:3] offset:8
	s_andn2_b64 s[12:13], s[12:13], exec
	s_branch .LBB229_108
.LBB229_119:
	s_or_b64 exec, exec, s[4:5]
.LBB229_120:
	v_mov_b32_e32 v1, s19
	v_add_co_u32_e32 v0, vcc, s18, v20
	v_addc_co_u32_e32 v1, vcc, v1, v21, vcc
	s_waitcnt lgkmcnt(0)
	global_load_dwordx2 v[2:3], v[0:1], off
	s_cmp_eq_u32 s0, 0
	v_lshl_add_u32 v1, v56, 2, v26
	v_lshl_add_u32 v0, v56, 6, v57
	s_cselect_b32 s3, 16, 32
	s_cselect_b32 s6, 32, 16
	v_or_b32_e32 v1, 0x8000, v1
	s_mov_b64 s[0:1], 0
	s_waitcnt vmcnt(0)
	v_subrev_co_u32_e32 v2, vcc, s30, v2
	v_subbrev_co_u32_e32 v3, vcc, 0, v3, vcc
	s_branch .LBB229_122
.LBB229_121:                            ;   in Loop: Header=BB229_122 Depth=1
	s_or_b64 exec, exec, s[4:5]
	v_add_co_u32_e32 v55, vcc, 16, v55
	s_xor_b64 s[4:5], vcc, -1
	s_and_b64 s[4:5], exec, s[4:5]
	v_add_u32_e32 v0, 0x400, v0
	s_or_b64 s[0:1], s[4:5], s[0:1]
	v_add_u32_e32 v1, 64, v1
	s_andn2_b64 exec, exec, s[0:1]
	s_cbranch_execz .LBB229_124
.LBB229_122:                            ; =>This Inner Loop Header: Depth=1
	ds_read_b32 v4, v1
	s_waitcnt lgkmcnt(0)
	v_cmp_gt_i32_e32 vcc, s2, v4
	s_and_saveexec_b64 s[4:5], vcc
	s_cbranch_execz .LBB229_121
; %bb.123:                              ;   in Loop: Header=BB229_122 Depth=1
	ds_read_b128 v[6:9], v54
	ds_read_b128 v[10:13], v54 offset:16
	ds_read_b128 v[14:17], v54 offset:32
	;; [unrolled: 1-line block ×3, first 2 shown]
	v_mov_b32_e32 v22, s39
	s_waitcnt lgkmcnt(3)
	v_cmp_gt_i32_e32 vcc, v4, v6
	v_cndmask_b32_e64 v5, 0, 1, vcc
	v_add_co_u32_e32 v5, vcc, v2, v5
	v_addc_co_u32_e32 v6, vcc, 0, v3, vcc
	v_cmp_gt_i32_e32 vcc, v4, v7
	v_cndmask_b32_e64 v7, 0, 1, vcc
	v_add_co_u32_e32 v5, vcc, v5, v7
	v_addc_co_u32_e32 v6, vcc, 0, v6, vcc
	v_cmp_gt_i32_e32 vcc, v4, v8
	v_cndmask_b32_e64 v7, 0, 1, vcc
	v_add_co_u32_e32 v5, vcc, v5, v7
	v_addc_co_u32_e32 v6, vcc, 0, v6, vcc
	v_cmp_gt_i32_e32 vcc, v4, v9
	v_cndmask_b32_e64 v7, 0, 1, vcc
	v_add_co_u32_e32 v5, vcc, v5, v7
	v_addc_co_u32_e32 v6, vcc, 0, v6, vcc
	s_waitcnt lgkmcnt(2)
	v_cmp_gt_i32_e32 vcc, v4, v10
	v_cndmask_b32_e64 v7, 0, 1, vcc
	v_add_co_u32_e32 v5, vcc, v5, v7
	v_addc_co_u32_e32 v6, vcc, 0, v6, vcc
	v_cmp_gt_i32_e32 vcc, v4, v11
	v_cndmask_b32_e64 v7, 0, 1, vcc
	v_add_co_u32_e32 v5, vcc, v5, v7
	v_addc_co_u32_e32 v6, vcc, 0, v6, vcc
	v_cmp_gt_i32_e32 vcc, v4, v12
	v_cndmask_b32_e64 v7, 0, 1, vcc
	v_add_co_u32_e32 v5, vcc, v5, v7
	v_addc_co_u32_e32 v6, vcc, 0, v6, vcc
	v_cmp_gt_i32_e32 vcc, v4, v13
	v_cndmask_b32_e64 v7, 0, 1, vcc
	v_add_co_u32_e32 v5, vcc, v5, v7
	v_addc_co_u32_e32 v6, vcc, 0, v6, vcc
	;; [unrolled: 17-line block ×3, first 2 shown]
	s_waitcnt lgkmcnt(0)
	v_cmp_gt_i32_e32 vcc, v4, v18
	v_cndmask_b32_e64 v7, 0, 1, vcc
	v_add_co_u32_e32 v5, vcc, v5, v7
	v_addc_co_u32_e32 v6, vcc, 0, v6, vcc
	v_cmp_gt_i32_e32 vcc, v4, v19
	v_cndmask_b32_e64 v7, 0, 1, vcc
	v_add_co_u32_e32 v5, vcc, v5, v7
	v_addc_co_u32_e32 v6, vcc, 0, v6, vcc
	v_cmp_gt_i32_e32 vcc, v4, v20
	v_cndmask_b32_e64 v7, 0, 1, vcc
	v_add_co_u32_e32 v5, vcc, v5, v7
	v_addc_co_u32_e32 v10, vcc, 0, v6, vcc
	ds_read_b128 v[6:9], v54 offset:64
	v_cmp_gt_i32_e32 vcc, v4, v21
	v_cndmask_b32_e64 v11, 0, 1, vcc
	v_add_co_u32_e32 v5, vcc, v5, v11
	v_addc_co_u32_e32 v14, vcc, 0, v10, vcc
	ds_read_b128 v[10:13], v54 offset:80
	s_waitcnt lgkmcnt(1)
	v_cmp_gt_i32_e32 vcc, v4, v6
	v_cndmask_b32_e64 v6, 0, 1, vcc
	v_add_co_u32_e32 v5, vcc, v5, v6
	v_addc_co_u32_e32 v6, vcc, 0, v14, vcc
	v_cmp_gt_i32_e32 vcc, v4, v7
	v_cndmask_b32_e64 v7, 0, 1, vcc
	v_add_co_u32_e32 v5, vcc, v5, v7
	v_addc_co_u32_e32 v6, vcc, 0, v6, vcc
	;; [unrolled: 4-line block ×4, first 2 shown]
	s_waitcnt lgkmcnt(0)
	v_cmp_gt_i32_e32 vcc, v4, v10
	v_cndmask_b32_e64 v7, 0, 1, vcc
	v_add_co_u32_e32 v5, vcc, v5, v7
	v_addc_co_u32_e32 v6, vcc, 0, v6, vcc
	v_cmp_gt_i32_e32 vcc, v4, v11
	v_cndmask_b32_e64 v7, 0, 1, vcc
	v_add_co_u32_e32 v5, vcc, v5, v7
	v_addc_co_u32_e32 v6, vcc, 0, v6, vcc
	v_cmp_gt_i32_e32 vcc, v4, v12
	v_cndmask_b32_e64 v7, 0, 1, vcc
	v_add_co_u32_e32 v5, vcc, v5, v7
	v_addc_co_u32_e32 v10, vcc, 0, v6, vcc
	ds_read_b128 v[6:9], v54 offset:96
	v_cmp_gt_i32_e32 vcc, v4, v13
	v_cndmask_b32_e64 v11, 0, 1, vcc
	v_add_co_u32_e32 v5, vcc, v5, v11
	v_addc_co_u32_e32 v14, vcc, 0, v10, vcc
	ds_read_b128 v[10:13], v54 offset:112
	s_waitcnt lgkmcnt(1)
	v_cmp_gt_i32_e32 vcc, v4, v6
	v_cndmask_b32_e64 v6, 0, 1, vcc
	v_add_co_u32_e32 v5, vcc, v5, v6
	v_addc_co_u32_e32 v6, vcc, 0, v14, vcc
	v_cmp_gt_i32_e32 vcc, v4, v7
	v_cndmask_b32_e64 v7, 0, 1, vcc
	v_add_co_u32_e32 v5, vcc, v5, v7
	v_addc_co_u32_e32 v6, vcc, 0, v6, vcc
	;; [unrolled: 4-line block ×4, first 2 shown]
	s_waitcnt lgkmcnt(0)
	v_cmp_gt_i32_e32 vcc, v4, v10
	v_cndmask_b32_e64 v7, 0, 1, vcc
	v_add_co_u32_e32 v5, vcc, v5, v7
	v_addc_co_u32_e32 v6, vcc, 0, v6, vcc
	v_cmp_gt_i32_e32 vcc, v4, v11
	v_cndmask_b32_e64 v7, 0, 1, vcc
	v_add_co_u32_e32 v5, vcc, v5, v7
	v_addc_co_u32_e32 v6, vcc, 0, v6, vcc
	;; [unrolled: 4-line block ×4, first 2 shown]
	v_add_u32_e32 v8, s30, v4
	v_lshlrev_b64 v[4:5], 2, v[6:7]
	v_mov_b32_e32 v9, s37
	v_add_co_u32_e32 v4, vcc, s36, v4
	v_addc_co_u32_e32 v5, vcc, v9, v5, vcc
	global_store_dword v[4:5], v8, off
	v_add_u32_e32 v4, s3, v0
	v_add_u32_e32 v8, s6, v0
	v_lshlrev_b64 v[20:21], 6, v[6:7]
	ds_read2_b64 v[4:7], v4 offset1:1
	ds_read2_b64 v[8:11], v8 offset1:1
	;; [unrolled: 1-line block ×3, first 2 shown]
	ds_read2_b64 v[16:19], v0 offset0:6 offset1:7
	v_add_co_u32_e32 v20, vcc, s38, v20
	v_addc_co_u32_e32 v21, vcc, v22, v21, vcc
	s_waitcnt lgkmcnt(1)
	global_store_dwordx4 v[20:21], v[12:15], off
	global_store_dwordx4 v[20:21], v[4:7], off offset:16
	global_store_dwordx4 v[20:21], v[8:11], off offset:32
	s_waitcnt lgkmcnt(0)
	global_store_dwordx4 v[20:21], v[16:19], off offset:48
	s_branch .LBB229_121
.LBB229_124:
	s_endpgm
	.section	.rodata,"a",@progbits
	.p2align	6, 0x0
	.amdhsa_kernel _ZN9rocsparseL27bsrgemm_fill_wf_per_row_2x2ILj256ELj16ELj32ELj137Eli21rocsparse_complex_numIdEEEv20rocsparse_direction_T4_S4_PKS4_S6_NS_24const_host_device_scalarIT5_EEPKT3_S6_PKS8_SC_S6_SE_S9_SC_S6_SE_SC_PS4_PS8_21rocsparse_index_base_SH_SH_SH_bbb
		.amdhsa_group_segment_fixed_size 38912
		.amdhsa_private_segment_fixed_size 0
		.amdhsa_kernarg_size 180
		.amdhsa_user_sgpr_count 8
		.amdhsa_user_sgpr_private_segment_buffer 1
		.amdhsa_user_sgpr_dispatch_ptr 1
		.amdhsa_user_sgpr_queue_ptr 0
		.amdhsa_user_sgpr_kernarg_segment_ptr 1
		.amdhsa_user_sgpr_dispatch_id 0
		.amdhsa_user_sgpr_flat_scratch_init 0
		.amdhsa_user_sgpr_kernarg_preload_length 0
		.amdhsa_user_sgpr_kernarg_preload_offset 0
		.amdhsa_user_sgpr_private_segment_size 0
		.amdhsa_uses_dynamic_stack 0
		.amdhsa_system_sgpr_private_segment_wavefront_offset 0
		.amdhsa_system_sgpr_workgroup_id_x 1
		.amdhsa_system_sgpr_workgroup_id_y 0
		.amdhsa_system_sgpr_workgroup_id_z 0
		.amdhsa_system_sgpr_workgroup_info 0
		.amdhsa_system_vgpr_workitem_id 2
		.amdhsa_next_free_vgpr 69
		.amdhsa_next_free_sgpr 56
		.amdhsa_accum_offset 72
		.amdhsa_reserve_vcc 1
		.amdhsa_reserve_flat_scratch 0
		.amdhsa_float_round_mode_32 0
		.amdhsa_float_round_mode_16_64 0
		.amdhsa_float_denorm_mode_32 3
		.amdhsa_float_denorm_mode_16_64 3
		.amdhsa_dx10_clamp 1
		.amdhsa_ieee_mode 1
		.amdhsa_fp16_overflow 0
		.amdhsa_tg_split 0
		.amdhsa_exception_fp_ieee_invalid_op 0
		.amdhsa_exception_fp_denorm_src 0
		.amdhsa_exception_fp_ieee_div_zero 0
		.amdhsa_exception_fp_ieee_overflow 0
		.amdhsa_exception_fp_ieee_underflow 0
		.amdhsa_exception_fp_ieee_inexact 0
		.amdhsa_exception_int_div_zero 0
	.end_amdhsa_kernel
	.section	.text._ZN9rocsparseL27bsrgemm_fill_wf_per_row_2x2ILj256ELj16ELj32ELj137Eli21rocsparse_complex_numIdEEEv20rocsparse_direction_T4_S4_PKS4_S6_NS_24const_host_device_scalarIT5_EEPKT3_S6_PKS8_SC_S6_SE_S9_SC_S6_SE_SC_PS4_PS8_21rocsparse_index_base_SH_SH_SH_bbb,"axG",@progbits,_ZN9rocsparseL27bsrgemm_fill_wf_per_row_2x2ILj256ELj16ELj32ELj137Eli21rocsparse_complex_numIdEEEv20rocsparse_direction_T4_S4_PKS4_S6_NS_24const_host_device_scalarIT5_EEPKT3_S6_PKS8_SC_S6_SE_S9_SC_S6_SE_SC_PS4_PS8_21rocsparse_index_base_SH_SH_SH_bbb,comdat
.Lfunc_end229:
	.size	_ZN9rocsparseL27bsrgemm_fill_wf_per_row_2x2ILj256ELj16ELj32ELj137Eli21rocsparse_complex_numIdEEEv20rocsparse_direction_T4_S4_PKS4_S6_NS_24const_host_device_scalarIT5_EEPKT3_S6_PKS8_SC_S6_SE_S9_SC_S6_SE_SC_PS4_PS8_21rocsparse_index_base_SH_SH_SH_bbb, .Lfunc_end229-_ZN9rocsparseL27bsrgemm_fill_wf_per_row_2x2ILj256ELj16ELj32ELj137Eli21rocsparse_complex_numIdEEEv20rocsparse_direction_T4_S4_PKS4_S6_NS_24const_host_device_scalarIT5_EEPKT3_S6_PKS8_SC_S6_SE_S9_SC_S6_SE_SC_PS4_PS8_21rocsparse_index_base_SH_SH_SH_bbb
                                        ; -- End function
	.section	.AMDGPU.csdata,"",@progbits
; Kernel info:
; codeLenInByte = 4748
; NumSgprs: 60
; NumVgprs: 69
; NumAgprs: 0
; TotalNumVgprs: 69
; ScratchSize: 0
; MemoryBound: 0
; FloatMode: 240
; IeeeMode: 1
; LDSByteSize: 38912 bytes/workgroup (compile time only)
; SGPRBlocks: 7
; VGPRBlocks: 8
; NumSGPRsForWavesPerEU: 60
; NumVGPRsForWavesPerEU: 69
; AccumOffset: 72
; Occupancy: 1
; WaveLimiterHint : 1
; COMPUTE_PGM_RSRC2:SCRATCH_EN: 0
; COMPUTE_PGM_RSRC2:USER_SGPR: 8
; COMPUTE_PGM_RSRC2:TRAP_HANDLER: 0
; COMPUTE_PGM_RSRC2:TGID_X_EN: 1
; COMPUTE_PGM_RSRC2:TGID_Y_EN: 0
; COMPUTE_PGM_RSRC2:TGID_Z_EN: 0
; COMPUTE_PGM_RSRC2:TIDIG_COMP_CNT: 2
; COMPUTE_PGM_RSRC3_GFX90A:ACCUM_OFFSET: 17
; COMPUTE_PGM_RSRC3_GFX90A:TG_SPLIT: 0
	.section	.text._ZN9rocsparseL30bsrgemm_fill_block_per_row_2x2ILj256ELj16ELj64ELj137Eli21rocsparse_complex_numIdEEEv20rocsparse_direction_T4_S4_PKS4_S6_NS_24const_host_device_scalarIT5_EEPKT3_S6_PKS8_SC_S6_SE_S9_SC_S6_SE_SC_PS4_PS8_21rocsparse_index_base_SH_SH_SH_bbb,"axG",@progbits,_ZN9rocsparseL30bsrgemm_fill_block_per_row_2x2ILj256ELj16ELj64ELj137Eli21rocsparse_complex_numIdEEEv20rocsparse_direction_T4_S4_PKS4_S6_NS_24const_host_device_scalarIT5_EEPKT3_S6_PKS8_SC_S6_SE_S9_SC_S6_SE_SC_PS4_PS8_21rocsparse_index_base_SH_SH_SH_bbb,comdat
	.globl	_ZN9rocsparseL30bsrgemm_fill_block_per_row_2x2ILj256ELj16ELj64ELj137Eli21rocsparse_complex_numIdEEEv20rocsparse_direction_T4_S4_PKS4_S6_NS_24const_host_device_scalarIT5_EEPKT3_S6_PKS8_SC_S6_SE_S9_SC_S6_SE_SC_PS4_PS8_21rocsparse_index_base_SH_SH_SH_bbb ; -- Begin function _ZN9rocsparseL30bsrgemm_fill_block_per_row_2x2ILj256ELj16ELj64ELj137Eli21rocsparse_complex_numIdEEEv20rocsparse_direction_T4_S4_PKS4_S6_NS_24const_host_device_scalarIT5_EEPKT3_S6_PKS8_SC_S6_SE_S9_SC_S6_SE_SC_PS4_PS8_21rocsparse_index_base_SH_SH_SH_bbb
	.p2align	8
	.type	_ZN9rocsparseL30bsrgemm_fill_block_per_row_2x2ILj256ELj16ELj64ELj137Eli21rocsparse_complex_numIdEEEv20rocsparse_direction_T4_S4_PKS4_S6_NS_24const_host_device_scalarIT5_EEPKT3_S6_PKS8_SC_S6_SE_S9_SC_S6_SE_SC_PS4_PS8_21rocsparse_index_base_SH_SH_SH_bbb,@function
_ZN9rocsparseL30bsrgemm_fill_block_per_row_2x2ILj256ELj16ELj64ELj137Eli21rocsparse_complex_numIdEEEv20rocsparse_direction_T4_S4_PKS4_S6_NS_24const_host_device_scalarIT5_EEPKT3_S6_PKS8_SC_S6_SE_S9_SC_S6_SE_SC_PS4_PS8_21rocsparse_index_base_SH_SH_SH_bbb: ; @_ZN9rocsparseL30bsrgemm_fill_block_per_row_2x2ILj256ELj16ELj64ELj137Eli21rocsparse_complex_numIdEEEv20rocsparse_direction_T4_S4_PKS4_S6_NS_24const_host_device_scalarIT5_EEPKT3_S6_PKS8_SC_S6_SE_S9_SC_S6_SE_SC_PS4_PS8_21rocsparse_index_base_SH_SH_SH_bbb
; %bb.0:
	s_add_u32 flat_scratch_lo, s6, s9
	s_addc_u32 flat_scratch_hi, s7, 0
	s_add_u32 s0, s0, s9
	s_load_dword s9, s[4:5], 0xb0
	s_load_dwordx4 s[16:19], s[4:5], 0x20
	s_load_dwordx4 s[12:15], s[4:5], 0x60
	s_addc_u32 s1, s1, 0
	v_pk_mov_b32 v[18:19], 0, 0
	s_waitcnt lgkmcnt(0)
	s_bitcmp1_b32 s9, 0
	v_mov_b32_e32 v1, s17
	s_cselect_b64 s[26:27], -1, 0
	s_bitcmp1_b32 s9, 16
	buffer_store_dword v1, off, s[0:3], 0 offset:4
	v_mov_b32_e32 v1, s16
	s_cselect_b64 s[6:7], -1, 0
	buffer_store_dword v1, off, s[0:3], 0
	v_mov_b32_e32 v1, s13
	buffer_store_dword v1, off, s[0:3], 0 offset:12
	v_mov_b32_e32 v1, s12
	s_xor_b64 s[10:11], s[6:7], -1
	buffer_store_dword v1, off, s[0:3], 0 offset:8
	v_cndmask_b32_e64 v1, 0, 1, s[10:11]
	s_bitcmp0_b32 s9, 0
	v_cmp_ne_u32_e64 s[10:11], 1, v1
	v_pk_mov_b32 v[22:23], v[18:19], v[18:19] op_sel:[0,1]
	v_pk_mov_b32 v[24:25], v[18:19], v[18:19] op_sel:[0,1]
	s_cbranch_scc1 .LBB230_3
; %bb.1:
	s_mov_b64 s[20:21], src_private_base
	s_and_b64 s[22:23], s[6:7], exec
	s_cselect_b32 s20, s21, s17
	v_mov_b32_e32 v1, 0
	v_mov_b32_e32 v2, s16
	v_cndmask_b32_e64 v2, v2, v1, s[6:7]
	v_mov_b32_e32 v3, s20
	flat_load_dwordx2 v[22:23], v[2:3]
	s_and_b64 vcc, exec, s[10:11]
	v_pk_mov_b32 v[24:25], s[18:19], s[18:19] op_sel:[0,1]
	s_cbranch_vccnz .LBB230_3
; %bb.2:
	v_pk_mov_b32 v[2:3], s[16:17], s[16:17] op_sel:[0,1]
	flat_load_dwordx2 v[24:25], v[2:3] offset:8
.LBB230_3:
	s_bitcmp1_b32 s9, 8
	s_cselect_b64 s[24:25], -1, 0
	s_bfe_u32 s9, s9, 0x10008
	s_cmp_eq_u32 s9, 0
	v_pk_mov_b32 v[20:21], v[18:19], v[18:19] op_sel:[0,1]
	s_cbranch_scc1 .LBB230_6
; %bb.4:
	s_mov_b64 s[16:17], src_private_base
	s_and_b64 s[18:19], s[6:7], exec
	s_cselect_b32 s9, s17, s13
	v_mov_b32_e32 v1, 8
	v_mov_b32_e32 v2, s12
	v_cndmask_b32_e64 v2, v2, v1, s[6:7]
	v_mov_b32_e32 v3, s9
	flat_load_dwordx2 v[20:21], v[2:3]
	s_and_b64 vcc, exec, s[10:11]
	v_pk_mov_b32 v[18:19], s[14:15], s[14:15] op_sel:[0,1]
	s_cbranch_vccnz .LBB230_6
; %bb.5:
	v_pk_mov_b32 v[2:3], s[12:13], s[12:13] op_sel:[0,1]
	flat_load_dwordx2 v[18:19], v[2:3] offset:8
.LBB230_6:
	s_load_dword s50, s[4:5], 0x8
	v_cmp_gt_u32_e64 s[6:7], 64, v0
	v_lshl_add_u32 v1, v0, 2, 0
	s_and_saveexec_b64 s[10:11], s[6:7]
	s_cbranch_execz .LBB230_8
; %bb.7:
	s_waitcnt lgkmcnt(0)
	v_mov_b32_e32 v2, s50
	ds_write_b32 v1, v2
.LBB230_8:
	s_or_b64 exec, exec, s[10:11]
	s_load_dwordx4 s[20:23], s[4:5], 0xa0
	s_load_dwordx2 s[10:11], s[4:5], 0x18
	s_movk_i32 s9, 0x100
	v_cmp_gt_u32_e32 vcc, s9, v0
	s_and_saveexec_b64 s[12:13], vcc
	s_cbranch_execz .LBB230_10
; %bb.9:
	s_mov_b32 s14, 0
	s_mov_b32 s15, s14
	;; [unrolled: 1-line block ×4, first 2 shown]
	v_lshl_add_u32 v6, v0, 4, 0
	v_pk_mov_b32 v[2:3], s[14:15], s[14:15] op_sel:[0,1]
	v_pk_mov_b32 v[4:5], s[16:17], s[16:17] op_sel:[0,1]
	ds_write2_b64 v6, v[2:3], v[4:5] offset0:32 offset1:33
.LBB230_10:
	s_or_b64 exec, exec, s[12:13]
	s_waitcnt lgkmcnt(0)
	s_cmp_eq_u64 s[10:11], 0
	s_barrier
	s_cbranch_scc1 .LBB230_12
; %bb.11:
	s_load_dwordx2 s[12:13], s[4:5], 0x10
	s_waitcnt lgkmcnt(0)
	s_load_dword s9, s[12:13], 0x0
	s_waitcnt lgkmcnt(0)
	s_add_i32 s8, s9, s8
	s_mov_b32 s9, 0
	s_lshl_b64 s[8:9], s[8:9], 2
	s_add_u32 s8, s10, s8
	s_addc_u32 s9, s11, s9
	s_load_dword s8, s[8:9], 0x0
.LBB230_12:
	s_nop 0
	s_load_dword s33, s[4:5], 0x0
	s_andn2_b64 vcc, exec, s[26:27]
	s_waitcnt lgkmcnt(0)
	s_ashr_i32 s9, s8, 31
	s_cbranch_vccnz .LBB230_68
; %bb.13:
	s_load_dwordx2 s[10:11], s[4:5], 0x30
	s_lshl_b64 s[12:13], s[8:9], 3
	v_lshrrev_b32_e32 v2, 4, v0
	v_subrev_co_u32_e32 v2, vcc, s20, v2
	s_waitcnt lgkmcnt(0)
	s_add_u32 s10, s10, s12
	s_addc_u32 s11, s11, s13
	s_load_dwordx4 s[12:15], s[10:11], 0x0
	v_subb_co_u32_e64 v3, s[10:11], 0, 0, vcc
	s_mov_b32 s34, 0
	s_waitcnt lgkmcnt(0)
	s_sub_u32 s10, s14, s20
	v_mov_b32_e32 v4, s13
	v_add_co_u32_e32 v26, vcc, s12, v2
	s_subb_u32 s11, s15, 0
	v_addc_co_u32_e32 v27, vcc, v4, v3, vcc
	v_cmp_gt_i64_e32 vcc, s[10:11], v[26:27]
	s_and_saveexec_b64 s[26:27], vcc
	s_cbranch_execz .LBB230_67
; %bb.14:
	s_load_dwordx2 s[28:29], s[4:5], 0x58
	s_load_dwordx8 s[12:19], s[4:5], 0x38
	v_and_b32_e32 v2, 15, v0
	v_subrev_co_u32_e32 v53, vcc, s21, v2
	s_cmp_eq_u32 s33, 0
	v_subb_co_u32_e64 v54, s[30:31], 0, 0, vcc
	s_mov_b32 s51, s21
	s_cselect_b32 s52, 1, 2
	s_cselect_b32 s53, 2, 1
	s_mov_b64 s[30:31], 0
	s_waitcnt lgkmcnt(0)
	v_mov_b32_e32 v55, s13
	v_mov_b32_e32 v56, s17
	;; [unrolled: 1-line block ×3, first 2 shown]
	s_branch .LBB230_16
.LBB230_15:                             ;   in Loop: Header=BB230_16 Depth=1
	s_or_b64 exec, exec, s[34:35]
	v_add_co_u32_e32 v26, vcc, 16, v26
	v_addc_co_u32_e32 v27, vcc, 0, v27, vcc
	v_cmp_le_i64_e32 vcc, s[10:11], v[26:27]
	s_or_b64 s[30:31], vcc, s[30:31]
	s_andn2_b64 exec, exec, s[30:31]
	s_cbranch_execz .LBB230_67
.LBB230_16:                             ; =>This Loop Header: Depth=1
                                        ;     Child Loop BB230_19 Depth 2
                                        ;       Child Loop BB230_21 Depth 3
                                        ;       Child Loop BB230_33 Depth 3
                                        ;       Child Loop BB230_45 Depth 3
                                        ;       Child Loop BB230_57 Depth 3
	v_lshlrev_b64 v[2:3], 2, v[26:27]
	v_add_co_u32_e32 v4, vcc, s12, v2
	v_addc_co_u32_e32 v5, vcc, v55, v3, vcc
	global_load_dword v4, v[4:5], off
	s_waitcnt vmcnt(0)
	v_subrev_u32_e32 v4, s20, v4
	v_ashrrev_i32_e32 v5, 31, v4
	v_lshlrev_b64 v[4:5], 3, v[4:5]
	v_add_co_u32_e32 v4, vcc, s16, v4
	v_addc_co_u32_e32 v5, vcc, v56, v5, vcc
	global_load_dwordx4 v[4:7], v[4:5], off
	s_waitcnt vmcnt(0)
	v_subrev_co_u32_e32 v28, vcc, s51, v6
	v_subb_co_u32_e32 v29, vcc, v7, v57, vcc
	v_add_co_u32_e32 v30, vcc, v4, v53
	v_addc_co_u32_e32 v31, vcc, v5, v54, vcc
	v_cmp_lt_i64_e32 vcc, v[30:31], v[28:29]
	s_and_saveexec_b64 s[34:35], vcc
	s_cbranch_execz .LBB230_15
; %bb.17:                               ;   in Loop: Header=BB230_16 Depth=1
	v_lshlrev_b64 v[4:5], 6, v[26:27]
	v_mov_b32_e32 v16, s15
	v_add_co_u32_e32 v12, vcc, s14, v4
	v_addc_co_u32_e32 v13, vcc, v16, v5, vcc
	global_load_dwordx4 v[4:7], v[12:13], off
	global_load_dwordx4 v[8:11], v[12:13], off offset:48
	v_or_b32_e32 v13, 0, v3
	v_or_b32_e32 v12, s52, v2
	v_lshlrev_b64 v[12:13], 4, v[12:13]
	v_add_co_u32_e32 v12, vcc, s14, v12
	v_or_b32_e32 v3, 0, v3
	v_or_b32_e32 v2, s53, v2
	v_addc_co_u32_e32 v13, vcc, v16, v13, vcc
	v_lshlrev_b64 v[2:3], 4, v[2:3]
	v_add_co_u32_e32 v2, vcc, s14, v2
	v_addc_co_u32_e32 v3, vcc, v16, v3, vcc
	global_load_dwordx4 v[12:15], v[12:13], off
	s_mov_b64 s[36:37], 0
	global_load_dwordx4 v[48:51], v[2:3], off
	s_waitcnt vmcnt(3)
	v_mul_f64 v[32:33], v[6:7], -v[24:25]
	v_mul_f64 v[34:35], v[22:23], v[6:7]
	s_waitcnt vmcnt(2)
	v_mul_f64 v[36:37], v[10:11], -v[24:25]
	v_mul_f64 v[38:39], v[22:23], v[10:11]
	v_fmac_f64_e32 v[32:33], v[22:23], v[4:5]
	v_fmac_f64_e32 v[34:35], v[24:25], v[4:5]
	v_fmac_f64_e32 v[36:37], v[22:23], v[8:9]
	v_fmac_f64_e32 v[38:39], v[24:25], v[8:9]
	s_waitcnt vmcnt(1)
	v_mul_f64 v[40:41], v[14:15], -v[24:25]
	v_mul_f64 v[42:43], v[22:23], v[14:15]
	s_waitcnt vmcnt(0)
	v_mul_f64 v[44:45], v[50:51], -v[24:25]
	v_mul_f64 v[46:47], v[22:23], v[50:51]
	v_fmac_f64_e32 v[40:41], v[22:23], v[12:13]
	v_fmac_f64_e32 v[42:43], v[24:25], v[12:13]
	;; [unrolled: 1-line block ×4, first 2 shown]
	s_branch .LBB230_19
.LBB230_18:                             ;   in Loop: Header=BB230_19 Depth=2
	s_or_b64 exec, exec, s[38:39]
	v_add_co_u32_e32 v30, vcc, 16, v30
	v_addc_co_u32_e32 v31, vcc, 0, v31, vcc
	v_cmp_ge_i64_e32 vcc, v[30:31], v[28:29]
	s_or_b64 s[36:37], vcc, s[36:37]
	s_andn2_b64 exec, exec, s[36:37]
	s_cbranch_execz .LBB230_15
.LBB230_19:                             ;   Parent Loop BB230_16 Depth=1
                                        ; =>  This Loop Header: Depth=2
                                        ;       Child Loop BB230_21 Depth 3
                                        ;       Child Loop BB230_33 Depth 3
	;; [unrolled: 1-line block ×4, first 2 shown]
	v_lshlrev_b64 v[2:3], 2, v[30:31]
	v_mov_b32_e32 v5, s19
	v_add_co_u32_e32 v4, vcc, s18, v2
	v_addc_co_u32_e32 v5, vcc, v5, v3, vcc
	global_load_dword v52, v[4:5], off
	v_or_b32_e32 v5, 0, v3
	v_or_b32_e32 v4, s52, v2
	;; [unrolled: 1-line block ×4, first 2 shown]
	v_lshlrev_b64 v[2:3], 4, v[2:3]
	v_mov_b32_e32 v8, s29
	v_add_co_u32_e32 v2, vcc, s28, v2
	v_lshlrev_b64 v[6:7], 6, v[30:31]
	v_addc_co_u32_e32 v3, vcc, v8, v3, vcc
	v_add_co_u32_e32 v48, vcc, s28, v6
	global_load_dwordx4 v[14:17], v[2:3], off
	v_addc_co_u32_e32 v49, vcc, v8, v7, vcc
	global_load_dwordx4 v[10:13], v[48:49], off
	v_lshlrev_b64 v[2:3], 4, v[4:5]
	v_add_co_u32_e32 v50, vcc, s28, v2
	v_addc_co_u32_e32 v51, vcc, v8, v3, vcc
	global_load_dwordx4 v[2:5], v[50:51], off
	global_load_dwordx4 v[6:9], v[48:49], off offset:48
	s_mov_b64 s[38:39], 0
	s_waitcnt vmcnt(4)
	v_subrev_u32_e32 v58, s21, v52
	v_lshl_add_u32 v52, v58, 3, v58
	v_and_b32_e32 v59, 63, v52
	v_mov_b32_e32 v60, v59
	s_waitcnt vmcnt(3)
	v_mul_f64 v[50:51], v[16:17], -v[42:43]
	v_mul_f64 v[48:49], v[40:41], v[16:17]
	v_fmac_f64_e32 v[50:51], v[40:41], v[14:15]
	v_fmac_f64_e32 v[48:49], v[42:43], v[14:15]
	s_waitcnt vmcnt(2)
	v_fmac_f64_e32 v[50:51], v[32:33], v[10:11]
	v_fmac_f64_e32 v[48:49], v[34:35], v[10:11]
	v_fma_f64 v[50:51], -v[34:35], v[12:13], v[50:51]
	v_fmac_f64_e32 v[48:49], v[32:33], v[12:13]
	s_branch .LBB230_21
.LBB230_20:                             ;   in Loop: Header=BB230_21 Depth=3
	s_or_b64 exec, exec, s[40:41]
	s_xor_b64 s[40:41], s[42:43], -1
	s_and_b64 s[40:41], exec, s[40:41]
	s_or_b64 s[38:39], s[40:41], s[38:39]
	s_andn2_b64 exec, exec, s[38:39]
	s_cbranch_execz .LBB230_31
.LBB230_21:                             ;   Parent Loop BB230_16 Depth=1
                                        ;     Parent Loop BB230_19 Depth=2
                                        ; =>    This Inner Loop Header: Depth=3
	v_lshl_add_u32 v52, v60, 2, 0
	ds_read_b32 v61, v52
                                        ; implicit-def: $sgpr42_sgpr43
	s_waitcnt lgkmcnt(0)
	v_cmp_ne_u32_e32 vcc, v61, v58
	s_and_saveexec_b64 s[40:41], vcc
	s_xor_b64 s[40:41], exec, s[40:41]
	s_cbranch_execz .LBB230_29
; %bb.22:                               ;   in Loop: Header=BB230_21 Depth=3
	v_cmp_ne_u32_e32 vcc, s50, v61
                                        ; implicit-def: $sgpr42_sgpr43
	s_and_saveexec_b64 s[44:45], vcc
	s_xor_b64 s[44:45], exec, s[44:45]
; %bb.23:                               ;   in Loop: Header=BB230_21 Depth=3
	v_add_u32_e32 v52, 1, v60
	v_and_b32_e32 v60, 63, v52
	s_mov_b64 s[42:43], -1
                                        ; implicit-def: $vgpr52
; %bb.24:                               ;   in Loop: Header=BB230_21 Depth=3
	s_andn2_saveexec_b64 s[44:45], s[44:45]
	s_cbranch_execz .LBB230_28
; %bb.25:                               ;   in Loop: Header=BB230_21 Depth=3
	v_mov_b32_e32 v61, s50
	ds_cmpst_rtn_b32 v61, v52, v61, v58
	s_mov_b64 s[48:49], -1
	s_waitcnt lgkmcnt(0)
	v_cmp_eq_u32_e32 vcc, s50, v61
	s_and_saveexec_b64 s[46:47], vcc
	s_cbranch_execz .LBB230_27
; %bb.26:                               ;   in Loop: Header=BB230_21 Depth=3
	v_mad_u64_u32 v[62:63], s[48:49], v60, 60, v[52:53]
	ds_add_f64 v62, v[50:51] offset:256
	ds_add_f64 v62, v[48:49] offset:264
	s_xor_b64 s[48:49], exec, -1
.LBB230_27:                             ;   in Loop: Header=BB230_21 Depth=3
	s_or_b64 exec, exec, s[46:47]
	s_andn2_b64 s[42:43], s[42:43], exec
	s_and_b64 s[46:47], s[48:49], exec
	s_or_b64 s[42:43], s[42:43], s[46:47]
.LBB230_28:                             ;   in Loop: Header=BB230_21 Depth=3
	s_or_b64 exec, exec, s[44:45]
	s_and_b64 s[42:43], s[42:43], exec
                                        ; implicit-def: $vgpr52
.LBB230_29:                             ;   in Loop: Header=BB230_21 Depth=3
	s_andn2_saveexec_b64 s[40:41], s[40:41]
	s_cbranch_execz .LBB230_20
; %bb.30:                               ;   in Loop: Header=BB230_21 Depth=3
	v_mad_u64_u32 v[62:63], s[44:45], v60, 60, v[52:53]
	ds_add_f64 v62, v[50:51] offset:256
	ds_add_f64 v62, v[48:49] offset:264
	s_andn2_b64 s[42:43], s[42:43], exec
	s_branch .LBB230_20
.LBB230_31:                             ;   in Loop: Header=BB230_19 Depth=2
	s_or_b64 exec, exec, s[38:39]
	s_waitcnt vmcnt(0)
	v_mul_f64 v[50:51], v[8:9], -v[42:43]
	v_mul_f64 v[48:49], v[40:41], v[8:9]
	v_fmac_f64_e32 v[50:51], v[40:41], v[6:7]
	v_fmac_f64_e32 v[48:49], v[42:43], v[6:7]
	;; [unrolled: 1-line block ×4, first 2 shown]
	v_fma_f64 v[50:51], -v[34:35], v[4:5], v[50:51]
	v_fmac_f64_e32 v[48:49], v[32:33], v[4:5]
	s_mov_b64 s[38:39], 0
	v_mov_b32_e32 v60, v59
	s_branch .LBB230_33
.LBB230_32:                             ;   in Loop: Header=BB230_33 Depth=3
	s_or_b64 exec, exec, s[40:41]
	s_xor_b64 s[40:41], s[42:43], -1
	s_and_b64 s[40:41], exec, s[40:41]
	s_or_b64 s[38:39], s[40:41], s[38:39]
	s_andn2_b64 exec, exec, s[38:39]
	s_cbranch_execz .LBB230_43
.LBB230_33:                             ;   Parent Loop BB230_16 Depth=1
                                        ;     Parent Loop BB230_19 Depth=2
                                        ; =>    This Inner Loop Header: Depth=3
	v_lshl_add_u32 v52, v60, 2, 0
	ds_read_b32 v61, v52
                                        ; implicit-def: $sgpr42_sgpr43
	s_waitcnt lgkmcnt(0)
	v_cmp_ne_u32_e32 vcc, v61, v58
	s_and_saveexec_b64 s[40:41], vcc
	s_xor_b64 s[40:41], exec, s[40:41]
	s_cbranch_execz .LBB230_41
; %bb.34:                               ;   in Loop: Header=BB230_33 Depth=3
	v_cmp_ne_u32_e32 vcc, s50, v61
                                        ; implicit-def: $sgpr42_sgpr43
	s_and_saveexec_b64 s[44:45], vcc
	s_xor_b64 s[44:45], exec, s[44:45]
; %bb.35:                               ;   in Loop: Header=BB230_33 Depth=3
	v_add_u32_e32 v52, 1, v60
	v_and_b32_e32 v60, 63, v52
	s_mov_b64 s[42:43], -1
                                        ; implicit-def: $vgpr52
; %bb.36:                               ;   in Loop: Header=BB230_33 Depth=3
	s_andn2_saveexec_b64 s[44:45], s[44:45]
	s_cbranch_execz .LBB230_40
; %bb.37:                               ;   in Loop: Header=BB230_33 Depth=3
	v_mov_b32_e32 v61, s50
	ds_cmpst_rtn_b32 v61, v52, v61, v58
	s_mov_b64 s[48:49], -1
	s_waitcnt lgkmcnt(0)
	v_cmp_eq_u32_e32 vcc, s50, v61
	s_and_saveexec_b64 s[46:47], vcc
	s_cbranch_execz .LBB230_39
; %bb.38:                               ;   in Loop: Header=BB230_33 Depth=3
	v_mad_u64_u32 v[62:63], s[48:49], v60, 60, v[52:53]
	ds_add_f64 v62, v[50:51] offset:272
	ds_add_f64 v62, v[48:49] offset:280
	s_xor_b64 s[48:49], exec, -1
.LBB230_39:                             ;   in Loop: Header=BB230_33 Depth=3
	s_or_b64 exec, exec, s[46:47]
	s_andn2_b64 s[42:43], s[42:43], exec
	s_and_b64 s[46:47], s[48:49], exec
	s_or_b64 s[42:43], s[42:43], s[46:47]
.LBB230_40:                             ;   in Loop: Header=BB230_33 Depth=3
	s_or_b64 exec, exec, s[44:45]
	s_and_b64 s[42:43], s[42:43], exec
                                        ; implicit-def: $vgpr52
.LBB230_41:                             ;   in Loop: Header=BB230_33 Depth=3
	s_andn2_saveexec_b64 s[40:41], s[40:41]
	s_cbranch_execz .LBB230_32
; %bb.42:                               ;   in Loop: Header=BB230_33 Depth=3
	v_mad_u64_u32 v[62:63], s[44:45], v60, 60, v[52:53]
	ds_add_f64 v62, v[50:51] offset:272
	ds_add_f64 v62, v[48:49] offset:280
	s_andn2_b64 s[42:43], s[42:43], exec
	s_branch .LBB230_32
.LBB230_43:                             ;   in Loop: Header=BB230_19 Depth=2
	s_or_b64 exec, exec, s[38:39]
	v_mul_f64 v[48:49], v[16:17], -v[38:39]
	v_mul_f64 v[16:17], v[36:37], v[16:17]
	v_fmac_f64_e32 v[48:49], v[36:37], v[14:15]
	v_fmac_f64_e32 v[16:17], v[38:39], v[14:15]
	;; [unrolled: 1-line block ×4, first 2 shown]
	v_fma_f64 v[14:15], -v[46:47], v[12:13], v[48:49]
	v_fmac_f64_e32 v[16:17], v[44:45], v[12:13]
	s_mov_b64 s[38:39], 0
	v_mov_b32_e32 v11, v59
	s_branch .LBB230_45
.LBB230_44:                             ;   in Loop: Header=BB230_45 Depth=3
	s_or_b64 exec, exec, s[40:41]
	s_xor_b64 s[40:41], s[42:43], -1
	s_and_b64 s[40:41], exec, s[40:41]
	s_or_b64 s[38:39], s[40:41], s[38:39]
	s_andn2_b64 exec, exec, s[38:39]
	s_cbranch_execz .LBB230_55
.LBB230_45:                             ;   Parent Loop BB230_16 Depth=1
                                        ;     Parent Loop BB230_19 Depth=2
                                        ; =>    This Inner Loop Header: Depth=3
	v_lshl_add_u32 v10, v11, 2, 0
	ds_read_b32 v12, v10
                                        ; implicit-def: $sgpr42_sgpr43
	s_waitcnt lgkmcnt(0)
	v_cmp_ne_u32_e32 vcc, v12, v58
	s_and_saveexec_b64 s[40:41], vcc
	s_xor_b64 s[40:41], exec, s[40:41]
	s_cbranch_execz .LBB230_53
; %bb.46:                               ;   in Loop: Header=BB230_45 Depth=3
	v_cmp_ne_u32_e32 vcc, s50, v12
                                        ; implicit-def: $sgpr42_sgpr43
	s_and_saveexec_b64 s[44:45], vcc
	s_xor_b64 s[44:45], exec, s[44:45]
; %bb.47:                               ;   in Loop: Header=BB230_45 Depth=3
	v_add_u32_e32 v10, 1, v11
	v_and_b32_e32 v11, 63, v10
	s_mov_b64 s[42:43], -1
                                        ; implicit-def: $vgpr10
; %bb.48:                               ;   in Loop: Header=BB230_45 Depth=3
	s_andn2_saveexec_b64 s[44:45], s[44:45]
	s_cbranch_execz .LBB230_52
; %bb.49:                               ;   in Loop: Header=BB230_45 Depth=3
	v_mov_b32_e32 v12, s50
	ds_cmpst_rtn_b32 v12, v10, v12, v58
	s_mov_b64 s[48:49], -1
	s_waitcnt lgkmcnt(0)
	v_cmp_eq_u32_e32 vcc, s50, v12
	s_and_saveexec_b64 s[46:47], vcc
	s_cbranch_execz .LBB230_51
; %bb.50:                               ;   in Loop: Header=BB230_45 Depth=3
	v_mad_u64_u32 v[12:13], s[48:49], v11, 60, v[10:11]
	ds_add_f64 v12, v[14:15] offset:288
	ds_add_f64 v12, v[16:17] offset:296
	s_xor_b64 s[48:49], exec, -1
.LBB230_51:                             ;   in Loop: Header=BB230_45 Depth=3
	s_or_b64 exec, exec, s[46:47]
	s_andn2_b64 s[42:43], s[42:43], exec
	s_and_b64 s[46:47], s[48:49], exec
	s_or_b64 s[42:43], s[42:43], s[46:47]
.LBB230_52:                             ;   in Loop: Header=BB230_45 Depth=3
	s_or_b64 exec, exec, s[44:45]
	s_and_b64 s[42:43], s[42:43], exec
                                        ; implicit-def: $vgpr10
.LBB230_53:                             ;   in Loop: Header=BB230_45 Depth=3
	s_andn2_saveexec_b64 s[40:41], s[40:41]
	s_cbranch_execz .LBB230_44
; %bb.54:                               ;   in Loop: Header=BB230_45 Depth=3
	v_mad_u64_u32 v[12:13], s[44:45], v11, 60, v[10:11]
	ds_add_f64 v12, v[14:15] offset:288
	ds_add_f64 v12, v[16:17] offset:296
	s_andn2_b64 s[42:43], s[42:43], exec
	s_branch .LBB230_44
.LBB230_55:                             ;   in Loop: Header=BB230_19 Depth=2
	s_or_b64 exec, exec, s[38:39]
	v_mul_f64 v[10:11], v[8:9], -v[38:39]
	v_mul_f64 v[8:9], v[36:37], v[8:9]
	v_fmac_f64_e32 v[10:11], v[36:37], v[6:7]
	v_fmac_f64_e32 v[8:9], v[38:39], v[6:7]
	;; [unrolled: 1-line block ×4, first 2 shown]
	v_fma_f64 v[6:7], -v[46:47], v[4:5], v[10:11]
	v_fmac_f64_e32 v[8:9], v[44:45], v[4:5]
	s_mov_b64 s[38:39], 0
	s_branch .LBB230_57
.LBB230_56:                             ;   in Loop: Header=BB230_57 Depth=3
	s_or_b64 exec, exec, s[40:41]
	s_xor_b64 s[40:41], s[42:43], -1
	s_and_b64 s[40:41], exec, s[40:41]
	s_or_b64 s[38:39], s[40:41], s[38:39]
	s_andn2_b64 exec, exec, s[38:39]
	s_cbranch_execz .LBB230_18
.LBB230_57:                             ;   Parent Loop BB230_16 Depth=1
                                        ;     Parent Loop BB230_19 Depth=2
                                        ; =>    This Inner Loop Header: Depth=3
	v_lshl_add_u32 v2, v59, 2, 0
	ds_read_b32 v3, v2
                                        ; implicit-def: $sgpr42_sgpr43
	s_waitcnt lgkmcnt(0)
	v_cmp_ne_u32_e32 vcc, v3, v58
	s_and_saveexec_b64 s[40:41], vcc
	s_xor_b64 s[40:41], exec, s[40:41]
	s_cbranch_execz .LBB230_65
; %bb.58:                               ;   in Loop: Header=BB230_57 Depth=3
	v_cmp_ne_u32_e32 vcc, s50, v3
                                        ; implicit-def: $sgpr42_sgpr43
	s_and_saveexec_b64 s[44:45], vcc
	s_xor_b64 s[44:45], exec, s[44:45]
; %bb.59:                               ;   in Loop: Header=BB230_57 Depth=3
	v_add_u32_e32 v2, 1, v59
	v_and_b32_e32 v59, 63, v2
	s_mov_b64 s[42:43], -1
                                        ; implicit-def: $vgpr2
; %bb.60:                               ;   in Loop: Header=BB230_57 Depth=3
	s_andn2_saveexec_b64 s[44:45], s[44:45]
	s_cbranch_execz .LBB230_64
; %bb.61:                               ;   in Loop: Header=BB230_57 Depth=3
	v_mov_b32_e32 v3, s50
	ds_cmpst_rtn_b32 v3, v2, v3, v58
	s_mov_b64 s[48:49], -1
	s_waitcnt lgkmcnt(0)
	v_cmp_eq_u32_e32 vcc, s50, v3
	s_and_saveexec_b64 s[46:47], vcc
	s_cbranch_execz .LBB230_63
; %bb.62:                               ;   in Loop: Header=BB230_57 Depth=3
	v_mad_u64_u32 v[2:3], s[48:49], v59, 60, v[2:3]
	ds_add_f64 v2, v[6:7] offset:304
	ds_add_f64 v2, v[8:9] offset:312
	s_xor_b64 s[48:49], exec, -1
.LBB230_63:                             ;   in Loop: Header=BB230_57 Depth=3
	s_or_b64 exec, exec, s[46:47]
	s_andn2_b64 s[42:43], s[42:43], exec
	s_and_b64 s[46:47], s[48:49], exec
	s_or_b64 s[42:43], s[42:43], s[46:47]
.LBB230_64:                             ;   in Loop: Header=BB230_57 Depth=3
	s_or_b64 exec, exec, s[44:45]
	s_and_b64 s[42:43], s[42:43], exec
                                        ; implicit-def: $vgpr2
.LBB230_65:                             ;   in Loop: Header=BB230_57 Depth=3
	s_andn2_saveexec_b64 s[40:41], s[40:41]
	s_cbranch_execz .LBB230_56
; %bb.66:                               ;   in Loop: Header=BB230_57 Depth=3
	v_mad_u64_u32 v[2:3], s[44:45], v59, 60, v[2:3]
	ds_add_f64 v2, v[6:7] offset:304
	ds_add_f64 v2, v[8:9] offset:312
	s_andn2_b64 s[42:43], s[42:43], exec
	s_branch .LBB230_56
.LBB230_67:
	s_or_b64 exec, exec, s[26:27]
.LBB230_68:
	s_andn2_b64 vcc, exec, s[24:25]
	s_waitcnt lgkmcnt(0)
	s_barrier
	s_cbranch_vccnz .LBB230_121
; %bb.69:
	s_load_dwordx2 s[10:11], s[4:5], 0x70
	s_lshl_b64 s[12:13], s[8:9], 3
	v_subrev_co_u32_e32 v2, vcc, s23, v0
	s_waitcnt lgkmcnt(0)
	s_add_u32 s10, s10, s12
	s_addc_u32 s11, s11, s13
	s_load_dwordx4 s[12:15], s[10:11], 0x0
	v_subb_co_u32_e64 v3, s[10:11], 0, 0, vcc
	s_waitcnt lgkmcnt(0)
	s_sub_u32 s10, s14, s23
	v_mov_b32_e32 v4, s13
	v_add_co_u32_e32 v14, vcc, s12, v2
	s_subb_u32 s11, s15, 0
	v_addc_co_u32_e32 v15, vcc, v4, v3, vcc
	v_cmp_gt_i64_e32 vcc, s[10:11], v[14:15]
	s_and_saveexec_b64 s[16:17], vcc
	s_cbranch_execz .LBB230_120
; %bb.70:
	s_load_dwordx4 s[12:15], s[4:5], 0x78
	s_cmp_eq_u32 s33, 0
	s_mov_b64 s[18:19], 0
	s_cselect_b32 s36, 1, 2
	s_cselect_b32 s37, 2, 1
	s_waitcnt vmcnt(0) lgkmcnt(0)
	v_mov_b32_e32 v25, s15
	v_mov_b32_e32 v26, s13
	s_branch .LBB230_72
.LBB230_71:                             ;   in Loop: Header=BB230_72 Depth=1
	s_or_b64 exec, exec, s[20:21]
	v_add_co_u32_e32 v14, vcc, 0x100, v14
	v_addc_co_u32_e32 v15, vcc, 0, v15, vcc
	v_cmp_le_i64_e32 vcc, s[10:11], v[14:15]
	s_or_b64 s[18:19], vcc, s[18:19]
	s_andn2_b64 exec, exec, s[18:19]
	s_cbranch_execz .LBB230_120
.LBB230_72:                             ; =>This Loop Header: Depth=1
                                        ;     Child Loop BB230_74 Depth 2
                                        ;     Child Loop BB230_86 Depth 2
	;; [unrolled: 1-line block ×4, first 2 shown]
	v_lshlrev_b64 v[2:3], 6, v[14:15]
	v_add_co_u32_e32 v8, vcc, s14, v2
	v_lshlrev_b64 v[6:7], 2, v[14:15]
	v_addc_co_u32_e32 v9, vcc, v25, v3, vcc
	global_load_dwordx4 v[28:31], v[8:9], off
	global_load_dwordx4 v[2:5], v[8:9], off offset:48
	v_or_b32_e32 v9, 0, v7
	v_or_b32_e32 v8, s36, v6
	v_lshlrev_b64 v[8:9], 4, v[8:9]
	v_add_co_u32_e32 v16, vcc, s14, v8
	v_addc_co_u32_e32 v17, vcc, v25, v9, vcc
	v_or_b32_e32 v8, s37, v6
	v_add_co_u32_e32 v6, vcc, s12, v6
	v_or_b32_e32 v9, 0, v7
	v_addc_co_u32_e32 v7, vcc, v26, v7, vcc
	global_load_dword v24, v[6:7], off
	v_lshlrev_b64 v[6:7], 4, v[8:9]
	v_add_co_u32_e32 v22, vcc, s14, v6
	v_addc_co_u32_e32 v23, vcc, v25, v7, vcc
	global_load_dwordx4 v[10:13], v[16:17], off
	global_load_dwordx4 v[6:9], v[22:23], off
	s_mov_b64 s[20:21], 0
	s_waitcnt vmcnt(4)
	v_mul_f64 v[16:17], v[30:31], -v[18:19]
	v_mul_f64 v[22:23], v[20:21], v[30:31]
	v_fmac_f64_e32 v[16:17], v[20:21], v[28:29]
	v_fmac_f64_e32 v[22:23], v[18:19], v[28:29]
	s_waitcnt vmcnt(2)
	v_subrev_u32_e32 v27, s23, v24
	v_lshl_add_u32 v24, v27, 3, v27
	v_and_b32_e32 v28, 63, v24
	v_mov_b32_e32 v29, v28
	s_branch .LBB230_74
.LBB230_73:                             ;   in Loop: Header=BB230_74 Depth=2
	s_or_b64 exec, exec, s[24:25]
	s_xor_b64 s[24:25], s[26:27], -1
	s_and_b64 s[24:25], exec, s[24:25]
	s_or_b64 s[20:21], s[24:25], s[20:21]
	s_andn2_b64 exec, exec, s[20:21]
	s_cbranch_execz .LBB230_84
.LBB230_74:                             ;   Parent Loop BB230_72 Depth=1
                                        ; =>  This Inner Loop Header: Depth=2
	v_lshl_add_u32 v24, v29, 2, 0
	ds_read_b32 v30, v24
                                        ; implicit-def: $sgpr26_sgpr27
	s_waitcnt lgkmcnt(0)
	v_cmp_ne_u32_e32 vcc, v30, v27
	s_and_saveexec_b64 s[24:25], vcc
	s_xor_b64 s[24:25], exec, s[24:25]
	s_cbranch_execz .LBB230_82
; %bb.75:                               ;   in Loop: Header=BB230_74 Depth=2
	v_cmp_ne_u32_e32 vcc, s50, v30
                                        ; implicit-def: $sgpr26_sgpr27
	s_and_saveexec_b64 s[28:29], vcc
	s_xor_b64 s[28:29], exec, s[28:29]
; %bb.76:                               ;   in Loop: Header=BB230_74 Depth=2
	v_add_u32_e32 v24, 1, v29
	v_and_b32_e32 v29, 63, v24
	s_mov_b64 s[26:27], -1
                                        ; implicit-def: $vgpr24
; %bb.77:                               ;   in Loop: Header=BB230_74 Depth=2
	s_andn2_saveexec_b64 s[28:29], s[28:29]
	s_cbranch_execz .LBB230_81
; %bb.78:                               ;   in Loop: Header=BB230_74 Depth=2
	v_mov_b32_e32 v30, s50
	ds_cmpst_rtn_b32 v30, v24, v30, v27
	s_mov_b64 s[34:35], -1
	s_waitcnt lgkmcnt(0)
	v_cmp_eq_u32_e32 vcc, s50, v30
	s_and_saveexec_b64 s[30:31], vcc
	s_cbranch_execz .LBB230_80
; %bb.79:                               ;   in Loop: Header=BB230_74 Depth=2
	v_mad_u64_u32 v[30:31], s[34:35], v29, 60, v[24:25]
	ds_add_f64 v30, v[16:17] offset:256
	ds_add_f64 v30, v[22:23] offset:264
	s_xor_b64 s[34:35], exec, -1
.LBB230_80:                             ;   in Loop: Header=BB230_74 Depth=2
	s_or_b64 exec, exec, s[30:31]
	s_andn2_b64 s[26:27], s[26:27], exec
	s_and_b64 s[30:31], s[34:35], exec
	s_or_b64 s[26:27], s[26:27], s[30:31]
.LBB230_81:                             ;   in Loop: Header=BB230_74 Depth=2
	s_or_b64 exec, exec, s[28:29]
	s_and_b64 s[26:27], s[26:27], exec
                                        ; implicit-def: $vgpr24
.LBB230_82:                             ;   in Loop: Header=BB230_74 Depth=2
	s_andn2_saveexec_b64 s[24:25], s[24:25]
	s_cbranch_execz .LBB230_73
; %bb.83:                               ;   in Loop: Header=BB230_74 Depth=2
	v_mad_u64_u32 v[30:31], s[28:29], v29, 60, v[24:25]
	ds_add_f64 v30, v[16:17] offset:256
	ds_add_f64 v30, v[22:23] offset:264
	s_andn2_b64 s[26:27], s[26:27], exec
	s_branch .LBB230_73
.LBB230_84:                             ;   in Loop: Header=BB230_72 Depth=1
	s_or_b64 exec, exec, s[20:21]
	s_waitcnt vmcnt(1)
	v_mul_f64 v[16:17], v[12:13], -v[18:19]
	v_mul_f64 v[12:13], v[20:21], v[12:13]
	v_fmac_f64_e32 v[16:17], v[20:21], v[10:11]
	v_fmac_f64_e32 v[12:13], v[18:19], v[10:11]
	s_mov_b64 s[20:21], 0
	v_mov_b32_e32 v11, v28
	s_branch .LBB230_86
.LBB230_85:                             ;   in Loop: Header=BB230_86 Depth=2
	s_or_b64 exec, exec, s[24:25]
	s_xor_b64 s[24:25], s[26:27], -1
	s_and_b64 s[24:25], exec, s[24:25]
	s_or_b64 s[20:21], s[24:25], s[20:21]
	s_andn2_b64 exec, exec, s[20:21]
	s_cbranch_execz .LBB230_96
.LBB230_86:                             ;   Parent Loop BB230_72 Depth=1
                                        ; =>  This Inner Loop Header: Depth=2
	v_lshl_add_u32 v10, v11, 2, 0
	ds_read_b32 v22, v10
                                        ; implicit-def: $sgpr26_sgpr27
	s_waitcnt lgkmcnt(0)
	v_cmp_ne_u32_e32 vcc, v22, v27
	s_and_saveexec_b64 s[24:25], vcc
	s_xor_b64 s[24:25], exec, s[24:25]
	s_cbranch_execz .LBB230_94
; %bb.87:                               ;   in Loop: Header=BB230_86 Depth=2
	v_cmp_ne_u32_e32 vcc, s50, v22
                                        ; implicit-def: $sgpr26_sgpr27
	s_and_saveexec_b64 s[28:29], vcc
	s_xor_b64 s[28:29], exec, s[28:29]
; %bb.88:                               ;   in Loop: Header=BB230_86 Depth=2
	v_add_u32_e32 v10, 1, v11
	v_and_b32_e32 v11, 63, v10
	s_mov_b64 s[26:27], -1
                                        ; implicit-def: $vgpr10
; %bb.89:                               ;   in Loop: Header=BB230_86 Depth=2
	s_andn2_saveexec_b64 s[28:29], s[28:29]
	s_cbranch_execz .LBB230_93
; %bb.90:                               ;   in Loop: Header=BB230_86 Depth=2
	v_mov_b32_e32 v22, s50
	ds_cmpst_rtn_b32 v22, v10, v22, v27
	s_mov_b64 s[34:35], -1
	s_waitcnt lgkmcnt(0)
	v_cmp_eq_u32_e32 vcc, s50, v22
	s_and_saveexec_b64 s[30:31], vcc
	s_cbranch_execz .LBB230_92
; %bb.91:                               ;   in Loop: Header=BB230_86 Depth=2
	v_mad_u64_u32 v[22:23], s[34:35], v11, 60, v[10:11]
	ds_add_f64 v22, v[16:17] offset:272
	ds_add_f64 v22, v[12:13] offset:280
	s_xor_b64 s[34:35], exec, -1
.LBB230_92:                             ;   in Loop: Header=BB230_86 Depth=2
	s_or_b64 exec, exec, s[30:31]
	s_andn2_b64 s[26:27], s[26:27], exec
	s_and_b64 s[30:31], s[34:35], exec
	s_or_b64 s[26:27], s[26:27], s[30:31]
.LBB230_93:                             ;   in Loop: Header=BB230_86 Depth=2
	s_or_b64 exec, exec, s[28:29]
	s_and_b64 s[26:27], s[26:27], exec
                                        ; implicit-def: $vgpr10
.LBB230_94:                             ;   in Loop: Header=BB230_86 Depth=2
	s_andn2_saveexec_b64 s[24:25], s[24:25]
	s_cbranch_execz .LBB230_85
; %bb.95:                               ;   in Loop: Header=BB230_86 Depth=2
	v_mad_u64_u32 v[22:23], s[28:29], v11, 60, v[10:11]
	ds_add_f64 v22, v[16:17] offset:272
	ds_add_f64 v22, v[12:13] offset:280
	s_andn2_b64 s[26:27], s[26:27], exec
	s_branch .LBB230_85
.LBB230_96:                             ;   in Loop: Header=BB230_72 Depth=1
	s_or_b64 exec, exec, s[20:21]
	s_waitcnt vmcnt(0)
	v_mul_f64 v[10:11], v[8:9], -v[18:19]
	v_mul_f64 v[8:9], v[20:21], v[8:9]
	v_fmac_f64_e32 v[10:11], v[20:21], v[6:7]
	v_fmac_f64_e32 v[8:9], v[18:19], v[6:7]
	s_mov_b64 s[20:21], 0
	v_mov_b32_e32 v7, v28
	s_branch .LBB230_98
.LBB230_97:                             ;   in Loop: Header=BB230_98 Depth=2
	s_or_b64 exec, exec, s[24:25]
	s_xor_b64 s[24:25], s[26:27], -1
	s_and_b64 s[24:25], exec, s[24:25]
	s_or_b64 s[20:21], s[24:25], s[20:21]
	s_andn2_b64 exec, exec, s[20:21]
	s_cbranch_execz .LBB230_108
.LBB230_98:                             ;   Parent Loop BB230_72 Depth=1
                                        ; =>  This Inner Loop Header: Depth=2
	v_lshl_add_u32 v6, v7, 2, 0
	ds_read_b32 v12, v6
                                        ; implicit-def: $sgpr26_sgpr27
	s_waitcnt lgkmcnt(0)
	v_cmp_ne_u32_e32 vcc, v12, v27
	s_and_saveexec_b64 s[24:25], vcc
	s_xor_b64 s[24:25], exec, s[24:25]
	s_cbranch_execz .LBB230_106
; %bb.99:                               ;   in Loop: Header=BB230_98 Depth=2
	v_cmp_ne_u32_e32 vcc, s50, v12
                                        ; implicit-def: $sgpr26_sgpr27
	s_and_saveexec_b64 s[28:29], vcc
	s_xor_b64 s[28:29], exec, s[28:29]
; %bb.100:                              ;   in Loop: Header=BB230_98 Depth=2
	v_add_u32_e32 v6, 1, v7
	v_and_b32_e32 v7, 63, v6
	s_mov_b64 s[26:27], -1
                                        ; implicit-def: $vgpr6
; %bb.101:                              ;   in Loop: Header=BB230_98 Depth=2
	s_andn2_saveexec_b64 s[28:29], s[28:29]
	s_cbranch_execz .LBB230_105
; %bb.102:                              ;   in Loop: Header=BB230_98 Depth=2
	v_mov_b32_e32 v12, s50
	ds_cmpst_rtn_b32 v12, v6, v12, v27
	s_mov_b64 s[34:35], -1
	s_waitcnt lgkmcnt(0)
	v_cmp_eq_u32_e32 vcc, s50, v12
	s_and_saveexec_b64 s[30:31], vcc
	s_cbranch_execz .LBB230_104
; %bb.103:                              ;   in Loop: Header=BB230_98 Depth=2
	v_mad_u64_u32 v[12:13], s[34:35], v7, 60, v[6:7]
	ds_add_f64 v12, v[10:11] offset:288
	ds_add_f64 v12, v[8:9] offset:296
	s_xor_b64 s[34:35], exec, -1
.LBB230_104:                            ;   in Loop: Header=BB230_98 Depth=2
	s_or_b64 exec, exec, s[30:31]
	s_andn2_b64 s[26:27], s[26:27], exec
	s_and_b64 s[30:31], s[34:35], exec
	s_or_b64 s[26:27], s[26:27], s[30:31]
.LBB230_105:                            ;   in Loop: Header=BB230_98 Depth=2
	s_or_b64 exec, exec, s[28:29]
	s_and_b64 s[26:27], s[26:27], exec
                                        ; implicit-def: $vgpr6
.LBB230_106:                            ;   in Loop: Header=BB230_98 Depth=2
	s_andn2_saveexec_b64 s[24:25], s[24:25]
	s_cbranch_execz .LBB230_97
; %bb.107:                              ;   in Loop: Header=BB230_98 Depth=2
	v_mad_u64_u32 v[12:13], s[28:29], v7, 60, v[6:7]
	ds_add_f64 v12, v[10:11] offset:288
	ds_add_f64 v12, v[8:9] offset:296
	s_andn2_b64 s[26:27], s[26:27], exec
	s_branch .LBB230_97
.LBB230_108:                            ;   in Loop: Header=BB230_72 Depth=1
	s_or_b64 exec, exec, s[20:21]
	v_mul_f64 v[6:7], v[4:5], -v[18:19]
	v_mul_f64 v[4:5], v[20:21], v[4:5]
	v_fmac_f64_e32 v[6:7], v[20:21], v[2:3]
	v_fmac_f64_e32 v[4:5], v[18:19], v[2:3]
	s_mov_b64 s[20:21], 0
	s_branch .LBB230_110
.LBB230_109:                            ;   in Loop: Header=BB230_110 Depth=2
	s_or_b64 exec, exec, s[24:25]
	s_xor_b64 s[24:25], s[26:27], -1
	s_and_b64 s[24:25], exec, s[24:25]
	s_or_b64 s[20:21], s[24:25], s[20:21]
	s_andn2_b64 exec, exec, s[20:21]
	s_cbranch_execz .LBB230_71
.LBB230_110:                            ;   Parent Loop BB230_72 Depth=1
                                        ; =>  This Inner Loop Header: Depth=2
	v_lshl_add_u32 v2, v28, 2, 0
	ds_read_b32 v3, v2
                                        ; implicit-def: $sgpr26_sgpr27
	s_waitcnt lgkmcnt(0)
	v_cmp_ne_u32_e32 vcc, v3, v27
	s_and_saveexec_b64 s[24:25], vcc
	s_xor_b64 s[24:25], exec, s[24:25]
	s_cbranch_execz .LBB230_118
; %bb.111:                              ;   in Loop: Header=BB230_110 Depth=2
	v_cmp_ne_u32_e32 vcc, s50, v3
                                        ; implicit-def: $sgpr26_sgpr27
	s_and_saveexec_b64 s[28:29], vcc
	s_xor_b64 s[28:29], exec, s[28:29]
; %bb.112:                              ;   in Loop: Header=BB230_110 Depth=2
	v_add_u32_e32 v2, 1, v28
	v_and_b32_e32 v28, 63, v2
	s_mov_b64 s[26:27], -1
                                        ; implicit-def: $vgpr2
; %bb.113:                              ;   in Loop: Header=BB230_110 Depth=2
	s_andn2_saveexec_b64 s[28:29], s[28:29]
	s_cbranch_execz .LBB230_117
; %bb.114:                              ;   in Loop: Header=BB230_110 Depth=2
	v_mov_b32_e32 v3, s50
	ds_cmpst_rtn_b32 v3, v2, v3, v27
	s_mov_b64 s[34:35], -1
	s_waitcnt lgkmcnt(0)
	v_cmp_eq_u32_e32 vcc, s50, v3
	s_and_saveexec_b64 s[30:31], vcc
	s_cbranch_execz .LBB230_116
; %bb.115:                              ;   in Loop: Header=BB230_110 Depth=2
	v_mad_u64_u32 v[2:3], s[34:35], v28, 60, v[2:3]
	ds_add_f64 v2, v[6:7] offset:304
	ds_add_f64 v2, v[4:5] offset:312
	s_xor_b64 s[34:35], exec, -1
.LBB230_116:                            ;   in Loop: Header=BB230_110 Depth=2
	s_or_b64 exec, exec, s[30:31]
	s_andn2_b64 s[26:27], s[26:27], exec
	s_and_b64 s[30:31], s[34:35], exec
	s_or_b64 s[26:27], s[26:27], s[30:31]
.LBB230_117:                            ;   in Loop: Header=BB230_110 Depth=2
	s_or_b64 exec, exec, s[28:29]
	s_and_b64 s[26:27], s[26:27], exec
                                        ; implicit-def: $vgpr2
.LBB230_118:                            ;   in Loop: Header=BB230_110 Depth=2
	s_andn2_saveexec_b64 s[24:25], s[24:25]
	s_cbranch_execz .LBB230_109
; %bb.119:                              ;   in Loop: Header=BB230_110 Depth=2
	v_mad_u64_u32 v[2:3], s[28:29], v28, 60, v[2:3]
	ds_add_f64 v2, v[6:7] offset:304
	ds_add_f64 v2, v[4:5] offset:312
	s_andn2_b64 s[26:27], s[26:27], exec
	s_branch .LBB230_109
.LBB230_120:
	s_or_b64 exec, exec, s[16:17]
.LBB230_121:
	s_waitcnt lgkmcnt(0)
	s_barrier
	s_and_saveexec_b64 s[10:11], s[6:7]
	s_cbranch_execz .LBB230_124
; %bb.122:
	ds_read_b32 v1, v1
	s_waitcnt lgkmcnt(0)
	v_cmp_gt_i32_e32 vcc, s50, v1
	s_and_b64 exec, exec, vcc
	s_cbranch_execz .LBB230_124
; %bb.123:
	s_load_dwordx4 s[12:15], s[4:5], 0x88
	s_load_dwordx2 s[6:7], s[4:5], 0x98
	s_lshl_b64 s[4:5], s[8:9], 3
	v_mov_b32_e32 v10, 0
	s_waitcnt lgkmcnt(0)
	s_add_u32 s4, s12, s4
	s_addc_u32 s5, s13, s5
	s_load_dwordx2 s[4:5], s[4:5], 0x0
	ds_read2_b32 v[2:3], v10 offset1:1
	ds_read2_b32 v[4:5], v10 offset0:2 offset1:3
	ds_read2_b32 v[6:7], v10 offset0:4 offset1:5
	;; [unrolled: 1-line block ×3, first 2 shown]
	s_waitcnt vmcnt(0)
	v_mov_b32_e32 v18, s7
	s_waitcnt lgkmcnt(0)
	v_cmp_gt_i32_e32 vcc, v1, v2
	v_cndmask_b32_e64 v2, 0, 1, vcc
	s_sub_u32 s8, s4, s22
	s_subb_u32 s5, s5, 0
	v_mov_b32_e32 v11, s5
	v_add_co_u32_e32 v2, vcc, s8, v2
	v_addc_co_u32_e32 v11, vcc, 0, v11, vcc
	v_cmp_gt_i32_e32 vcc, v1, v3
	v_cndmask_b32_e64 v3, 0, 1, vcc
	v_add_co_u32_e32 v2, vcc, v2, v3
	v_addc_co_u32_e32 v3, vcc, 0, v11, vcc
	v_cmp_gt_i32_e32 vcc, v1, v4
	v_cndmask_b32_e64 v4, 0, 1, vcc
	;; [unrolled: 4-line block ×6, first 2 shown]
	v_add_co_u32_e32 v4, vcc, v2, v4
	v_addc_co_u32_e32 v5, vcc, 0, v3, vcc
	ds_read2_b32 v[2:3], v10 offset0:8 offset1:9
	v_cmp_gt_i32_e32 vcc, v1, v9
	v_cndmask_b32_e64 v6, 0, 1, vcc
	v_add_co_u32_e32 v11, vcc, v4, v6
	v_addc_co_u32_e32 v12, vcc, 0, v5, vcc
	s_waitcnt lgkmcnt(0)
	v_cmp_gt_i32_e32 vcc, v1, v2
	v_cndmask_b32_e64 v2, 0, 1, vcc
	v_add_co_u32_e32 v2, vcc, v11, v2
	v_addc_co_u32_e32 v11, vcc, 0, v12, vcc
	v_cmp_gt_i32_e32 vcc, v1, v3
	ds_read2_b32 v[4:5], v10 offset0:10 offset1:11
	ds_read2_b32 v[6:7], v10 offset0:12 offset1:13
	ds_read2_b32 v[8:9], v10 offset0:14 offset1:15
	v_cndmask_b32_e64 v3, 0, 1, vcc
	v_add_co_u32_e32 v2, vcc, v2, v3
	v_addc_co_u32_e32 v3, vcc, 0, v11, vcc
	s_waitcnt lgkmcnt(2)
	v_cmp_gt_i32_e32 vcc, v1, v4
	v_cndmask_b32_e64 v4, 0, 1, vcc
	v_add_co_u32_e32 v2, vcc, v2, v4
	v_addc_co_u32_e32 v3, vcc, 0, v3, vcc
	v_cmp_gt_i32_e32 vcc, v1, v5
	v_cndmask_b32_e64 v4, 0, 1, vcc
	v_add_co_u32_e32 v2, vcc, v2, v4
	v_addc_co_u32_e32 v3, vcc, 0, v3, vcc
	s_waitcnt lgkmcnt(1)
	v_cmp_gt_i32_e32 vcc, v1, v6
	v_cndmask_b32_e64 v4, 0, 1, vcc
	v_add_co_u32_e32 v2, vcc, v2, v4
	v_addc_co_u32_e32 v3, vcc, 0, v3, vcc
	v_cmp_gt_i32_e32 vcc, v1, v7
	v_cndmask_b32_e64 v4, 0, 1, vcc
	v_add_co_u32_e32 v2, vcc, v2, v4
	v_addc_co_u32_e32 v3, vcc, 0, v3, vcc
	s_waitcnt lgkmcnt(0)
	v_cmp_gt_i32_e32 vcc, v1, v8
	v_cndmask_b32_e64 v4, 0, 1, vcc
	v_add_co_u32_e32 v4, vcc, v2, v4
	v_addc_co_u32_e32 v5, vcc, 0, v3, vcc
	ds_read2_b32 v[2:3], v10 offset0:16 offset1:17
	v_cmp_gt_i32_e32 vcc, v1, v9
	v_cndmask_b32_e64 v6, 0, 1, vcc
	v_add_co_u32_e32 v11, vcc, v4, v6
	v_addc_co_u32_e32 v12, vcc, 0, v5, vcc
	s_waitcnt lgkmcnt(0)
	v_cmp_gt_i32_e32 vcc, v1, v2
	v_cndmask_b32_e64 v2, 0, 1, vcc
	v_add_co_u32_e32 v2, vcc, v11, v2
	v_addc_co_u32_e32 v11, vcc, 0, v12, vcc
	v_cmp_gt_i32_e32 vcc, v1, v3
	ds_read2_b32 v[4:5], v10 offset0:18 offset1:19
	ds_read2_b32 v[6:7], v10 offset0:20 offset1:21
	ds_read2_b32 v[8:9], v10 offset0:22 offset1:23
	v_cndmask_b32_e64 v3, 0, 1, vcc
	v_add_co_u32_e32 v2, vcc, v2, v3
	v_addc_co_u32_e32 v3, vcc, 0, v11, vcc
	s_waitcnt lgkmcnt(2)
	v_cmp_gt_i32_e32 vcc, v1, v4
	v_cndmask_b32_e64 v4, 0, 1, vcc
	v_add_co_u32_e32 v2, vcc, v2, v4
	v_addc_co_u32_e32 v3, vcc, 0, v3, vcc
	v_cmp_gt_i32_e32 vcc, v1, v5
	v_cndmask_b32_e64 v4, 0, 1, vcc
	v_add_co_u32_e32 v2, vcc, v2, v4
	v_addc_co_u32_e32 v3, vcc, 0, v3, vcc
	s_waitcnt lgkmcnt(1)
	v_cmp_gt_i32_e32 vcc, v1, v6
	v_cndmask_b32_e64 v4, 0, 1, vcc
	v_add_co_u32_e32 v2, vcc, v2, v4
	v_addc_co_u32_e32 v3, vcc, 0, v3, vcc
	v_cmp_gt_i32_e32 vcc, v1, v7
	v_cndmask_b32_e64 v4, 0, 1, vcc
	v_add_co_u32_e32 v2, vcc, v2, v4
	v_addc_co_u32_e32 v3, vcc, 0, v3, vcc
	s_waitcnt lgkmcnt(0)
	v_cmp_gt_i32_e32 vcc, v1, v8
	v_cndmask_b32_e64 v4, 0, 1, vcc
	;; [unrolled: 40-line block ×6, first 2 shown]
	v_add_co_u32_e32 v4, vcc, v2, v4
	v_addc_co_u32_e32 v5, vcc, 0, v3, vcc
	ds_read2_b32 v[2:3], v10 offset0:56 offset1:57
	v_cmp_gt_i32_e32 vcc, v1, v9
	v_cndmask_b32_e64 v6, 0, 1, vcc
	v_add_co_u32_e32 v11, vcc, v4, v6
	v_addc_co_u32_e32 v12, vcc, 0, v5, vcc
	s_waitcnt lgkmcnt(0)
	v_cmp_gt_i32_e32 vcc, v1, v2
	v_cndmask_b32_e64 v2, 0, 1, vcc
	v_add_co_u32_e32 v2, vcc, v11, v2
	ds_read2_b32 v[4:5], v10 offset0:58 offset1:59
	ds_read2_b32 v[6:7], v10 offset0:60 offset1:61
	;; [unrolled: 1-line block ×3, first 2 shown]
	v_addc_co_u32_e32 v10, vcc, 0, v12, vcc
	v_cmp_gt_i32_e32 vcc, v1, v3
	v_cndmask_b32_e64 v3, 0, 1, vcc
	v_add_co_u32_e32 v2, vcc, v2, v3
	v_addc_co_u32_e32 v3, vcc, 0, v10, vcc
	s_waitcnt lgkmcnt(2)
	v_cmp_gt_i32_e32 vcc, v1, v4
	v_cndmask_b32_e64 v4, 0, 1, vcc
	v_add_co_u32_e32 v2, vcc, v2, v4
	v_addc_co_u32_e32 v3, vcc, 0, v3, vcc
	v_cmp_gt_i32_e32 vcc, v1, v5
	v_cndmask_b32_e64 v4, 0, 1, vcc
	v_add_co_u32_e32 v2, vcc, v2, v4
	v_addc_co_u32_e32 v3, vcc, 0, v3, vcc
	s_waitcnt lgkmcnt(1)
	v_cmp_gt_i32_e32 vcc, v1, v6
	v_cndmask_b32_e64 v4, 0, 1, vcc
	v_add_co_u32_e32 v2, vcc, v2, v4
	;; [unrolled: 9-line block ×3, first 2 shown]
	v_addc_co_u32_e32 v3, vcc, 0, v3, vcc
	v_cmp_gt_i32_e32 vcc, v1, v9
	v_cndmask_b32_e64 v4, 0, 1, vcc
	v_add_co_u32_e32 v2, vcc, v2, v4
	v_addc_co_u32_e32 v3, vcc, 0, v3, vcc
	v_lshlrev_b64 v[4:5], 2, v[2:3]
	v_mov_b32_e32 v6, s15
	v_add_co_u32_e32 v4, vcc, s14, v4
	s_add_i32 s4, 0, 0x100
	v_add_u32_e32 v1, s22, v1
	v_addc_co_u32_e32 v5, vcc, v6, v5, vcc
	s_cmp_eq_u32 s33, 0
	global_store_dword v[4:5], v1, off
	v_lshlrev_b32_e32 v1, 2, v0
	v_lshlrev_b32_e32 v0, 6, v0
	v_add_u32_e32 v12, s4, v0
	s_cselect_b32 s4, 1, 2
	s_cselect_b32 s5, 2, 1
	v_add_u32_e32 v8, 0, v0
	v_or_b32_e32 v0, s4, v1
	v_or_b32_e32 v1, s5, v1
	v_lshl_add_u32 v0, v0, 4, 0
	v_lshl_add_u32 v4, v1, 4, 0
	v_lshlrev_b64 v[16:17], 6, v[2:3]
	ds_read2_b64 v[0:3], v0 offset0:32 offset1:33
	ds_read2_b64 v[4:7], v4 offset0:32 offset1:33
	;; [unrolled: 1-line block ×4, first 2 shown]
	v_add_co_u32_e32 v16, vcc, s6, v16
	v_addc_co_u32_e32 v17, vcc, v18, v17, vcc
	s_waitcnt lgkmcnt(1)
	global_store_dwordx4 v[16:17], v[8:11], off
	global_store_dwordx4 v[16:17], v[0:3], off offset:16
	global_store_dwordx4 v[16:17], v[4:7], off offset:32
	s_waitcnt lgkmcnt(0)
	global_store_dwordx4 v[16:17], v[12:15], off offset:48
.LBB230_124:
	s_endpgm
	.section	.rodata,"a",@progbits
	.p2align	6, 0x0
	.amdhsa_kernel _ZN9rocsparseL30bsrgemm_fill_block_per_row_2x2ILj256ELj16ELj64ELj137Eli21rocsparse_complex_numIdEEEv20rocsparse_direction_T4_S4_PKS4_S6_NS_24const_host_device_scalarIT5_EEPKT3_S6_PKS8_SC_S6_SE_S9_SC_S6_SE_SC_PS4_PS8_21rocsparse_index_base_SH_SH_SH_bbb
		.amdhsa_group_segment_fixed_size 0
		.amdhsa_private_segment_fixed_size 24
		.amdhsa_kernarg_size 180
		.amdhsa_user_sgpr_count 8
		.amdhsa_user_sgpr_private_segment_buffer 1
		.amdhsa_user_sgpr_dispatch_ptr 0
		.amdhsa_user_sgpr_queue_ptr 0
		.amdhsa_user_sgpr_kernarg_segment_ptr 1
		.amdhsa_user_sgpr_dispatch_id 0
		.amdhsa_user_sgpr_flat_scratch_init 1
		.amdhsa_user_sgpr_kernarg_preload_length 0
		.amdhsa_user_sgpr_kernarg_preload_offset 0
		.amdhsa_user_sgpr_private_segment_size 0
		.amdhsa_uses_dynamic_stack 0
		.amdhsa_system_sgpr_private_segment_wavefront_offset 1
		.amdhsa_system_sgpr_workgroup_id_x 1
		.amdhsa_system_sgpr_workgroup_id_y 0
		.amdhsa_system_sgpr_workgroup_id_z 0
		.amdhsa_system_sgpr_workgroup_info 0
		.amdhsa_system_vgpr_workitem_id 0
		.amdhsa_next_free_vgpr 64
		.amdhsa_next_free_sgpr 54
		.amdhsa_accum_offset 64
		.amdhsa_reserve_vcc 1
		.amdhsa_reserve_flat_scratch 1
		.amdhsa_float_round_mode_32 0
		.amdhsa_float_round_mode_16_64 0
		.amdhsa_float_denorm_mode_32 3
		.amdhsa_float_denorm_mode_16_64 3
		.amdhsa_dx10_clamp 1
		.amdhsa_ieee_mode 1
		.amdhsa_fp16_overflow 0
		.amdhsa_tg_split 0
		.amdhsa_exception_fp_ieee_invalid_op 0
		.amdhsa_exception_fp_denorm_src 0
		.amdhsa_exception_fp_ieee_div_zero 0
		.amdhsa_exception_fp_ieee_overflow 0
		.amdhsa_exception_fp_ieee_underflow 0
		.amdhsa_exception_fp_ieee_inexact 0
		.amdhsa_exception_int_div_zero 0
	.end_amdhsa_kernel
	.section	.text._ZN9rocsparseL30bsrgemm_fill_block_per_row_2x2ILj256ELj16ELj64ELj137Eli21rocsparse_complex_numIdEEEv20rocsparse_direction_T4_S4_PKS4_S6_NS_24const_host_device_scalarIT5_EEPKT3_S6_PKS8_SC_S6_SE_S9_SC_S6_SE_SC_PS4_PS8_21rocsparse_index_base_SH_SH_SH_bbb,"axG",@progbits,_ZN9rocsparseL30bsrgemm_fill_block_per_row_2x2ILj256ELj16ELj64ELj137Eli21rocsparse_complex_numIdEEEv20rocsparse_direction_T4_S4_PKS4_S6_NS_24const_host_device_scalarIT5_EEPKT3_S6_PKS8_SC_S6_SE_S9_SC_S6_SE_SC_PS4_PS8_21rocsparse_index_base_SH_SH_SH_bbb,comdat
.Lfunc_end230:
	.size	_ZN9rocsparseL30bsrgemm_fill_block_per_row_2x2ILj256ELj16ELj64ELj137Eli21rocsparse_complex_numIdEEEv20rocsparse_direction_T4_S4_PKS4_S6_NS_24const_host_device_scalarIT5_EEPKT3_S6_PKS8_SC_S6_SE_S9_SC_S6_SE_SC_PS4_PS8_21rocsparse_index_base_SH_SH_SH_bbb, .Lfunc_end230-_ZN9rocsparseL30bsrgemm_fill_block_per_row_2x2ILj256ELj16ELj64ELj137Eli21rocsparse_complex_numIdEEEv20rocsparse_direction_T4_S4_PKS4_S6_NS_24const_host_device_scalarIT5_EEPKT3_S6_PKS8_SC_S6_SE_S9_SC_S6_SE_SC_PS4_PS8_21rocsparse_index_base_SH_SH_SH_bbb
                                        ; -- End function
	.section	.AMDGPU.csdata,"",@progbits
; Kernel info:
; codeLenInByte = 5636
; NumSgprs: 60
; NumVgprs: 64
; NumAgprs: 0
; TotalNumVgprs: 64
; ScratchSize: 24
; MemoryBound: 0
; FloatMode: 240
; IeeeMode: 1
; LDSByteSize: 0 bytes/workgroup (compile time only)
; SGPRBlocks: 7
; VGPRBlocks: 7
; NumSGPRsForWavesPerEU: 60
; NumVGPRsForWavesPerEU: 64
; AccumOffset: 64
; Occupancy: 8
; WaveLimiterHint : 1
; COMPUTE_PGM_RSRC2:SCRATCH_EN: 1
; COMPUTE_PGM_RSRC2:USER_SGPR: 8
; COMPUTE_PGM_RSRC2:TRAP_HANDLER: 0
; COMPUTE_PGM_RSRC2:TGID_X_EN: 1
; COMPUTE_PGM_RSRC2:TGID_Y_EN: 0
; COMPUTE_PGM_RSRC2:TGID_Z_EN: 0
; COMPUTE_PGM_RSRC2:TIDIG_COMP_CNT: 0
; COMPUTE_PGM_RSRC3_GFX90A:ACCUM_OFFSET: 15
; COMPUTE_PGM_RSRC3_GFX90A:TG_SPLIT: 0
	.section	.text._ZN9rocsparseL30bsrgemm_fill_block_per_row_2x2ILj256ELj16ELj128ELj137Eli21rocsparse_complex_numIdEEEv20rocsparse_direction_T4_S4_PKS4_S6_NS_24const_host_device_scalarIT5_EEPKT3_S6_PKS8_SC_S6_SE_S9_SC_S6_SE_SC_PS4_PS8_21rocsparse_index_base_SH_SH_SH_bbb,"axG",@progbits,_ZN9rocsparseL30bsrgemm_fill_block_per_row_2x2ILj256ELj16ELj128ELj137Eli21rocsparse_complex_numIdEEEv20rocsparse_direction_T4_S4_PKS4_S6_NS_24const_host_device_scalarIT5_EEPKT3_S6_PKS8_SC_S6_SE_S9_SC_S6_SE_SC_PS4_PS8_21rocsparse_index_base_SH_SH_SH_bbb,comdat
	.globl	_ZN9rocsparseL30bsrgemm_fill_block_per_row_2x2ILj256ELj16ELj128ELj137Eli21rocsparse_complex_numIdEEEv20rocsparse_direction_T4_S4_PKS4_S6_NS_24const_host_device_scalarIT5_EEPKT3_S6_PKS8_SC_S6_SE_S9_SC_S6_SE_SC_PS4_PS8_21rocsparse_index_base_SH_SH_SH_bbb ; -- Begin function _ZN9rocsparseL30bsrgemm_fill_block_per_row_2x2ILj256ELj16ELj128ELj137Eli21rocsparse_complex_numIdEEEv20rocsparse_direction_T4_S4_PKS4_S6_NS_24const_host_device_scalarIT5_EEPKT3_S6_PKS8_SC_S6_SE_S9_SC_S6_SE_SC_PS4_PS8_21rocsparse_index_base_SH_SH_SH_bbb
	.p2align	8
	.type	_ZN9rocsparseL30bsrgemm_fill_block_per_row_2x2ILj256ELj16ELj128ELj137Eli21rocsparse_complex_numIdEEEv20rocsparse_direction_T4_S4_PKS4_S6_NS_24const_host_device_scalarIT5_EEPKT3_S6_PKS8_SC_S6_SE_S9_SC_S6_SE_SC_PS4_PS8_21rocsparse_index_base_SH_SH_SH_bbb,@function
_ZN9rocsparseL30bsrgemm_fill_block_per_row_2x2ILj256ELj16ELj128ELj137Eli21rocsparse_complex_numIdEEEv20rocsparse_direction_T4_S4_PKS4_S6_NS_24const_host_device_scalarIT5_EEPKT3_S6_PKS8_SC_S6_SE_S9_SC_S6_SE_SC_PS4_PS8_21rocsparse_index_base_SH_SH_SH_bbb: ; @_ZN9rocsparseL30bsrgemm_fill_block_per_row_2x2ILj256ELj16ELj128ELj137Eli21rocsparse_complex_numIdEEEv20rocsparse_direction_T4_S4_PKS4_S6_NS_24const_host_device_scalarIT5_EEPKT3_S6_PKS8_SC_S6_SE_S9_SC_S6_SE_SC_PS4_PS8_21rocsparse_index_base_SH_SH_SH_bbb
; %bb.0:
	s_add_u32 flat_scratch_lo, s6, s9
	s_addc_u32 flat_scratch_hi, s7, 0
	s_add_u32 s0, s0, s9
	s_load_dword s9, s[4:5], 0xb0
	s_load_dwordx4 s[16:19], s[4:5], 0x20
	s_load_dwordx4 s[12:15], s[4:5], 0x60
	s_addc_u32 s1, s1, 0
	v_pk_mov_b32 v[18:19], 0, 0
	s_waitcnt lgkmcnt(0)
	s_bitcmp1_b32 s9, 0
	v_mov_b32_e32 v1, s17
	s_cselect_b64 s[48:49], -1, 0
	s_bitcmp1_b32 s9, 16
	buffer_store_dword v1, off, s[0:3], 0 offset:4
	v_mov_b32_e32 v1, s16
	s_cselect_b64 s[6:7], -1, 0
	buffer_store_dword v1, off, s[0:3], 0
	v_mov_b32_e32 v1, s13
	buffer_store_dword v1, off, s[0:3], 0 offset:12
	v_mov_b32_e32 v1, s12
	s_xor_b64 s[10:11], s[6:7], -1
	buffer_store_dword v1, off, s[0:3], 0 offset:8
	v_cndmask_b32_e64 v1, 0, 1, s[10:11]
	s_bitcmp0_b32 s9, 0
	v_cmp_ne_u32_e64 s[10:11], 1, v1
	v_pk_mov_b32 v[22:23], v[18:19], v[18:19] op_sel:[0,1]
	v_pk_mov_b32 v[24:25], v[18:19], v[18:19] op_sel:[0,1]
	s_cbranch_scc1 .LBB231_3
; %bb.1:
	s_mov_b64 s[20:21], src_private_base
	s_and_b64 s[22:23], s[6:7], exec
	s_cselect_b32 s20, s21, s17
	v_mov_b32_e32 v1, 0
	v_mov_b32_e32 v2, s16
	v_cndmask_b32_e64 v2, v2, v1, s[6:7]
	v_mov_b32_e32 v3, s20
	flat_load_dwordx2 v[22:23], v[2:3]
	s_and_b64 vcc, exec, s[10:11]
	v_pk_mov_b32 v[24:25], s[18:19], s[18:19] op_sel:[0,1]
	s_cbranch_vccnz .LBB231_3
; %bb.2:
	v_pk_mov_b32 v[2:3], s[16:17], s[16:17] op_sel:[0,1]
	flat_load_dwordx2 v[24:25], v[2:3] offset:8
.LBB231_3:
	s_bitcmp1_b32 s9, 8
	s_cselect_b64 s[34:35], -1, 0
	s_bfe_u32 s9, s9, 0x10008
	s_cmp_eq_u32 s9, 0
	v_pk_mov_b32 v[20:21], v[18:19], v[18:19] op_sel:[0,1]
	s_cbranch_scc1 .LBB231_6
; %bb.4:
	s_mov_b64 s[16:17], src_private_base
	s_and_b64 s[18:19], s[6:7], exec
	s_cselect_b32 s9, s17, s13
	v_mov_b32_e32 v1, 8
	v_mov_b32_e32 v2, s12
	v_cndmask_b32_e64 v2, v2, v1, s[6:7]
	v_mov_b32_e32 v3, s9
	flat_load_dwordx2 v[20:21], v[2:3]
	s_and_b64 vcc, exec, s[10:11]
	v_pk_mov_b32 v[18:19], s[14:15], s[14:15] op_sel:[0,1]
	s_cbranch_vccnz .LBB231_6
; %bb.5:
	v_pk_mov_b32 v[2:3], s[12:13], s[12:13] op_sel:[0,1]
	flat_load_dwordx2 v[18:19], v[2:3] offset:8
.LBB231_6:
	s_load_dwordx4 s[36:39], s[4:5], 0xa0
	s_load_dword s60, s[4:5], 0x8
	s_movk_i32 s6, 0x80
	v_cmp_gt_u32_e64 s[6:7], s6, v0
	v_lshl_add_u32 v1, v0, 2, 0
	s_and_saveexec_b64 s[10:11], s[6:7]
	s_cbranch_execz .LBB231_8
; %bb.7:
	s_waitcnt lgkmcnt(0)
	v_mov_b32_e32 v2, s60
	ds_write_b32 v1, v2
.LBB231_8:
	s_or_b64 exec, exec, s[10:11]
	s_load_dwordx4 s[28:31], s[4:5], 0x90
	s_load_dwordx8 s[12:19], s[4:5], 0x70
	s_load_dwordx4 s[40:43], s[4:5], 0x50
	s_load_dwordx4 s[44:47], s[4:5], 0x10
	s_load_dwordx8 s[20:27], s[4:5], 0x30
	s_movk_i32 s9, 0x200
	v_cmp_gt_u32_e32 vcc, s9, v0
	s_and_saveexec_b64 s[10:11], vcc
	s_cbranch_execz .LBB231_11
; %bb.9:
	s_mov_b32 s52, 0
	v_lshl_add_u32 v2, v0, 4, 0
	s_mov_b32 s53, s52
	s_mov_b32 s54, s52
	;; [unrolled: 1-line block ×3, first 2 shown]
	v_add_u32_e32 v6, 0x200, v2
	v_or_b32_e32 v7, 0xffffff00, v0
	s_mov_b64 s[50:51], 0
	v_pk_mov_b32 v[2:3], s[52:53], s[52:53] op_sel:[0,1]
	v_pk_mov_b32 v[4:5], s[54:55], s[54:55] op_sel:[0,1]
.LBB231_10:                             ; =>This Inner Loop Header: Depth=1
	v_add_co_u32_e32 v7, vcc, 0x100, v7
	s_xor_b64 s[52:53], vcc, -1
	s_and_b64 s[52:53], exec, s[52:53]
	ds_write2_b64 v6, v[2:3], v[4:5] offset1:1
	s_or_b64 s[50:51], s[52:53], s[50:51]
	v_add_u32_e32 v6, 0x1000, v6
	s_andn2_b64 exec, exec, s[50:51]
	s_cbranch_execnz .LBB231_10
.LBB231_11:
	s_or_b64 exec, exec, s[10:11]
	s_waitcnt lgkmcnt(0)
	s_cmp_lg_u64 s[46:47], 0
	s_barrier
	s_cbranch_scc0 .LBB231_13
; %bb.12:
	s_load_dword s9, s[44:45], 0x0
	s_waitcnt lgkmcnt(0)
	s_add_i32 s8, s9, s8
	s_mov_b32 s9, 0
	s_lshl_b64 s[8:9], s[8:9], 2
	s_add_u32 s8, s46, s8
	s_addc_u32 s9, s47, s9
	s_load_dword s8, s[8:9], 0x0
.LBB231_13:
	s_nop 0
	s_load_dword s33, s[4:5], 0x0
	s_andn2_b64 vcc, exec, s[48:49]
	s_waitcnt lgkmcnt(0)
	s_ashr_i32 s9, s8, 31
	s_cbranch_vccnz .LBB231_69
; %bb.14:
	s_lshl_b64 s[4:5], s[8:9], 3
	s_add_u32 s4, s20, s4
	s_addc_u32 s5, s21, s5
	s_load_dwordx4 s[48:51], s[4:5], 0x0
	v_lshrrev_b32_e32 v2, 4, v0
	v_subrev_co_u32_e32 v2, vcc, s36, v2
	v_subb_co_u32_e64 v3, s[10:11], 0, 0, vcc
	s_waitcnt lgkmcnt(0)
	s_sub_u32 s4, s50, s36
	v_mov_b32_e32 v4, s49
	v_add_co_u32_e32 v26, vcc, s48, v2
	s_subb_u32 s5, s51, 0
	v_addc_co_u32_e32 v27, vcc, v4, v3, vcc
	s_mov_b32 s44, 0
	v_cmp_gt_i64_e32 vcc, s[4:5], v[26:27]
	s_and_saveexec_b64 s[10:11], vcc
	s_cbranch_execz .LBB231_68
; %bb.15:
	v_and_b32_e32 v2, 15, v0
	v_subrev_co_u32_e32 v53, vcc, s37, v2
	s_cmp_eq_u32 s33, 0
	v_subb_co_u32_e64 v54, s[20:21], 0, 0, vcc
	s_mov_b32 s61, s37
	s_cselect_b32 s62, 1, 2
	s_cselect_b32 s63, 2, 1
	s_mov_b64 s[20:21], 0
	v_mov_b32_e32 v55, s23
	v_mov_b32_e32 v56, s27
	;; [unrolled: 1-line block ×3, first 2 shown]
	s_branch .LBB231_17
.LBB231_16:                             ;   in Loop: Header=BB231_17 Depth=1
	s_or_b64 exec, exec, s[44:45]
	v_add_co_u32_e32 v26, vcc, 16, v26
	v_addc_co_u32_e32 v27, vcc, 0, v27, vcc
	v_cmp_le_i64_e32 vcc, s[4:5], v[26:27]
	s_or_b64 s[20:21], vcc, s[20:21]
	s_andn2_b64 exec, exec, s[20:21]
	s_cbranch_execz .LBB231_68
.LBB231_17:                             ; =>This Loop Header: Depth=1
                                        ;     Child Loop BB231_20 Depth 2
                                        ;       Child Loop BB231_22 Depth 3
                                        ;       Child Loop BB231_34 Depth 3
	;; [unrolled: 1-line block ×4, first 2 shown]
	v_lshlrev_b64 v[2:3], 2, v[26:27]
	v_add_co_u32_e32 v4, vcc, s22, v2
	v_addc_co_u32_e32 v5, vcc, v55, v3, vcc
	global_load_dword v4, v[4:5], off
	s_waitcnt vmcnt(0)
	v_subrev_u32_e32 v4, s36, v4
	v_ashrrev_i32_e32 v5, 31, v4
	v_lshlrev_b64 v[4:5], 3, v[4:5]
	v_add_co_u32_e32 v4, vcc, s26, v4
	v_addc_co_u32_e32 v5, vcc, v56, v5, vcc
	global_load_dwordx4 v[4:7], v[4:5], off
	s_waitcnt vmcnt(0)
	v_subrev_co_u32_e32 v28, vcc, s61, v6
	v_subb_co_u32_e32 v29, vcc, v7, v57, vcc
	v_add_co_u32_e32 v30, vcc, v4, v53
	v_addc_co_u32_e32 v31, vcc, v5, v54, vcc
	v_cmp_lt_i64_e32 vcc, v[30:31], v[28:29]
	s_and_saveexec_b64 s[44:45], vcc
	s_cbranch_execz .LBB231_16
; %bb.18:                               ;   in Loop: Header=BB231_17 Depth=1
	v_lshlrev_b64 v[4:5], 6, v[26:27]
	v_mov_b32_e32 v16, s25
	v_add_co_u32_e32 v12, vcc, s24, v4
	v_addc_co_u32_e32 v13, vcc, v16, v5, vcc
	global_load_dwordx4 v[4:7], v[12:13], off
	global_load_dwordx4 v[8:11], v[12:13], off offset:48
	v_or_b32_e32 v13, 0, v3
	v_or_b32_e32 v12, s62, v2
	v_lshlrev_b64 v[12:13], 4, v[12:13]
	v_add_co_u32_e32 v12, vcc, s24, v12
	v_or_b32_e32 v3, 0, v3
	v_or_b32_e32 v2, s63, v2
	v_addc_co_u32_e32 v13, vcc, v16, v13, vcc
	v_lshlrev_b64 v[2:3], 4, v[2:3]
	v_add_co_u32_e32 v2, vcc, s24, v2
	v_addc_co_u32_e32 v3, vcc, v16, v3, vcc
	global_load_dwordx4 v[12:15], v[12:13], off
	s_mov_b64 s[46:47], 0
	global_load_dwordx4 v[48:51], v[2:3], off
	s_waitcnt vmcnt(3)
	v_mul_f64 v[32:33], v[6:7], -v[24:25]
	v_mul_f64 v[34:35], v[22:23], v[6:7]
	s_waitcnt vmcnt(2)
	v_mul_f64 v[36:37], v[10:11], -v[24:25]
	v_mul_f64 v[38:39], v[22:23], v[10:11]
	v_fmac_f64_e32 v[32:33], v[22:23], v[4:5]
	v_fmac_f64_e32 v[34:35], v[24:25], v[4:5]
	;; [unrolled: 1-line block ×4, first 2 shown]
	s_waitcnt vmcnt(1)
	v_mul_f64 v[40:41], v[14:15], -v[24:25]
	v_mul_f64 v[42:43], v[22:23], v[14:15]
	s_waitcnt vmcnt(0)
	v_mul_f64 v[44:45], v[50:51], -v[24:25]
	v_mul_f64 v[46:47], v[22:23], v[50:51]
	v_fmac_f64_e32 v[40:41], v[22:23], v[12:13]
	v_fmac_f64_e32 v[42:43], v[24:25], v[12:13]
	;; [unrolled: 1-line block ×4, first 2 shown]
	s_branch .LBB231_20
.LBB231_19:                             ;   in Loop: Header=BB231_20 Depth=2
	s_or_b64 exec, exec, s[48:49]
	v_add_co_u32_e32 v30, vcc, 16, v30
	v_addc_co_u32_e32 v31, vcc, 0, v31, vcc
	v_cmp_ge_i64_e32 vcc, v[30:31], v[28:29]
	s_or_b64 s[46:47], vcc, s[46:47]
	s_andn2_b64 exec, exec, s[46:47]
	s_cbranch_execz .LBB231_16
.LBB231_20:                             ;   Parent Loop BB231_17 Depth=1
                                        ; =>  This Loop Header: Depth=2
                                        ;       Child Loop BB231_22 Depth 3
                                        ;       Child Loop BB231_34 Depth 3
	;; [unrolled: 1-line block ×4, first 2 shown]
	v_lshlrev_b64 v[2:3], 2, v[30:31]
	v_mov_b32_e32 v5, s41
	v_add_co_u32_e32 v4, vcc, s40, v2
	v_addc_co_u32_e32 v5, vcc, v5, v3, vcc
	global_load_dword v48, v[4:5], off
	v_or_b32_e32 v5, 0, v3
	v_or_b32_e32 v4, s62, v2
	;; [unrolled: 1-line block ×4, first 2 shown]
	v_lshlrev_b64 v[2:3], 4, v[2:3]
	v_mov_b32_e32 v8, s43
	v_add_co_u32_e32 v2, vcc, s42, v2
	v_lshlrev_b64 v[6:7], 6, v[30:31]
	v_addc_co_u32_e32 v3, vcc, v8, v3, vcc
	v_add_co_u32_e32 v6, vcc, s42, v6
	global_load_dwordx4 v[14:17], v[2:3], off
	v_addc_co_u32_e32 v7, vcc, v8, v7, vcc
	global_load_dwordx4 v[10:13], v[6:7], off
	v_lshlrev_b64 v[2:3], 4, v[4:5]
	v_add_co_u32_e32 v2, vcc, s42, v2
	v_addc_co_u32_e32 v3, vcc, v8, v3, vcc
	global_load_dwordx4 v[2:5], v[2:3], off
	s_nop 0
	global_load_dwordx4 v[6:9], v[6:7], off offset:48
	s_mov_b64 s[48:49], 0
	s_waitcnt vmcnt(4)
	v_subrev_u32_e32 v58, s37, v48
	v_lshl_add_u32 v52, v58, 3, v58
	v_and_b32_e32 v59, 0x7f, v52
	v_mov_b32_e32 v60, v59
	s_waitcnt vmcnt(3)
	v_mul_f64 v[50:51], v[16:17], -v[42:43]
	v_mul_f64 v[48:49], v[40:41], v[16:17]
	v_fmac_f64_e32 v[50:51], v[40:41], v[14:15]
	v_fmac_f64_e32 v[48:49], v[42:43], v[14:15]
	s_waitcnt vmcnt(2)
	v_fmac_f64_e32 v[50:51], v[32:33], v[10:11]
	v_fmac_f64_e32 v[48:49], v[34:35], v[10:11]
	v_fma_f64 v[50:51], -v[34:35], v[12:13], v[50:51]
	v_fmac_f64_e32 v[48:49], v[32:33], v[12:13]
	s_branch .LBB231_22
.LBB231_21:                             ;   in Loop: Header=BB231_22 Depth=3
	s_or_b64 exec, exec, s[50:51]
	s_xor_b64 s[50:51], s[52:53], -1
	s_and_b64 s[50:51], exec, s[50:51]
	s_or_b64 s[48:49], s[50:51], s[48:49]
	s_andn2_b64 exec, exec, s[48:49]
	s_cbranch_execz .LBB231_32
.LBB231_22:                             ;   Parent Loop BB231_17 Depth=1
                                        ;     Parent Loop BB231_20 Depth=2
                                        ; =>    This Inner Loop Header: Depth=3
	v_lshl_add_u32 v52, v60, 2, 0
	ds_read_b32 v61, v52
                                        ; implicit-def: $sgpr52_sgpr53
	s_waitcnt lgkmcnt(0)
	v_cmp_ne_u32_e32 vcc, v61, v58
	s_and_saveexec_b64 s[50:51], vcc
	s_xor_b64 s[50:51], exec, s[50:51]
	s_cbranch_execz .LBB231_30
; %bb.23:                               ;   in Loop: Header=BB231_22 Depth=3
	v_cmp_ne_u32_e32 vcc, s60, v61
                                        ; implicit-def: $sgpr52_sgpr53
	s_and_saveexec_b64 s[54:55], vcc
	s_xor_b64 s[54:55], exec, s[54:55]
; %bb.24:                               ;   in Loop: Header=BB231_22 Depth=3
	v_add_u32_e32 v52, 1, v60
	v_and_b32_e32 v60, 0x7f, v52
	s_mov_b64 s[52:53], -1
                                        ; implicit-def: $vgpr52
; %bb.25:                               ;   in Loop: Header=BB231_22 Depth=3
	s_andn2_saveexec_b64 s[54:55], s[54:55]
	s_cbranch_execz .LBB231_29
; %bb.26:                               ;   in Loop: Header=BB231_22 Depth=3
	v_mov_b32_e32 v61, s60
	ds_cmpst_rtn_b32 v61, v52, v61, v58
	s_mov_b64 s[58:59], -1
	s_waitcnt lgkmcnt(0)
	v_cmp_eq_u32_e32 vcc, s60, v61
	s_and_saveexec_b64 s[56:57], vcc
	s_cbranch_execz .LBB231_28
; %bb.27:                               ;   in Loop: Header=BB231_22 Depth=3
	v_mad_u64_u32 v[62:63], s[58:59], v60, 60, v[52:53]
	ds_add_f64 v62, v[50:51] offset:512
	ds_add_f64 v62, v[48:49] offset:520
	s_xor_b64 s[58:59], exec, -1
.LBB231_28:                             ;   in Loop: Header=BB231_22 Depth=3
	s_or_b64 exec, exec, s[56:57]
	s_andn2_b64 s[52:53], s[52:53], exec
	s_and_b64 s[56:57], s[58:59], exec
	s_or_b64 s[52:53], s[52:53], s[56:57]
.LBB231_29:                             ;   in Loop: Header=BB231_22 Depth=3
	s_or_b64 exec, exec, s[54:55]
	s_and_b64 s[52:53], s[52:53], exec
                                        ; implicit-def: $vgpr52
.LBB231_30:                             ;   in Loop: Header=BB231_22 Depth=3
	s_andn2_saveexec_b64 s[50:51], s[50:51]
	s_cbranch_execz .LBB231_21
; %bb.31:                               ;   in Loop: Header=BB231_22 Depth=3
	v_mad_u64_u32 v[62:63], s[54:55], v60, 60, v[52:53]
	ds_add_f64 v62, v[50:51] offset:512
	ds_add_f64 v62, v[48:49] offset:520
	s_andn2_b64 s[52:53], s[52:53], exec
	s_branch .LBB231_21
.LBB231_32:                             ;   in Loop: Header=BB231_20 Depth=2
	s_or_b64 exec, exec, s[48:49]
	s_waitcnt vmcnt(0)
	v_mul_f64 v[50:51], v[8:9], -v[42:43]
	v_mul_f64 v[48:49], v[40:41], v[8:9]
	v_fmac_f64_e32 v[50:51], v[40:41], v[6:7]
	v_fmac_f64_e32 v[48:49], v[42:43], v[6:7]
	v_fmac_f64_e32 v[50:51], v[32:33], v[2:3]
	v_fmac_f64_e32 v[48:49], v[34:35], v[2:3]
	v_fma_f64 v[50:51], -v[34:35], v[4:5], v[50:51]
	v_fmac_f64_e32 v[48:49], v[32:33], v[4:5]
	s_mov_b64 s[48:49], 0
	v_mov_b32_e32 v60, v59
	s_branch .LBB231_34
.LBB231_33:                             ;   in Loop: Header=BB231_34 Depth=3
	s_or_b64 exec, exec, s[50:51]
	s_xor_b64 s[50:51], s[52:53], -1
	s_and_b64 s[50:51], exec, s[50:51]
	s_or_b64 s[48:49], s[50:51], s[48:49]
	s_andn2_b64 exec, exec, s[48:49]
	s_cbranch_execz .LBB231_44
.LBB231_34:                             ;   Parent Loop BB231_17 Depth=1
                                        ;     Parent Loop BB231_20 Depth=2
                                        ; =>    This Inner Loop Header: Depth=3
	v_lshl_add_u32 v52, v60, 2, 0
	ds_read_b32 v61, v52
                                        ; implicit-def: $sgpr52_sgpr53
	s_waitcnt lgkmcnt(0)
	v_cmp_ne_u32_e32 vcc, v61, v58
	s_and_saveexec_b64 s[50:51], vcc
	s_xor_b64 s[50:51], exec, s[50:51]
	s_cbranch_execz .LBB231_42
; %bb.35:                               ;   in Loop: Header=BB231_34 Depth=3
	v_cmp_ne_u32_e32 vcc, s60, v61
                                        ; implicit-def: $sgpr52_sgpr53
	s_and_saveexec_b64 s[54:55], vcc
	s_xor_b64 s[54:55], exec, s[54:55]
; %bb.36:                               ;   in Loop: Header=BB231_34 Depth=3
	v_add_u32_e32 v52, 1, v60
	v_and_b32_e32 v60, 0x7f, v52
	s_mov_b64 s[52:53], -1
                                        ; implicit-def: $vgpr52
; %bb.37:                               ;   in Loop: Header=BB231_34 Depth=3
	s_andn2_saveexec_b64 s[54:55], s[54:55]
	s_cbranch_execz .LBB231_41
; %bb.38:                               ;   in Loop: Header=BB231_34 Depth=3
	v_mov_b32_e32 v61, s60
	ds_cmpst_rtn_b32 v61, v52, v61, v58
	s_mov_b64 s[58:59], -1
	s_waitcnt lgkmcnt(0)
	v_cmp_eq_u32_e32 vcc, s60, v61
	s_and_saveexec_b64 s[56:57], vcc
	s_cbranch_execz .LBB231_40
; %bb.39:                               ;   in Loop: Header=BB231_34 Depth=3
	v_mad_u64_u32 v[62:63], s[58:59], v60, 60, v[52:53]
	ds_add_f64 v62, v[50:51] offset:528
	ds_add_f64 v62, v[48:49] offset:536
	s_xor_b64 s[58:59], exec, -1
.LBB231_40:                             ;   in Loop: Header=BB231_34 Depth=3
	s_or_b64 exec, exec, s[56:57]
	s_andn2_b64 s[52:53], s[52:53], exec
	s_and_b64 s[56:57], s[58:59], exec
	s_or_b64 s[52:53], s[52:53], s[56:57]
.LBB231_41:                             ;   in Loop: Header=BB231_34 Depth=3
	s_or_b64 exec, exec, s[54:55]
	s_and_b64 s[52:53], s[52:53], exec
                                        ; implicit-def: $vgpr52
.LBB231_42:                             ;   in Loop: Header=BB231_34 Depth=3
	s_andn2_saveexec_b64 s[50:51], s[50:51]
	s_cbranch_execz .LBB231_33
; %bb.43:                               ;   in Loop: Header=BB231_34 Depth=3
	v_mad_u64_u32 v[62:63], s[54:55], v60, 60, v[52:53]
	ds_add_f64 v62, v[50:51] offset:528
	ds_add_f64 v62, v[48:49] offset:536
	s_andn2_b64 s[52:53], s[52:53], exec
	s_branch .LBB231_33
.LBB231_44:                             ;   in Loop: Header=BB231_20 Depth=2
	s_or_b64 exec, exec, s[48:49]
	v_mul_f64 v[48:49], v[16:17], -v[38:39]
	v_mul_f64 v[16:17], v[36:37], v[16:17]
	v_fmac_f64_e32 v[48:49], v[36:37], v[14:15]
	v_fmac_f64_e32 v[16:17], v[38:39], v[14:15]
	;; [unrolled: 1-line block ×4, first 2 shown]
	v_fma_f64 v[14:15], -v[46:47], v[12:13], v[48:49]
	v_fmac_f64_e32 v[16:17], v[44:45], v[12:13]
	s_mov_b64 s[48:49], 0
	v_mov_b32_e32 v11, v59
	s_branch .LBB231_46
.LBB231_45:                             ;   in Loop: Header=BB231_46 Depth=3
	s_or_b64 exec, exec, s[50:51]
	s_xor_b64 s[50:51], s[52:53], -1
	s_and_b64 s[50:51], exec, s[50:51]
	s_or_b64 s[48:49], s[50:51], s[48:49]
	s_andn2_b64 exec, exec, s[48:49]
	s_cbranch_execz .LBB231_56
.LBB231_46:                             ;   Parent Loop BB231_17 Depth=1
                                        ;     Parent Loop BB231_20 Depth=2
                                        ; =>    This Inner Loop Header: Depth=3
	v_lshl_add_u32 v10, v11, 2, 0
	ds_read_b32 v12, v10
                                        ; implicit-def: $sgpr52_sgpr53
	s_waitcnt lgkmcnt(0)
	v_cmp_ne_u32_e32 vcc, v12, v58
	s_and_saveexec_b64 s[50:51], vcc
	s_xor_b64 s[50:51], exec, s[50:51]
	s_cbranch_execz .LBB231_54
; %bb.47:                               ;   in Loop: Header=BB231_46 Depth=3
	v_cmp_ne_u32_e32 vcc, s60, v12
                                        ; implicit-def: $sgpr52_sgpr53
	s_and_saveexec_b64 s[54:55], vcc
	s_xor_b64 s[54:55], exec, s[54:55]
; %bb.48:                               ;   in Loop: Header=BB231_46 Depth=3
	v_add_u32_e32 v10, 1, v11
	v_and_b32_e32 v11, 0x7f, v10
	s_mov_b64 s[52:53], -1
                                        ; implicit-def: $vgpr10
; %bb.49:                               ;   in Loop: Header=BB231_46 Depth=3
	s_andn2_saveexec_b64 s[54:55], s[54:55]
	s_cbranch_execz .LBB231_53
; %bb.50:                               ;   in Loop: Header=BB231_46 Depth=3
	v_mov_b32_e32 v12, s60
	ds_cmpst_rtn_b32 v12, v10, v12, v58
	s_mov_b64 s[58:59], -1
	s_waitcnt lgkmcnt(0)
	v_cmp_eq_u32_e32 vcc, s60, v12
	s_and_saveexec_b64 s[56:57], vcc
	s_cbranch_execz .LBB231_52
; %bb.51:                               ;   in Loop: Header=BB231_46 Depth=3
	v_mad_u64_u32 v[12:13], s[58:59], v11, 60, v[10:11]
	ds_add_f64 v12, v[14:15] offset:544
	ds_add_f64 v12, v[16:17] offset:552
	s_xor_b64 s[58:59], exec, -1
.LBB231_52:                             ;   in Loop: Header=BB231_46 Depth=3
	s_or_b64 exec, exec, s[56:57]
	s_andn2_b64 s[52:53], s[52:53], exec
	s_and_b64 s[56:57], s[58:59], exec
	s_or_b64 s[52:53], s[52:53], s[56:57]
.LBB231_53:                             ;   in Loop: Header=BB231_46 Depth=3
	s_or_b64 exec, exec, s[54:55]
	s_and_b64 s[52:53], s[52:53], exec
                                        ; implicit-def: $vgpr10
.LBB231_54:                             ;   in Loop: Header=BB231_46 Depth=3
	s_andn2_saveexec_b64 s[50:51], s[50:51]
	s_cbranch_execz .LBB231_45
; %bb.55:                               ;   in Loop: Header=BB231_46 Depth=3
	v_mad_u64_u32 v[12:13], s[54:55], v11, 60, v[10:11]
	ds_add_f64 v12, v[14:15] offset:544
	ds_add_f64 v12, v[16:17] offset:552
	s_andn2_b64 s[52:53], s[52:53], exec
	s_branch .LBB231_45
.LBB231_56:                             ;   in Loop: Header=BB231_20 Depth=2
	s_or_b64 exec, exec, s[48:49]
	v_mul_f64 v[10:11], v[8:9], -v[38:39]
	v_mul_f64 v[8:9], v[36:37], v[8:9]
	v_fmac_f64_e32 v[10:11], v[36:37], v[6:7]
	v_fmac_f64_e32 v[8:9], v[38:39], v[6:7]
	;; [unrolled: 1-line block ×4, first 2 shown]
	v_fma_f64 v[6:7], -v[46:47], v[4:5], v[10:11]
	v_fmac_f64_e32 v[8:9], v[44:45], v[4:5]
	s_mov_b64 s[48:49], 0
	s_branch .LBB231_58
.LBB231_57:                             ;   in Loop: Header=BB231_58 Depth=3
	s_or_b64 exec, exec, s[50:51]
	s_xor_b64 s[50:51], s[52:53], -1
	s_and_b64 s[50:51], exec, s[50:51]
	s_or_b64 s[48:49], s[50:51], s[48:49]
	s_andn2_b64 exec, exec, s[48:49]
	s_cbranch_execz .LBB231_19
.LBB231_58:                             ;   Parent Loop BB231_17 Depth=1
                                        ;     Parent Loop BB231_20 Depth=2
                                        ; =>    This Inner Loop Header: Depth=3
	v_lshl_add_u32 v2, v59, 2, 0
	ds_read_b32 v3, v2
                                        ; implicit-def: $sgpr52_sgpr53
	s_waitcnt lgkmcnt(0)
	v_cmp_ne_u32_e32 vcc, v3, v58
	s_and_saveexec_b64 s[50:51], vcc
	s_xor_b64 s[50:51], exec, s[50:51]
	s_cbranch_execz .LBB231_66
; %bb.59:                               ;   in Loop: Header=BB231_58 Depth=3
	v_cmp_ne_u32_e32 vcc, s60, v3
                                        ; implicit-def: $sgpr52_sgpr53
	s_and_saveexec_b64 s[54:55], vcc
	s_xor_b64 s[54:55], exec, s[54:55]
; %bb.60:                               ;   in Loop: Header=BB231_58 Depth=3
	v_add_u32_e32 v2, 1, v59
	v_and_b32_e32 v59, 0x7f, v2
	s_mov_b64 s[52:53], -1
                                        ; implicit-def: $vgpr2
; %bb.61:                               ;   in Loop: Header=BB231_58 Depth=3
	s_andn2_saveexec_b64 s[54:55], s[54:55]
	s_cbranch_execz .LBB231_65
; %bb.62:                               ;   in Loop: Header=BB231_58 Depth=3
	v_mov_b32_e32 v3, s60
	ds_cmpst_rtn_b32 v3, v2, v3, v58
	s_mov_b64 s[58:59], -1
	s_waitcnt lgkmcnt(0)
	v_cmp_eq_u32_e32 vcc, s60, v3
	s_and_saveexec_b64 s[56:57], vcc
	s_cbranch_execz .LBB231_64
; %bb.63:                               ;   in Loop: Header=BB231_58 Depth=3
	v_mad_u64_u32 v[2:3], s[58:59], v59, 60, v[2:3]
	ds_add_f64 v2, v[6:7] offset:560
	ds_add_f64 v2, v[8:9] offset:568
	s_xor_b64 s[58:59], exec, -1
.LBB231_64:                             ;   in Loop: Header=BB231_58 Depth=3
	s_or_b64 exec, exec, s[56:57]
	s_andn2_b64 s[52:53], s[52:53], exec
	s_and_b64 s[56:57], s[58:59], exec
	s_or_b64 s[52:53], s[52:53], s[56:57]
.LBB231_65:                             ;   in Loop: Header=BB231_58 Depth=3
	s_or_b64 exec, exec, s[54:55]
	s_and_b64 s[52:53], s[52:53], exec
                                        ; implicit-def: $vgpr2
.LBB231_66:                             ;   in Loop: Header=BB231_58 Depth=3
	s_andn2_saveexec_b64 s[50:51], s[50:51]
	s_cbranch_execz .LBB231_57
; %bb.67:                               ;   in Loop: Header=BB231_58 Depth=3
	v_mad_u64_u32 v[2:3], s[54:55], v59, 60, v[2:3]
	ds_add_f64 v2, v[6:7] offset:560
	ds_add_f64 v2, v[8:9] offset:568
	s_andn2_b64 s[52:53], s[52:53], exec
	s_branch .LBB231_57
.LBB231_68:
	s_or_b64 exec, exec, s[10:11]
.LBB231_69:
	s_andn2_b64 vcc, exec, s[34:35]
	s_waitcnt lgkmcnt(0)
	s_barrier
	s_cbranch_vccnz .LBB231_122
; %bb.70:
	s_lshl_b64 s[4:5], s[8:9], 3
	s_add_u32 s4, s12, s4
	s_addc_u32 s5, s13, s5
	s_load_dwordx4 s[20:23], s[4:5], 0x0
	v_subrev_co_u32_e32 v2, vcc, s39, v0
	v_subb_co_u32_e64 v3, s[4:5], 0, 0, vcc
	s_waitcnt lgkmcnt(0)
	s_sub_u32 s4, s22, s39
	v_mov_b32_e32 v4, s21
	v_add_co_u32_e32 v14, vcc, s20, v2
	s_subb_u32 s5, s23, 0
	v_addc_co_u32_e32 v15, vcc, v4, v3, vcc
	v_cmp_gt_i64_e32 vcc, s[4:5], v[14:15]
	s_and_saveexec_b64 s[10:11], vcc
	s_cbranch_execz .LBB231_121
; %bb.71:
	s_cmp_eq_u32 s33, 0
	s_cselect_b32 s40, 1, 2
	s_cselect_b32 s41, 2, 1
	s_mov_b64 s[12:13], 0
	s_waitcnt vmcnt(0)
	v_mov_b32_e32 v25, s17
	v_mov_b32_e32 v26, s15
	s_branch .LBB231_73
.LBB231_72:                             ;   in Loop: Header=BB231_73 Depth=1
	s_or_b64 exec, exec, s[20:21]
	v_add_co_u32_e32 v14, vcc, 0x100, v14
	v_addc_co_u32_e32 v15, vcc, 0, v15, vcc
	v_cmp_le_i64_e32 vcc, s[4:5], v[14:15]
	s_or_b64 s[12:13], vcc, s[12:13]
	s_andn2_b64 exec, exec, s[12:13]
	s_cbranch_execz .LBB231_121
.LBB231_73:                             ; =>This Loop Header: Depth=1
                                        ;     Child Loop BB231_75 Depth 2
                                        ;     Child Loop BB231_87 Depth 2
	;; [unrolled: 1-line block ×4, first 2 shown]
	v_lshlrev_b64 v[2:3], 6, v[14:15]
	v_add_co_u32_e32 v8, vcc, s16, v2
	v_lshlrev_b64 v[6:7], 2, v[14:15]
	v_addc_co_u32_e32 v9, vcc, v25, v3, vcc
	global_load_dwordx4 v[28:31], v[8:9], off
	global_load_dwordx4 v[2:5], v[8:9], off offset:48
	v_or_b32_e32 v9, 0, v7
	v_or_b32_e32 v8, s40, v6
	v_lshlrev_b64 v[8:9], 4, v[8:9]
	v_add_co_u32_e32 v16, vcc, s16, v8
	v_addc_co_u32_e32 v17, vcc, v25, v9, vcc
	v_or_b32_e32 v8, s41, v6
	v_add_co_u32_e32 v6, vcc, s14, v6
	v_or_b32_e32 v9, 0, v7
	v_addc_co_u32_e32 v7, vcc, v26, v7, vcc
	global_load_dword v24, v[6:7], off
	v_lshlrev_b64 v[6:7], 4, v[8:9]
	v_add_co_u32_e32 v22, vcc, s16, v6
	v_addc_co_u32_e32 v23, vcc, v25, v7, vcc
	global_load_dwordx4 v[10:13], v[16:17], off
	global_load_dwordx4 v[6:9], v[22:23], off
	s_mov_b64 s[20:21], 0
	s_waitcnt vmcnt(4)
	v_mul_f64 v[16:17], v[30:31], -v[18:19]
	v_mul_f64 v[22:23], v[20:21], v[30:31]
	v_fmac_f64_e32 v[16:17], v[20:21], v[28:29]
	v_fmac_f64_e32 v[22:23], v[18:19], v[28:29]
	s_waitcnt vmcnt(2)
	v_subrev_u32_e32 v27, s39, v24
	v_lshl_add_u32 v24, v27, 3, v27
	v_and_b32_e32 v28, 0x7f, v24
	v_mov_b32_e32 v29, v28
	s_branch .LBB231_75
.LBB231_74:                             ;   in Loop: Header=BB231_75 Depth=2
	s_or_b64 exec, exec, s[22:23]
	s_xor_b64 s[22:23], s[24:25], -1
	s_and_b64 s[22:23], exec, s[22:23]
	s_or_b64 s[20:21], s[22:23], s[20:21]
	s_andn2_b64 exec, exec, s[20:21]
	s_cbranch_execz .LBB231_85
.LBB231_75:                             ;   Parent Loop BB231_73 Depth=1
                                        ; =>  This Inner Loop Header: Depth=2
	v_lshl_add_u32 v24, v29, 2, 0
	ds_read_b32 v30, v24
                                        ; implicit-def: $sgpr24_sgpr25
	s_waitcnt lgkmcnt(0)
	v_cmp_ne_u32_e32 vcc, v30, v27
	s_and_saveexec_b64 s[22:23], vcc
	s_xor_b64 s[22:23], exec, s[22:23]
	s_cbranch_execz .LBB231_83
; %bb.76:                               ;   in Loop: Header=BB231_75 Depth=2
	v_cmp_ne_u32_e32 vcc, s60, v30
                                        ; implicit-def: $sgpr24_sgpr25
	s_and_saveexec_b64 s[26:27], vcc
	s_xor_b64 s[26:27], exec, s[26:27]
; %bb.77:                               ;   in Loop: Header=BB231_75 Depth=2
	v_add_u32_e32 v24, 1, v29
	v_and_b32_e32 v29, 0x7f, v24
	s_mov_b64 s[24:25], -1
                                        ; implicit-def: $vgpr24
; %bb.78:                               ;   in Loop: Header=BB231_75 Depth=2
	s_andn2_saveexec_b64 s[26:27], s[26:27]
	s_cbranch_execz .LBB231_82
; %bb.79:                               ;   in Loop: Header=BB231_75 Depth=2
	v_mov_b32_e32 v30, s60
	ds_cmpst_rtn_b32 v30, v24, v30, v27
	s_mov_b64 s[36:37], -1
	s_waitcnt lgkmcnt(0)
	v_cmp_eq_u32_e32 vcc, s60, v30
	s_and_saveexec_b64 s[34:35], vcc
	s_cbranch_execz .LBB231_81
; %bb.80:                               ;   in Loop: Header=BB231_75 Depth=2
	v_mad_u64_u32 v[30:31], s[36:37], v29, 60, v[24:25]
	ds_add_f64 v30, v[16:17] offset:512
	ds_add_f64 v30, v[22:23] offset:520
	s_xor_b64 s[36:37], exec, -1
.LBB231_81:                             ;   in Loop: Header=BB231_75 Depth=2
	s_or_b64 exec, exec, s[34:35]
	s_andn2_b64 s[24:25], s[24:25], exec
	s_and_b64 s[34:35], s[36:37], exec
	s_or_b64 s[24:25], s[24:25], s[34:35]
.LBB231_82:                             ;   in Loop: Header=BB231_75 Depth=2
	s_or_b64 exec, exec, s[26:27]
	s_and_b64 s[24:25], s[24:25], exec
                                        ; implicit-def: $vgpr24
.LBB231_83:                             ;   in Loop: Header=BB231_75 Depth=2
	s_andn2_saveexec_b64 s[22:23], s[22:23]
	s_cbranch_execz .LBB231_74
; %bb.84:                               ;   in Loop: Header=BB231_75 Depth=2
	v_mad_u64_u32 v[30:31], s[26:27], v29, 60, v[24:25]
	ds_add_f64 v30, v[16:17] offset:512
	ds_add_f64 v30, v[22:23] offset:520
	s_andn2_b64 s[24:25], s[24:25], exec
	s_branch .LBB231_74
.LBB231_85:                             ;   in Loop: Header=BB231_73 Depth=1
	s_or_b64 exec, exec, s[20:21]
	s_waitcnt vmcnt(1)
	v_mul_f64 v[16:17], v[12:13], -v[18:19]
	v_mul_f64 v[12:13], v[20:21], v[12:13]
	v_fmac_f64_e32 v[16:17], v[20:21], v[10:11]
	v_fmac_f64_e32 v[12:13], v[18:19], v[10:11]
	s_mov_b64 s[20:21], 0
	v_mov_b32_e32 v11, v28
	s_branch .LBB231_87
.LBB231_86:                             ;   in Loop: Header=BB231_87 Depth=2
	s_or_b64 exec, exec, s[22:23]
	s_xor_b64 s[22:23], s[24:25], -1
	s_and_b64 s[22:23], exec, s[22:23]
	s_or_b64 s[20:21], s[22:23], s[20:21]
	s_andn2_b64 exec, exec, s[20:21]
	s_cbranch_execz .LBB231_97
.LBB231_87:                             ;   Parent Loop BB231_73 Depth=1
                                        ; =>  This Inner Loop Header: Depth=2
	v_lshl_add_u32 v10, v11, 2, 0
	ds_read_b32 v22, v10
                                        ; implicit-def: $sgpr24_sgpr25
	s_waitcnt lgkmcnt(0)
	v_cmp_ne_u32_e32 vcc, v22, v27
	s_and_saveexec_b64 s[22:23], vcc
	s_xor_b64 s[22:23], exec, s[22:23]
	s_cbranch_execz .LBB231_95
; %bb.88:                               ;   in Loop: Header=BB231_87 Depth=2
	v_cmp_ne_u32_e32 vcc, s60, v22
                                        ; implicit-def: $sgpr24_sgpr25
	s_and_saveexec_b64 s[26:27], vcc
	s_xor_b64 s[26:27], exec, s[26:27]
; %bb.89:                               ;   in Loop: Header=BB231_87 Depth=2
	v_add_u32_e32 v10, 1, v11
	v_and_b32_e32 v11, 0x7f, v10
	s_mov_b64 s[24:25], -1
                                        ; implicit-def: $vgpr10
; %bb.90:                               ;   in Loop: Header=BB231_87 Depth=2
	s_andn2_saveexec_b64 s[26:27], s[26:27]
	s_cbranch_execz .LBB231_94
; %bb.91:                               ;   in Loop: Header=BB231_87 Depth=2
	v_mov_b32_e32 v22, s60
	ds_cmpst_rtn_b32 v22, v10, v22, v27
	s_mov_b64 s[36:37], -1
	s_waitcnt lgkmcnt(0)
	v_cmp_eq_u32_e32 vcc, s60, v22
	s_and_saveexec_b64 s[34:35], vcc
	s_cbranch_execz .LBB231_93
; %bb.92:                               ;   in Loop: Header=BB231_87 Depth=2
	v_mad_u64_u32 v[22:23], s[36:37], v11, 60, v[10:11]
	ds_add_f64 v22, v[16:17] offset:528
	ds_add_f64 v22, v[12:13] offset:536
	s_xor_b64 s[36:37], exec, -1
.LBB231_93:                             ;   in Loop: Header=BB231_87 Depth=2
	s_or_b64 exec, exec, s[34:35]
	s_andn2_b64 s[24:25], s[24:25], exec
	s_and_b64 s[34:35], s[36:37], exec
	s_or_b64 s[24:25], s[24:25], s[34:35]
.LBB231_94:                             ;   in Loop: Header=BB231_87 Depth=2
	s_or_b64 exec, exec, s[26:27]
	s_and_b64 s[24:25], s[24:25], exec
                                        ; implicit-def: $vgpr10
.LBB231_95:                             ;   in Loop: Header=BB231_87 Depth=2
	s_andn2_saveexec_b64 s[22:23], s[22:23]
	s_cbranch_execz .LBB231_86
; %bb.96:                               ;   in Loop: Header=BB231_87 Depth=2
	v_mad_u64_u32 v[22:23], s[26:27], v11, 60, v[10:11]
	ds_add_f64 v22, v[16:17] offset:528
	ds_add_f64 v22, v[12:13] offset:536
	s_andn2_b64 s[24:25], s[24:25], exec
	s_branch .LBB231_86
.LBB231_97:                             ;   in Loop: Header=BB231_73 Depth=1
	s_or_b64 exec, exec, s[20:21]
	s_waitcnt vmcnt(0)
	v_mul_f64 v[10:11], v[8:9], -v[18:19]
	v_mul_f64 v[8:9], v[20:21], v[8:9]
	v_fmac_f64_e32 v[10:11], v[20:21], v[6:7]
	v_fmac_f64_e32 v[8:9], v[18:19], v[6:7]
	s_mov_b64 s[20:21], 0
	v_mov_b32_e32 v7, v28
	s_branch .LBB231_99
.LBB231_98:                             ;   in Loop: Header=BB231_99 Depth=2
	s_or_b64 exec, exec, s[22:23]
	s_xor_b64 s[22:23], s[24:25], -1
	s_and_b64 s[22:23], exec, s[22:23]
	s_or_b64 s[20:21], s[22:23], s[20:21]
	s_andn2_b64 exec, exec, s[20:21]
	s_cbranch_execz .LBB231_109
.LBB231_99:                             ;   Parent Loop BB231_73 Depth=1
                                        ; =>  This Inner Loop Header: Depth=2
	v_lshl_add_u32 v6, v7, 2, 0
	ds_read_b32 v12, v6
                                        ; implicit-def: $sgpr24_sgpr25
	s_waitcnt lgkmcnt(0)
	v_cmp_ne_u32_e32 vcc, v12, v27
	s_and_saveexec_b64 s[22:23], vcc
	s_xor_b64 s[22:23], exec, s[22:23]
	s_cbranch_execz .LBB231_107
; %bb.100:                              ;   in Loop: Header=BB231_99 Depth=2
	v_cmp_ne_u32_e32 vcc, s60, v12
                                        ; implicit-def: $sgpr24_sgpr25
	s_and_saveexec_b64 s[26:27], vcc
	s_xor_b64 s[26:27], exec, s[26:27]
; %bb.101:                              ;   in Loop: Header=BB231_99 Depth=2
	v_add_u32_e32 v6, 1, v7
	v_and_b32_e32 v7, 0x7f, v6
	s_mov_b64 s[24:25], -1
                                        ; implicit-def: $vgpr6
; %bb.102:                              ;   in Loop: Header=BB231_99 Depth=2
	s_andn2_saveexec_b64 s[26:27], s[26:27]
	s_cbranch_execz .LBB231_106
; %bb.103:                              ;   in Loop: Header=BB231_99 Depth=2
	v_mov_b32_e32 v12, s60
	ds_cmpst_rtn_b32 v12, v6, v12, v27
	s_mov_b64 s[36:37], -1
	s_waitcnt lgkmcnt(0)
	v_cmp_eq_u32_e32 vcc, s60, v12
	s_and_saveexec_b64 s[34:35], vcc
	s_cbranch_execz .LBB231_105
; %bb.104:                              ;   in Loop: Header=BB231_99 Depth=2
	v_mad_u64_u32 v[12:13], s[36:37], v7, 60, v[6:7]
	ds_add_f64 v12, v[10:11] offset:544
	ds_add_f64 v12, v[8:9] offset:552
	s_xor_b64 s[36:37], exec, -1
.LBB231_105:                            ;   in Loop: Header=BB231_99 Depth=2
	s_or_b64 exec, exec, s[34:35]
	s_andn2_b64 s[24:25], s[24:25], exec
	s_and_b64 s[34:35], s[36:37], exec
	s_or_b64 s[24:25], s[24:25], s[34:35]
.LBB231_106:                            ;   in Loop: Header=BB231_99 Depth=2
	s_or_b64 exec, exec, s[26:27]
	s_and_b64 s[24:25], s[24:25], exec
                                        ; implicit-def: $vgpr6
.LBB231_107:                            ;   in Loop: Header=BB231_99 Depth=2
	s_andn2_saveexec_b64 s[22:23], s[22:23]
	s_cbranch_execz .LBB231_98
; %bb.108:                              ;   in Loop: Header=BB231_99 Depth=2
	v_mad_u64_u32 v[12:13], s[26:27], v7, 60, v[6:7]
	ds_add_f64 v12, v[10:11] offset:544
	ds_add_f64 v12, v[8:9] offset:552
	s_andn2_b64 s[24:25], s[24:25], exec
	s_branch .LBB231_98
.LBB231_109:                            ;   in Loop: Header=BB231_73 Depth=1
	s_or_b64 exec, exec, s[20:21]
	v_mul_f64 v[6:7], v[4:5], -v[18:19]
	v_mul_f64 v[4:5], v[20:21], v[4:5]
	v_fmac_f64_e32 v[6:7], v[20:21], v[2:3]
	v_fmac_f64_e32 v[4:5], v[18:19], v[2:3]
	s_mov_b64 s[20:21], 0
	s_branch .LBB231_111
.LBB231_110:                            ;   in Loop: Header=BB231_111 Depth=2
	s_or_b64 exec, exec, s[22:23]
	s_xor_b64 s[22:23], s[24:25], -1
	s_and_b64 s[22:23], exec, s[22:23]
	s_or_b64 s[20:21], s[22:23], s[20:21]
	s_andn2_b64 exec, exec, s[20:21]
	s_cbranch_execz .LBB231_72
.LBB231_111:                            ;   Parent Loop BB231_73 Depth=1
                                        ; =>  This Inner Loop Header: Depth=2
	v_lshl_add_u32 v2, v28, 2, 0
	ds_read_b32 v3, v2
                                        ; implicit-def: $sgpr24_sgpr25
	s_waitcnt lgkmcnt(0)
	v_cmp_ne_u32_e32 vcc, v3, v27
	s_and_saveexec_b64 s[22:23], vcc
	s_xor_b64 s[22:23], exec, s[22:23]
	s_cbranch_execz .LBB231_119
; %bb.112:                              ;   in Loop: Header=BB231_111 Depth=2
	v_cmp_ne_u32_e32 vcc, s60, v3
                                        ; implicit-def: $sgpr24_sgpr25
	s_and_saveexec_b64 s[26:27], vcc
	s_xor_b64 s[26:27], exec, s[26:27]
; %bb.113:                              ;   in Loop: Header=BB231_111 Depth=2
	v_add_u32_e32 v2, 1, v28
	v_and_b32_e32 v28, 0x7f, v2
	s_mov_b64 s[24:25], -1
                                        ; implicit-def: $vgpr2
; %bb.114:                              ;   in Loop: Header=BB231_111 Depth=2
	s_andn2_saveexec_b64 s[26:27], s[26:27]
	s_cbranch_execz .LBB231_118
; %bb.115:                              ;   in Loop: Header=BB231_111 Depth=2
	v_mov_b32_e32 v3, s60
	ds_cmpst_rtn_b32 v3, v2, v3, v27
	s_mov_b64 s[36:37], -1
	s_waitcnt lgkmcnt(0)
	v_cmp_eq_u32_e32 vcc, s60, v3
	s_and_saveexec_b64 s[34:35], vcc
	s_cbranch_execz .LBB231_117
; %bb.116:                              ;   in Loop: Header=BB231_111 Depth=2
	v_mad_u64_u32 v[2:3], s[36:37], v28, 60, v[2:3]
	ds_add_f64 v2, v[6:7] offset:560
	ds_add_f64 v2, v[4:5] offset:568
	s_xor_b64 s[36:37], exec, -1
.LBB231_117:                            ;   in Loop: Header=BB231_111 Depth=2
	s_or_b64 exec, exec, s[34:35]
	s_andn2_b64 s[24:25], s[24:25], exec
	s_and_b64 s[34:35], s[36:37], exec
	s_or_b64 s[24:25], s[24:25], s[34:35]
.LBB231_118:                            ;   in Loop: Header=BB231_111 Depth=2
	s_or_b64 exec, exec, s[26:27]
	s_and_b64 s[24:25], s[24:25], exec
                                        ; implicit-def: $vgpr2
.LBB231_119:                            ;   in Loop: Header=BB231_111 Depth=2
	s_andn2_saveexec_b64 s[22:23], s[22:23]
	s_cbranch_execz .LBB231_110
; %bb.120:                              ;   in Loop: Header=BB231_111 Depth=2
	v_mad_u64_u32 v[2:3], s[26:27], v28, 60, v[2:3]
	ds_add_f64 v2, v[6:7] offset:560
	ds_add_f64 v2, v[4:5] offset:568
	s_andn2_b64 s[24:25], s[24:25], exec
	s_branch .LBB231_110
.LBB231_121:
	s_or_b64 exec, exec, s[10:11]
.LBB231_122:
	s_waitcnt lgkmcnt(0)
	s_barrier
	s_and_saveexec_b64 s[4:5], s[6:7]
	s_cbranch_execz .LBB231_127
; %bb.123:
	ds_read_b32 v1, v1
	s_mov_b32 s4, 0
	s_waitcnt lgkmcnt(0)
	v_cmp_gt_i32_e32 vcc, s60, v1
	s_and_b64 exec, exec, vcc
	s_cbranch_execz .LBB231_127
; %bb.124:
	s_lshl_b64 s[6:7], s[8:9], 3
	s_add_u32 s6, s18, s6
	s_addc_u32 s7, s19, s7
	s_load_dwordx2 s[6:7], s[6:7], 0x0
	s_waitcnt lgkmcnt(0)
	s_sub_u32 s6, s6, s38
	s_subb_u32 s7, s7, 0
	v_pk_mov_b32 v[2:3], s[6:7], s[6:7] op_sel:[0,1]
.LBB231_125:                            ; =>This Inner Loop Header: Depth=1
	s_add_i32 s5, s4, 0
	s_waitcnt vmcnt(0)
	v_mov_b32_e32 v18, s5
	ds_read2_b32 v[4:5], v18 offset1:1
	ds_read2_b32 v[6:7], v18 offset0:2 offset1:3
	ds_read2_b32 v[8:9], v18 offset0:4 offset1:5
	;; [unrolled: 1-line block ×7, first 2 shown]
	s_waitcnt lgkmcnt(7)
	v_cmp_gt_i32_e32 vcc, v1, v4
	v_cndmask_b32_e64 v4, 0, 1, vcc
	v_cmp_gt_i32_e32 vcc, v1, v5
	v_cndmask_b32_e64 v5, 0, 1, vcc
	s_waitcnt lgkmcnt(6)
	v_cmp_gt_i32_e32 vcc, v1, v6
	v_cndmask_b32_e64 v6, 0, 1, vcc
	v_cmp_gt_i32_e32 vcc, v1, v7
	v_cndmask_b32_e64 v7, 0, 1, vcc
	;; [unrolled: 5-line block ×8, first 2 shown]
	v_add_co_u32_e32 v2, vcc, v2, v4
	v_addc_co_u32_e32 v3, vcc, 0, v3, vcc
	v_add_co_u32_e32 v2, vcc, v2, v5
	v_addc_co_u32_e32 v3, vcc, 0, v3, vcc
	;; [unrolled: 2-line block ×15, first 2 shown]
	s_add_i32 s4, s4, 64
	v_add_co_u32_e32 v2, vcc, v2, v19
	s_cmpk_lg_i32 s4, 0x200
	v_addc_co_u32_e32 v3, vcc, 0, v3, vcc
	s_cbranch_scc1 .LBB231_125
; %bb.126:
	v_lshlrev_b64 v[4:5], 2, v[2:3]
	v_mov_b32_e32 v6, s29
	v_add_co_u32_e32 v4, vcc, s28, v4
	s_add_i32 s4, 0, 0x200
	v_add_u32_e32 v1, s38, v1
	v_addc_co_u32_e32 v5, vcc, v6, v5, vcc
	s_cmp_eq_u32 s33, 0
	global_store_dword v[4:5], v1, off
	v_lshlrev_b32_e32 v1, 2, v0
	v_lshlrev_b32_e32 v0, 6, v0
	v_add_u32_e32 v12, s4, v0
	s_cselect_b32 s4, 1, 2
	s_cselect_b32 s5, 2, 1
	v_add_u32_e32 v8, 0, v0
	v_or_b32_e32 v0, s4, v1
	v_or_b32_e32 v1, s5, v1
	v_lshl_add_u32 v0, v0, 4, 0
	v_lshl_add_u32 v4, v1, 4, 0
	v_lshlrev_b64 v[16:17], 6, v[2:3]
	ds_read2_b64 v[0:3], v0 offset0:64 offset1:65
	ds_read2_b64 v[4:7], v4 offset0:64 offset1:65
	;; [unrolled: 1-line block ×4, first 2 shown]
	v_mov_b32_e32 v18, s31
	v_add_co_u32_e32 v16, vcc, s30, v16
	v_addc_co_u32_e32 v17, vcc, v18, v17, vcc
	s_waitcnt lgkmcnt(1)
	global_store_dwordx4 v[16:17], v[8:11], off
	global_store_dwordx4 v[16:17], v[0:3], off offset:16
	global_store_dwordx4 v[16:17], v[4:7], off offset:32
	s_waitcnt lgkmcnt(0)
	global_store_dwordx4 v[16:17], v[12:15], off offset:48
.LBB231_127:
	s_endpgm
	.section	.rodata,"a",@progbits
	.p2align	6, 0x0
	.amdhsa_kernel _ZN9rocsparseL30bsrgemm_fill_block_per_row_2x2ILj256ELj16ELj128ELj137Eli21rocsparse_complex_numIdEEEv20rocsparse_direction_T4_S4_PKS4_S6_NS_24const_host_device_scalarIT5_EEPKT3_S6_PKS8_SC_S6_SE_S9_SC_S6_SE_SC_PS4_PS8_21rocsparse_index_base_SH_SH_SH_bbb
		.amdhsa_group_segment_fixed_size 0
		.amdhsa_private_segment_fixed_size 24
		.amdhsa_kernarg_size 180
		.amdhsa_user_sgpr_count 8
		.amdhsa_user_sgpr_private_segment_buffer 1
		.amdhsa_user_sgpr_dispatch_ptr 0
		.amdhsa_user_sgpr_queue_ptr 0
		.amdhsa_user_sgpr_kernarg_segment_ptr 1
		.amdhsa_user_sgpr_dispatch_id 0
		.amdhsa_user_sgpr_flat_scratch_init 1
		.amdhsa_user_sgpr_kernarg_preload_length 0
		.amdhsa_user_sgpr_kernarg_preload_offset 0
		.amdhsa_user_sgpr_private_segment_size 0
		.amdhsa_uses_dynamic_stack 0
		.amdhsa_system_sgpr_private_segment_wavefront_offset 1
		.amdhsa_system_sgpr_workgroup_id_x 1
		.amdhsa_system_sgpr_workgroup_id_y 0
		.amdhsa_system_sgpr_workgroup_id_z 0
		.amdhsa_system_sgpr_workgroup_info 0
		.amdhsa_system_vgpr_workitem_id 0
		.amdhsa_next_free_vgpr 64
		.amdhsa_next_free_sgpr 64
		.amdhsa_accum_offset 64
		.amdhsa_reserve_vcc 1
		.amdhsa_reserve_flat_scratch 1
		.amdhsa_float_round_mode_32 0
		.amdhsa_float_round_mode_16_64 0
		.amdhsa_float_denorm_mode_32 3
		.amdhsa_float_denorm_mode_16_64 3
		.amdhsa_dx10_clamp 1
		.amdhsa_ieee_mode 1
		.amdhsa_fp16_overflow 0
		.amdhsa_tg_split 0
		.amdhsa_exception_fp_ieee_invalid_op 0
		.amdhsa_exception_fp_denorm_src 0
		.amdhsa_exception_fp_ieee_div_zero 0
		.amdhsa_exception_fp_ieee_overflow 0
		.amdhsa_exception_fp_ieee_underflow 0
		.amdhsa_exception_fp_ieee_inexact 0
		.amdhsa_exception_int_div_zero 0
	.end_amdhsa_kernel
	.section	.text._ZN9rocsparseL30bsrgemm_fill_block_per_row_2x2ILj256ELj16ELj128ELj137Eli21rocsparse_complex_numIdEEEv20rocsparse_direction_T4_S4_PKS4_S6_NS_24const_host_device_scalarIT5_EEPKT3_S6_PKS8_SC_S6_SE_S9_SC_S6_SE_SC_PS4_PS8_21rocsparse_index_base_SH_SH_SH_bbb,"axG",@progbits,_ZN9rocsparseL30bsrgemm_fill_block_per_row_2x2ILj256ELj16ELj128ELj137Eli21rocsparse_complex_numIdEEEv20rocsparse_direction_T4_S4_PKS4_S6_NS_24const_host_device_scalarIT5_EEPKT3_S6_PKS8_SC_S6_SE_S9_SC_S6_SE_SC_PS4_PS8_21rocsparse_index_base_SH_SH_SH_bbb,comdat
.Lfunc_end231:
	.size	_ZN9rocsparseL30bsrgemm_fill_block_per_row_2x2ILj256ELj16ELj128ELj137Eli21rocsparse_complex_numIdEEEv20rocsparse_direction_T4_S4_PKS4_S6_NS_24const_host_device_scalarIT5_EEPKT3_S6_PKS8_SC_S6_SE_S9_SC_S6_SE_SC_PS4_PS8_21rocsparse_index_base_SH_SH_SH_bbb, .Lfunc_end231-_ZN9rocsparseL30bsrgemm_fill_block_per_row_2x2ILj256ELj16ELj128ELj137Eli21rocsparse_complex_numIdEEEv20rocsparse_direction_T4_S4_PKS4_S6_NS_24const_host_device_scalarIT5_EEPKT3_S6_PKS8_SC_S6_SE_S9_SC_S6_SE_SC_PS4_PS8_21rocsparse_index_base_SH_SH_SH_bbb
                                        ; -- End function
	.section	.AMDGPU.csdata,"",@progbits
; Kernel info:
; codeLenInByte = 4480
; NumSgprs: 70
; NumVgprs: 64
; NumAgprs: 0
; TotalNumVgprs: 64
; ScratchSize: 24
; MemoryBound: 0
; FloatMode: 240
; IeeeMode: 1
; LDSByteSize: 0 bytes/workgroup (compile time only)
; SGPRBlocks: 8
; VGPRBlocks: 7
; NumSGPRsForWavesPerEU: 70
; NumVGPRsForWavesPerEU: 64
; AccumOffset: 64
; Occupancy: 8
; WaveLimiterHint : 1
; COMPUTE_PGM_RSRC2:SCRATCH_EN: 1
; COMPUTE_PGM_RSRC2:USER_SGPR: 8
; COMPUTE_PGM_RSRC2:TRAP_HANDLER: 0
; COMPUTE_PGM_RSRC2:TGID_X_EN: 1
; COMPUTE_PGM_RSRC2:TGID_Y_EN: 0
; COMPUTE_PGM_RSRC2:TGID_Z_EN: 0
; COMPUTE_PGM_RSRC2:TIDIG_COMP_CNT: 0
; COMPUTE_PGM_RSRC3_GFX90A:ACCUM_OFFSET: 15
; COMPUTE_PGM_RSRC3_GFX90A:TG_SPLIT: 0
	.section	.text._ZN9rocsparseL30bsrgemm_fill_block_per_row_2x2ILj256ELj16ELj256ELj137Eli21rocsparse_complex_numIdEEEv20rocsparse_direction_T4_S4_PKS4_S6_NS_24const_host_device_scalarIT5_EEPKT3_S6_PKS8_SC_S6_SE_S9_SC_S6_SE_SC_PS4_PS8_21rocsparse_index_base_SH_SH_SH_bbb,"axG",@progbits,_ZN9rocsparseL30bsrgemm_fill_block_per_row_2x2ILj256ELj16ELj256ELj137Eli21rocsparse_complex_numIdEEEv20rocsparse_direction_T4_S4_PKS4_S6_NS_24const_host_device_scalarIT5_EEPKT3_S6_PKS8_SC_S6_SE_S9_SC_S6_SE_SC_PS4_PS8_21rocsparse_index_base_SH_SH_SH_bbb,comdat
	.globl	_ZN9rocsparseL30bsrgemm_fill_block_per_row_2x2ILj256ELj16ELj256ELj137Eli21rocsparse_complex_numIdEEEv20rocsparse_direction_T4_S4_PKS4_S6_NS_24const_host_device_scalarIT5_EEPKT3_S6_PKS8_SC_S6_SE_S9_SC_S6_SE_SC_PS4_PS8_21rocsparse_index_base_SH_SH_SH_bbb ; -- Begin function _ZN9rocsparseL30bsrgemm_fill_block_per_row_2x2ILj256ELj16ELj256ELj137Eli21rocsparse_complex_numIdEEEv20rocsparse_direction_T4_S4_PKS4_S6_NS_24const_host_device_scalarIT5_EEPKT3_S6_PKS8_SC_S6_SE_S9_SC_S6_SE_SC_PS4_PS8_21rocsparse_index_base_SH_SH_SH_bbb
	.p2align	8
	.type	_ZN9rocsparseL30bsrgemm_fill_block_per_row_2x2ILj256ELj16ELj256ELj137Eli21rocsparse_complex_numIdEEEv20rocsparse_direction_T4_S4_PKS4_S6_NS_24const_host_device_scalarIT5_EEPKT3_S6_PKS8_SC_S6_SE_S9_SC_S6_SE_SC_PS4_PS8_21rocsparse_index_base_SH_SH_SH_bbb,@function
_ZN9rocsparseL30bsrgemm_fill_block_per_row_2x2ILj256ELj16ELj256ELj137Eli21rocsparse_complex_numIdEEEv20rocsparse_direction_T4_S4_PKS4_S6_NS_24const_host_device_scalarIT5_EEPKT3_S6_PKS8_SC_S6_SE_S9_SC_S6_SE_SC_PS4_PS8_21rocsparse_index_base_SH_SH_SH_bbb: ; @_ZN9rocsparseL30bsrgemm_fill_block_per_row_2x2ILj256ELj16ELj256ELj137Eli21rocsparse_complex_numIdEEEv20rocsparse_direction_T4_S4_PKS4_S6_NS_24const_host_device_scalarIT5_EEPKT3_S6_PKS8_SC_S6_SE_S9_SC_S6_SE_SC_PS4_PS8_21rocsparse_index_base_SH_SH_SH_bbb
; %bb.0:
	s_add_u32 flat_scratch_lo, s6, s9
	s_addc_u32 flat_scratch_hi, s7, 0
	s_add_u32 s0, s0, s9
	s_load_dword s9, s[4:5], 0xb0
	s_load_dwordx4 s[16:19], s[4:5], 0x20
	s_load_dwordx4 s[12:15], s[4:5], 0x60
	s_addc_u32 s1, s1, 0
	v_pk_mov_b32 v[18:19], 0, 0
	s_waitcnt lgkmcnt(0)
	s_bitcmp1_b32 s9, 0
	v_mov_b32_e32 v1, s17
	s_cselect_b64 s[48:49], -1, 0
	s_bitcmp1_b32 s9, 16
	buffer_store_dword v1, off, s[0:3], 0 offset:4
	v_mov_b32_e32 v1, s16
	s_cselect_b64 s[6:7], -1, 0
	buffer_store_dword v1, off, s[0:3], 0
	v_mov_b32_e32 v1, s13
	buffer_store_dword v1, off, s[0:3], 0 offset:12
	v_mov_b32_e32 v1, s12
	s_xor_b64 s[10:11], s[6:7], -1
	buffer_store_dword v1, off, s[0:3], 0 offset:8
	v_cndmask_b32_e64 v1, 0, 1, s[10:11]
	s_bitcmp0_b32 s9, 0
	v_cmp_ne_u32_e64 s[10:11], 1, v1
	v_pk_mov_b32 v[22:23], v[18:19], v[18:19] op_sel:[0,1]
	v_pk_mov_b32 v[24:25], v[18:19], v[18:19] op_sel:[0,1]
	s_cbranch_scc1 .LBB232_3
; %bb.1:
	s_mov_b64 s[20:21], src_private_base
	s_and_b64 s[22:23], s[6:7], exec
	s_cselect_b32 s20, s21, s17
	v_mov_b32_e32 v1, 0
	v_mov_b32_e32 v2, s16
	v_cndmask_b32_e64 v2, v2, v1, s[6:7]
	v_mov_b32_e32 v3, s20
	flat_load_dwordx2 v[22:23], v[2:3]
	s_and_b64 vcc, exec, s[10:11]
	v_pk_mov_b32 v[24:25], s[18:19], s[18:19] op_sel:[0,1]
	s_cbranch_vccnz .LBB232_3
; %bb.2:
	v_pk_mov_b32 v[2:3], s[16:17], s[16:17] op_sel:[0,1]
	flat_load_dwordx2 v[24:25], v[2:3] offset:8
.LBB232_3:
	s_load_dwordx4 s[28:31], s[4:5], 0xa0
	s_bitcmp1_b32 s9, 8
	s_cselect_b64 s[34:35], -1, 0
	s_bfe_u32 s9, s9, 0x10008
	s_cmp_eq_u32 s9, 0
	v_pk_mov_b32 v[20:21], v[18:19], v[18:19] op_sel:[0,1]
	s_cbranch_scc1 .LBB232_6
; %bb.4:
	s_mov_b64 s[16:17], src_private_base
	s_and_b64 s[18:19], s[6:7], exec
	s_cselect_b32 s9, s17, s13
	v_mov_b32_e32 v1, 8
	v_mov_b32_e32 v2, s12
	v_cndmask_b32_e64 v2, v2, v1, s[6:7]
	v_mov_b32_e32 v3, s9
	flat_load_dwordx2 v[20:21], v[2:3]
	s_and_b64 vcc, exec, s[10:11]
	v_pk_mov_b32 v[18:19], s[14:15], s[14:15] op_sel:[0,1]
	s_cbranch_vccnz .LBB232_6
; %bb.5:
	v_pk_mov_b32 v[2:3], s[12:13], s[12:13] op_sel:[0,1]
	flat_load_dwordx2 v[18:19], v[2:3] offset:8
.LBB232_6:
	s_load_dwordx4 s[36:39], s[4:5], 0x90
	s_load_dwordx8 s[12:19], s[4:5], 0x70
	s_load_dwordx4 s[40:43], s[4:5], 0x50
	s_load_dwordx8 s[20:27], s[4:5], 0x30
	s_load_dwordx4 s[44:47], s[4:5], 0x10
	s_load_dword s60, s[4:5], 0x8
	s_movk_i32 s6, 0x100
	v_cmp_gt_u32_e64 s[6:7], s6, v0
	v_lshl_add_u32 v1, v0, 2, 0
	s_and_saveexec_b64 s[10:11], s[6:7]
	s_cbranch_execz .LBB232_8
; %bb.7:
	s_waitcnt lgkmcnt(0)
	v_mov_b32_e32 v2, s60
	ds_write_b32 v1, v2
.LBB232_8:
	s_or_b64 exec, exec, s[10:11]
	s_mov_b32 s50, 0
	v_lshl_add_u32 v2, v0, 4, 0
	s_mov_b32 s51, s50
	s_mov_b32 s52, s50
	;; [unrolled: 1-line block ×3, first 2 shown]
	v_add_u32_e32 v6, 0x400, v2
	v_or_b32_e32 v7, 0xffffff00, v0
	s_mov_b64 s[10:11], 0
	v_pk_mov_b32 v[2:3], s[50:51], s[50:51] op_sel:[0,1]
	v_pk_mov_b32 v[4:5], s[52:53], s[52:53] op_sel:[0,1]
	s_movk_i32 s9, 0x2ff
.LBB232_9:                              ; =>This Inner Loop Header: Depth=1
	v_add_u32_e32 v7, 0x100, v7
	v_cmp_lt_u32_e32 vcc, s9, v7
	ds_write2_b64 v6, v[2:3], v[4:5] offset1:1
	s_or_b64 s[10:11], vcc, s[10:11]
	v_add_u32_e32 v6, 0x1000, v6
	s_andn2_b64 exec, exec, s[10:11]
	s_cbranch_execnz .LBB232_9
; %bb.10:
	s_or_b64 exec, exec, s[10:11]
	s_waitcnt lgkmcnt(0)
	s_cmp_lg_u64 s[46:47], 0
	s_barrier
	s_cbranch_scc0 .LBB232_12
; %bb.11:
	s_load_dword s9, s[44:45], 0x0
	s_waitcnt lgkmcnt(0)
	s_add_i32 s8, s9, s8
	s_mov_b32 s9, 0
	s_lshl_b64 s[8:9], s[8:9], 2
	s_add_u32 s8, s46, s8
	s_addc_u32 s9, s47, s9
	s_load_dword s8, s[8:9], 0x0
.LBB232_12:
	s_nop 0
	s_load_dword s33, s[4:5], 0x0
	s_andn2_b64 vcc, exec, s[48:49]
	s_waitcnt lgkmcnt(0)
	s_ashr_i32 s9, s8, 31
	s_cbranch_vccnz .LBB232_68
; %bb.13:
	s_lshl_b64 s[4:5], s[8:9], 3
	s_add_u32 s4, s20, s4
	s_addc_u32 s5, s21, s5
	s_load_dwordx4 s[48:51], s[4:5], 0x0
	v_lshrrev_b32_e32 v2, 4, v0
	v_subrev_co_u32_e32 v2, vcc, s28, v2
	v_subb_co_u32_e64 v3, s[10:11], 0, 0, vcc
	s_waitcnt lgkmcnt(0)
	s_sub_u32 s4, s50, s28
	v_mov_b32_e32 v4, s49
	v_add_co_u32_e32 v26, vcc, s48, v2
	s_subb_u32 s5, s51, 0
	v_addc_co_u32_e32 v27, vcc, v4, v3, vcc
	s_mov_b32 s44, 0
	v_cmp_gt_i64_e32 vcc, s[4:5], v[26:27]
	s_and_saveexec_b64 s[10:11], vcc
	s_cbranch_execz .LBB232_67
; %bb.14:
	v_and_b32_e32 v2, 15, v0
	v_subrev_co_u32_e32 v53, vcc, s29, v2
	s_cmp_eq_u32 s33, 0
	v_subb_co_u32_e64 v54, s[20:21], 0, 0, vcc
	s_mov_b32 s61, s29
	s_cselect_b32 s62, 1, 2
	s_cselect_b32 s63, 2, 1
	s_mov_b64 s[20:21], 0
	v_mov_b32_e32 v55, s23
	v_mov_b32_e32 v56, s27
	;; [unrolled: 1-line block ×3, first 2 shown]
	s_movk_i32 s23, 0x89
	s_branch .LBB232_16
.LBB232_15:                             ;   in Loop: Header=BB232_16 Depth=1
	s_or_b64 exec, exec, s[44:45]
	v_add_co_u32_e32 v26, vcc, 16, v26
	v_addc_co_u32_e32 v27, vcc, 0, v27, vcc
	v_cmp_le_i64_e32 vcc, s[4:5], v[26:27]
	s_or_b64 s[20:21], vcc, s[20:21]
	s_andn2_b64 exec, exec, s[20:21]
	s_cbranch_execz .LBB232_67
.LBB232_16:                             ; =>This Loop Header: Depth=1
                                        ;     Child Loop BB232_19 Depth 2
                                        ;       Child Loop BB232_21 Depth 3
                                        ;       Child Loop BB232_33 Depth 3
	;; [unrolled: 1-line block ×4, first 2 shown]
	v_lshlrev_b64 v[2:3], 2, v[26:27]
	v_add_co_u32_e32 v4, vcc, s22, v2
	v_addc_co_u32_e32 v5, vcc, v55, v3, vcc
	global_load_dword v4, v[4:5], off
	s_waitcnt vmcnt(0)
	v_subrev_u32_e32 v4, s28, v4
	v_ashrrev_i32_e32 v5, 31, v4
	v_lshlrev_b64 v[4:5], 3, v[4:5]
	v_add_co_u32_e32 v4, vcc, s26, v4
	v_addc_co_u32_e32 v5, vcc, v56, v5, vcc
	global_load_dwordx4 v[4:7], v[4:5], off
	s_waitcnt vmcnt(0)
	v_subrev_co_u32_e32 v28, vcc, s61, v6
	v_subb_co_u32_e32 v29, vcc, v7, v57, vcc
	v_add_co_u32_e32 v30, vcc, v4, v53
	v_addc_co_u32_e32 v31, vcc, v5, v54, vcc
	v_cmp_lt_i64_e32 vcc, v[30:31], v[28:29]
	s_and_saveexec_b64 s[44:45], vcc
	s_cbranch_execz .LBB232_15
; %bb.17:                               ;   in Loop: Header=BB232_16 Depth=1
	v_lshlrev_b64 v[4:5], 6, v[26:27]
	v_mov_b32_e32 v16, s25
	v_add_co_u32_e32 v12, vcc, s24, v4
	v_addc_co_u32_e32 v13, vcc, v16, v5, vcc
	global_load_dwordx4 v[4:7], v[12:13], off
	global_load_dwordx4 v[8:11], v[12:13], off offset:48
	v_or_b32_e32 v13, 0, v3
	v_or_b32_e32 v12, s62, v2
	v_lshlrev_b64 v[12:13], 4, v[12:13]
	v_add_co_u32_e32 v12, vcc, s24, v12
	v_or_b32_e32 v3, 0, v3
	v_or_b32_e32 v2, s63, v2
	v_addc_co_u32_e32 v13, vcc, v16, v13, vcc
	v_lshlrev_b64 v[2:3], 4, v[2:3]
	v_add_co_u32_e32 v2, vcc, s24, v2
	v_addc_co_u32_e32 v3, vcc, v16, v3, vcc
	global_load_dwordx4 v[12:15], v[12:13], off
	s_mov_b64 s[46:47], 0
	global_load_dwordx4 v[48:51], v[2:3], off
	s_waitcnt vmcnt(3)
	v_mul_f64 v[32:33], v[6:7], -v[24:25]
	v_mul_f64 v[34:35], v[22:23], v[6:7]
	s_waitcnt vmcnt(2)
	v_mul_f64 v[36:37], v[10:11], -v[24:25]
	v_mul_f64 v[38:39], v[22:23], v[10:11]
	v_fmac_f64_e32 v[32:33], v[22:23], v[4:5]
	v_fmac_f64_e32 v[34:35], v[24:25], v[4:5]
	;; [unrolled: 1-line block ×4, first 2 shown]
	s_waitcnt vmcnt(1)
	v_mul_f64 v[40:41], v[14:15], -v[24:25]
	v_mul_f64 v[42:43], v[22:23], v[14:15]
	s_waitcnt vmcnt(0)
	v_mul_f64 v[44:45], v[50:51], -v[24:25]
	v_mul_f64 v[46:47], v[22:23], v[50:51]
	v_fmac_f64_e32 v[40:41], v[22:23], v[12:13]
	v_fmac_f64_e32 v[42:43], v[24:25], v[12:13]
	;; [unrolled: 1-line block ×4, first 2 shown]
	s_branch .LBB232_19
.LBB232_18:                             ;   in Loop: Header=BB232_19 Depth=2
	s_or_b64 exec, exec, s[48:49]
	v_add_co_u32_e32 v30, vcc, 16, v30
	v_addc_co_u32_e32 v31, vcc, 0, v31, vcc
	v_cmp_ge_i64_e32 vcc, v[30:31], v[28:29]
	s_or_b64 s[46:47], vcc, s[46:47]
	s_andn2_b64 exec, exec, s[46:47]
	s_cbranch_execz .LBB232_15
.LBB232_19:                             ;   Parent Loop BB232_16 Depth=1
                                        ; =>  This Loop Header: Depth=2
                                        ;       Child Loop BB232_21 Depth 3
                                        ;       Child Loop BB232_33 Depth 3
	;; [unrolled: 1-line block ×4, first 2 shown]
	v_lshlrev_b64 v[2:3], 2, v[30:31]
	v_mov_b32_e32 v5, s41
	v_add_co_u32_e32 v4, vcc, s40, v2
	v_addc_co_u32_e32 v5, vcc, v5, v3, vcc
	global_load_dword v48, v[4:5], off
	v_or_b32_e32 v5, 0, v3
	v_or_b32_e32 v4, s62, v2
	v_or_b32_e32 v3, 0, v3
	v_or_b32_e32 v2, s63, v2
	v_lshlrev_b64 v[2:3], 4, v[2:3]
	v_mov_b32_e32 v8, s43
	v_add_co_u32_e32 v2, vcc, s42, v2
	v_lshlrev_b64 v[6:7], 6, v[30:31]
	v_addc_co_u32_e32 v3, vcc, v8, v3, vcc
	v_add_co_u32_e32 v6, vcc, s42, v6
	global_load_dwordx4 v[14:17], v[2:3], off
	v_addc_co_u32_e32 v7, vcc, v8, v7, vcc
	global_load_dwordx4 v[10:13], v[6:7], off
	v_lshlrev_b64 v[2:3], 4, v[4:5]
	v_add_co_u32_e32 v2, vcc, s42, v2
	v_addc_co_u32_e32 v3, vcc, v8, v3, vcc
	global_load_dwordx4 v[2:5], v[2:3], off
	s_nop 0
	global_load_dwordx4 v[6:9], v[6:7], off offset:48
	s_mov_b64 s[48:49], 0
	s_waitcnt vmcnt(4)
	v_subrev_u32_e32 v58, s29, v48
	v_mul_lo_u32 v52, v58, s23
	v_and_b32_e32 v59, 0xff, v52
	v_mov_b32_e32 v60, v59
	s_waitcnt vmcnt(3)
	v_mul_f64 v[50:51], v[16:17], -v[42:43]
	v_mul_f64 v[48:49], v[40:41], v[16:17]
	v_fmac_f64_e32 v[50:51], v[40:41], v[14:15]
	v_fmac_f64_e32 v[48:49], v[42:43], v[14:15]
	s_waitcnt vmcnt(2)
	v_fmac_f64_e32 v[50:51], v[32:33], v[10:11]
	v_fmac_f64_e32 v[48:49], v[34:35], v[10:11]
	v_fma_f64 v[50:51], -v[34:35], v[12:13], v[50:51]
	v_fmac_f64_e32 v[48:49], v[32:33], v[12:13]
	s_branch .LBB232_21
.LBB232_20:                             ;   in Loop: Header=BB232_21 Depth=3
	s_or_b64 exec, exec, s[50:51]
	s_xor_b64 s[50:51], s[52:53], -1
	s_and_b64 s[50:51], exec, s[50:51]
	s_or_b64 s[48:49], s[50:51], s[48:49]
	s_andn2_b64 exec, exec, s[48:49]
	s_cbranch_execz .LBB232_31
.LBB232_21:                             ;   Parent Loop BB232_16 Depth=1
                                        ;     Parent Loop BB232_19 Depth=2
                                        ; =>    This Inner Loop Header: Depth=3
	v_lshl_add_u32 v52, v60, 2, 0
	ds_read_b32 v61, v52
                                        ; implicit-def: $sgpr52_sgpr53
	s_waitcnt lgkmcnt(0)
	v_cmp_ne_u32_e32 vcc, v61, v58
	s_and_saveexec_b64 s[50:51], vcc
	s_xor_b64 s[50:51], exec, s[50:51]
	s_cbranch_execz .LBB232_29
; %bb.22:                               ;   in Loop: Header=BB232_21 Depth=3
	v_cmp_ne_u32_e32 vcc, s60, v61
                                        ; implicit-def: $sgpr52_sgpr53
	s_and_saveexec_b64 s[54:55], vcc
	s_xor_b64 s[54:55], exec, s[54:55]
; %bb.23:                               ;   in Loop: Header=BB232_21 Depth=3
	v_add_u32_e32 v52, 1, v60
	v_and_b32_e32 v60, 0xff, v52
	s_mov_b64 s[52:53], -1
                                        ; implicit-def: $vgpr52
; %bb.24:                               ;   in Loop: Header=BB232_21 Depth=3
	s_andn2_saveexec_b64 s[54:55], s[54:55]
	s_cbranch_execz .LBB232_28
; %bb.25:                               ;   in Loop: Header=BB232_21 Depth=3
	v_mov_b32_e32 v61, s60
	ds_cmpst_rtn_b32 v61, v52, v61, v58
	s_mov_b64 s[58:59], -1
	s_waitcnt lgkmcnt(0)
	v_cmp_eq_u32_e32 vcc, s60, v61
	s_and_saveexec_b64 s[56:57], vcc
	s_cbranch_execz .LBB232_27
; %bb.26:                               ;   in Loop: Header=BB232_21 Depth=3
	v_mad_u64_u32 v[62:63], s[58:59], v60, 60, v[52:53]
	ds_add_f64 v62, v[50:51] offset:1024
	ds_add_f64 v62, v[48:49] offset:1032
	s_xor_b64 s[58:59], exec, -1
.LBB232_27:                             ;   in Loop: Header=BB232_21 Depth=3
	s_or_b64 exec, exec, s[56:57]
	s_andn2_b64 s[52:53], s[52:53], exec
	s_and_b64 s[56:57], s[58:59], exec
	s_or_b64 s[52:53], s[52:53], s[56:57]
.LBB232_28:                             ;   in Loop: Header=BB232_21 Depth=3
	s_or_b64 exec, exec, s[54:55]
	s_and_b64 s[52:53], s[52:53], exec
                                        ; implicit-def: $vgpr52
.LBB232_29:                             ;   in Loop: Header=BB232_21 Depth=3
	s_andn2_saveexec_b64 s[50:51], s[50:51]
	s_cbranch_execz .LBB232_20
; %bb.30:                               ;   in Loop: Header=BB232_21 Depth=3
	v_mad_u64_u32 v[62:63], s[54:55], v60, 60, v[52:53]
	ds_add_f64 v62, v[50:51] offset:1024
	ds_add_f64 v62, v[48:49] offset:1032
	s_andn2_b64 s[52:53], s[52:53], exec
	s_branch .LBB232_20
.LBB232_31:                             ;   in Loop: Header=BB232_19 Depth=2
	s_or_b64 exec, exec, s[48:49]
	s_waitcnt vmcnt(0)
	v_mul_f64 v[50:51], v[8:9], -v[42:43]
	v_mul_f64 v[48:49], v[40:41], v[8:9]
	v_fmac_f64_e32 v[50:51], v[40:41], v[6:7]
	v_fmac_f64_e32 v[48:49], v[42:43], v[6:7]
	v_fmac_f64_e32 v[50:51], v[32:33], v[2:3]
	v_fmac_f64_e32 v[48:49], v[34:35], v[2:3]
	v_fma_f64 v[50:51], -v[34:35], v[4:5], v[50:51]
	v_fmac_f64_e32 v[48:49], v[32:33], v[4:5]
	s_mov_b64 s[48:49], 0
	v_mov_b32_e32 v60, v59
	s_branch .LBB232_33
.LBB232_32:                             ;   in Loop: Header=BB232_33 Depth=3
	s_or_b64 exec, exec, s[50:51]
	s_xor_b64 s[50:51], s[52:53], -1
	s_and_b64 s[50:51], exec, s[50:51]
	s_or_b64 s[48:49], s[50:51], s[48:49]
	s_andn2_b64 exec, exec, s[48:49]
	s_cbranch_execz .LBB232_43
.LBB232_33:                             ;   Parent Loop BB232_16 Depth=1
                                        ;     Parent Loop BB232_19 Depth=2
                                        ; =>    This Inner Loop Header: Depth=3
	v_lshl_add_u32 v52, v60, 2, 0
	ds_read_b32 v61, v52
                                        ; implicit-def: $sgpr52_sgpr53
	s_waitcnt lgkmcnt(0)
	v_cmp_ne_u32_e32 vcc, v61, v58
	s_and_saveexec_b64 s[50:51], vcc
	s_xor_b64 s[50:51], exec, s[50:51]
	s_cbranch_execz .LBB232_41
; %bb.34:                               ;   in Loop: Header=BB232_33 Depth=3
	v_cmp_ne_u32_e32 vcc, s60, v61
                                        ; implicit-def: $sgpr52_sgpr53
	s_and_saveexec_b64 s[54:55], vcc
	s_xor_b64 s[54:55], exec, s[54:55]
; %bb.35:                               ;   in Loop: Header=BB232_33 Depth=3
	v_add_u32_e32 v52, 1, v60
	v_and_b32_e32 v60, 0xff, v52
	s_mov_b64 s[52:53], -1
                                        ; implicit-def: $vgpr52
; %bb.36:                               ;   in Loop: Header=BB232_33 Depth=3
	s_andn2_saveexec_b64 s[54:55], s[54:55]
	s_cbranch_execz .LBB232_40
; %bb.37:                               ;   in Loop: Header=BB232_33 Depth=3
	v_mov_b32_e32 v61, s60
	ds_cmpst_rtn_b32 v61, v52, v61, v58
	s_mov_b64 s[58:59], -1
	s_waitcnt lgkmcnt(0)
	v_cmp_eq_u32_e32 vcc, s60, v61
	s_and_saveexec_b64 s[56:57], vcc
	s_cbranch_execz .LBB232_39
; %bb.38:                               ;   in Loop: Header=BB232_33 Depth=3
	v_mad_u64_u32 v[62:63], s[58:59], v60, 60, v[52:53]
	ds_add_f64 v62, v[50:51] offset:1040
	ds_add_f64 v62, v[48:49] offset:1048
	s_xor_b64 s[58:59], exec, -1
.LBB232_39:                             ;   in Loop: Header=BB232_33 Depth=3
	s_or_b64 exec, exec, s[56:57]
	s_andn2_b64 s[52:53], s[52:53], exec
	s_and_b64 s[56:57], s[58:59], exec
	s_or_b64 s[52:53], s[52:53], s[56:57]
.LBB232_40:                             ;   in Loop: Header=BB232_33 Depth=3
	s_or_b64 exec, exec, s[54:55]
	s_and_b64 s[52:53], s[52:53], exec
                                        ; implicit-def: $vgpr52
.LBB232_41:                             ;   in Loop: Header=BB232_33 Depth=3
	s_andn2_saveexec_b64 s[50:51], s[50:51]
	s_cbranch_execz .LBB232_32
; %bb.42:                               ;   in Loop: Header=BB232_33 Depth=3
	v_mad_u64_u32 v[62:63], s[54:55], v60, 60, v[52:53]
	ds_add_f64 v62, v[50:51] offset:1040
	ds_add_f64 v62, v[48:49] offset:1048
	s_andn2_b64 s[52:53], s[52:53], exec
	s_branch .LBB232_32
.LBB232_43:                             ;   in Loop: Header=BB232_19 Depth=2
	s_or_b64 exec, exec, s[48:49]
	v_mul_f64 v[48:49], v[16:17], -v[38:39]
	v_mul_f64 v[16:17], v[36:37], v[16:17]
	v_fmac_f64_e32 v[48:49], v[36:37], v[14:15]
	v_fmac_f64_e32 v[16:17], v[38:39], v[14:15]
	;; [unrolled: 1-line block ×4, first 2 shown]
	v_fma_f64 v[14:15], -v[46:47], v[12:13], v[48:49]
	v_fmac_f64_e32 v[16:17], v[44:45], v[12:13]
	s_mov_b64 s[48:49], 0
	v_mov_b32_e32 v11, v59
	s_branch .LBB232_45
.LBB232_44:                             ;   in Loop: Header=BB232_45 Depth=3
	s_or_b64 exec, exec, s[50:51]
	s_xor_b64 s[50:51], s[52:53], -1
	s_and_b64 s[50:51], exec, s[50:51]
	s_or_b64 s[48:49], s[50:51], s[48:49]
	s_andn2_b64 exec, exec, s[48:49]
	s_cbranch_execz .LBB232_55
.LBB232_45:                             ;   Parent Loop BB232_16 Depth=1
                                        ;     Parent Loop BB232_19 Depth=2
                                        ; =>    This Inner Loop Header: Depth=3
	v_lshl_add_u32 v10, v11, 2, 0
	ds_read_b32 v12, v10
                                        ; implicit-def: $sgpr52_sgpr53
	s_waitcnt lgkmcnt(0)
	v_cmp_ne_u32_e32 vcc, v12, v58
	s_and_saveexec_b64 s[50:51], vcc
	s_xor_b64 s[50:51], exec, s[50:51]
	s_cbranch_execz .LBB232_53
; %bb.46:                               ;   in Loop: Header=BB232_45 Depth=3
	v_cmp_ne_u32_e32 vcc, s60, v12
                                        ; implicit-def: $sgpr52_sgpr53
	s_and_saveexec_b64 s[54:55], vcc
	s_xor_b64 s[54:55], exec, s[54:55]
; %bb.47:                               ;   in Loop: Header=BB232_45 Depth=3
	v_add_u32_e32 v10, 1, v11
	v_and_b32_e32 v11, 0xff, v10
	s_mov_b64 s[52:53], -1
                                        ; implicit-def: $vgpr10
; %bb.48:                               ;   in Loop: Header=BB232_45 Depth=3
	s_andn2_saveexec_b64 s[54:55], s[54:55]
	s_cbranch_execz .LBB232_52
; %bb.49:                               ;   in Loop: Header=BB232_45 Depth=3
	v_mov_b32_e32 v12, s60
	ds_cmpst_rtn_b32 v12, v10, v12, v58
	s_mov_b64 s[58:59], -1
	s_waitcnt lgkmcnt(0)
	v_cmp_eq_u32_e32 vcc, s60, v12
	s_and_saveexec_b64 s[56:57], vcc
	s_cbranch_execz .LBB232_51
; %bb.50:                               ;   in Loop: Header=BB232_45 Depth=3
	v_mad_u64_u32 v[12:13], s[58:59], v11, 60, v[10:11]
	ds_add_f64 v12, v[14:15] offset:1056
	ds_add_f64 v12, v[16:17] offset:1064
	s_xor_b64 s[58:59], exec, -1
.LBB232_51:                             ;   in Loop: Header=BB232_45 Depth=3
	s_or_b64 exec, exec, s[56:57]
	s_andn2_b64 s[52:53], s[52:53], exec
	s_and_b64 s[56:57], s[58:59], exec
	s_or_b64 s[52:53], s[52:53], s[56:57]
.LBB232_52:                             ;   in Loop: Header=BB232_45 Depth=3
	s_or_b64 exec, exec, s[54:55]
	s_and_b64 s[52:53], s[52:53], exec
                                        ; implicit-def: $vgpr10
.LBB232_53:                             ;   in Loop: Header=BB232_45 Depth=3
	s_andn2_saveexec_b64 s[50:51], s[50:51]
	s_cbranch_execz .LBB232_44
; %bb.54:                               ;   in Loop: Header=BB232_45 Depth=3
	v_mad_u64_u32 v[12:13], s[54:55], v11, 60, v[10:11]
	ds_add_f64 v12, v[14:15] offset:1056
	ds_add_f64 v12, v[16:17] offset:1064
	s_andn2_b64 s[52:53], s[52:53], exec
	s_branch .LBB232_44
.LBB232_55:                             ;   in Loop: Header=BB232_19 Depth=2
	s_or_b64 exec, exec, s[48:49]
	v_mul_f64 v[10:11], v[8:9], -v[38:39]
	v_mul_f64 v[8:9], v[36:37], v[8:9]
	v_fmac_f64_e32 v[10:11], v[36:37], v[6:7]
	v_fmac_f64_e32 v[8:9], v[38:39], v[6:7]
	;; [unrolled: 1-line block ×4, first 2 shown]
	v_fma_f64 v[6:7], -v[46:47], v[4:5], v[10:11]
	v_fmac_f64_e32 v[8:9], v[44:45], v[4:5]
	s_mov_b64 s[48:49], 0
	s_branch .LBB232_57
.LBB232_56:                             ;   in Loop: Header=BB232_57 Depth=3
	s_or_b64 exec, exec, s[50:51]
	s_xor_b64 s[50:51], s[52:53], -1
	s_and_b64 s[50:51], exec, s[50:51]
	s_or_b64 s[48:49], s[50:51], s[48:49]
	s_andn2_b64 exec, exec, s[48:49]
	s_cbranch_execz .LBB232_18
.LBB232_57:                             ;   Parent Loop BB232_16 Depth=1
                                        ;     Parent Loop BB232_19 Depth=2
                                        ; =>    This Inner Loop Header: Depth=3
	v_lshl_add_u32 v2, v59, 2, 0
	ds_read_b32 v3, v2
                                        ; implicit-def: $sgpr52_sgpr53
	s_waitcnt lgkmcnt(0)
	v_cmp_ne_u32_e32 vcc, v3, v58
	s_and_saveexec_b64 s[50:51], vcc
	s_xor_b64 s[50:51], exec, s[50:51]
	s_cbranch_execz .LBB232_65
; %bb.58:                               ;   in Loop: Header=BB232_57 Depth=3
	v_cmp_ne_u32_e32 vcc, s60, v3
                                        ; implicit-def: $sgpr52_sgpr53
	s_and_saveexec_b64 s[54:55], vcc
	s_xor_b64 s[54:55], exec, s[54:55]
; %bb.59:                               ;   in Loop: Header=BB232_57 Depth=3
	v_add_u32_e32 v2, 1, v59
	v_and_b32_e32 v59, 0xff, v2
	s_mov_b64 s[52:53], -1
                                        ; implicit-def: $vgpr2
; %bb.60:                               ;   in Loop: Header=BB232_57 Depth=3
	s_andn2_saveexec_b64 s[54:55], s[54:55]
	s_cbranch_execz .LBB232_64
; %bb.61:                               ;   in Loop: Header=BB232_57 Depth=3
	v_mov_b32_e32 v3, s60
	ds_cmpst_rtn_b32 v3, v2, v3, v58
	s_mov_b64 s[58:59], -1
	s_waitcnt lgkmcnt(0)
	v_cmp_eq_u32_e32 vcc, s60, v3
	s_and_saveexec_b64 s[56:57], vcc
	s_cbranch_execz .LBB232_63
; %bb.62:                               ;   in Loop: Header=BB232_57 Depth=3
	v_mad_u64_u32 v[2:3], s[58:59], v59, 60, v[2:3]
	ds_add_f64 v2, v[6:7] offset:1072
	ds_add_f64 v2, v[8:9] offset:1080
	s_xor_b64 s[58:59], exec, -1
.LBB232_63:                             ;   in Loop: Header=BB232_57 Depth=3
	s_or_b64 exec, exec, s[56:57]
	s_andn2_b64 s[52:53], s[52:53], exec
	s_and_b64 s[56:57], s[58:59], exec
	s_or_b64 s[52:53], s[52:53], s[56:57]
.LBB232_64:                             ;   in Loop: Header=BB232_57 Depth=3
	s_or_b64 exec, exec, s[54:55]
	s_and_b64 s[52:53], s[52:53], exec
                                        ; implicit-def: $vgpr2
.LBB232_65:                             ;   in Loop: Header=BB232_57 Depth=3
	s_andn2_saveexec_b64 s[50:51], s[50:51]
	s_cbranch_execz .LBB232_56
; %bb.66:                               ;   in Loop: Header=BB232_57 Depth=3
	v_mad_u64_u32 v[2:3], s[54:55], v59, 60, v[2:3]
	ds_add_f64 v2, v[6:7] offset:1072
	ds_add_f64 v2, v[8:9] offset:1080
	s_andn2_b64 s[52:53], s[52:53], exec
	s_branch .LBB232_56
.LBB232_67:
	s_or_b64 exec, exec, s[10:11]
.LBB232_68:
	s_andn2_b64 vcc, exec, s[34:35]
	s_waitcnt lgkmcnt(0)
	s_barrier
	s_cbranch_vccnz .LBB232_121
; %bb.69:
	s_lshl_b64 s[4:5], s[8:9], 3
	s_add_u32 s4, s12, s4
	s_addc_u32 s5, s13, s5
	s_load_dwordx4 s[20:23], s[4:5], 0x0
	v_subrev_co_u32_e32 v2, vcc, s31, v0
	v_subb_co_u32_e64 v3, s[4:5], 0, 0, vcc
	s_waitcnt lgkmcnt(0)
	s_sub_u32 s4, s22, s31
	v_mov_b32_e32 v4, s21
	v_add_co_u32_e32 v14, vcc, s20, v2
	s_subb_u32 s5, s23, 0
	v_addc_co_u32_e32 v15, vcc, v4, v3, vcc
	v_cmp_gt_i64_e32 vcc, s[4:5], v[14:15]
	s_and_saveexec_b64 s[10:11], vcc
	s_cbranch_execz .LBB232_120
; %bb.70:
	s_cmp_eq_u32 s33, 0
	s_cselect_b32 s40, 1, 2
	s_cselect_b32 s41, 2, 1
	s_mov_b64 s[12:13], 0
	s_waitcnt vmcnt(0)
	v_mov_b32_e32 v25, s17
	v_mov_b32_e32 v26, s15
	s_movk_i32 s15, 0x89
	s_branch .LBB232_72
.LBB232_71:                             ;   in Loop: Header=BB232_72 Depth=1
	s_or_b64 exec, exec, s[20:21]
	v_add_co_u32_e32 v14, vcc, 0x100, v14
	v_addc_co_u32_e32 v15, vcc, 0, v15, vcc
	v_cmp_le_i64_e32 vcc, s[4:5], v[14:15]
	s_or_b64 s[12:13], vcc, s[12:13]
	s_andn2_b64 exec, exec, s[12:13]
	s_cbranch_execz .LBB232_120
.LBB232_72:                             ; =>This Loop Header: Depth=1
                                        ;     Child Loop BB232_74 Depth 2
                                        ;     Child Loop BB232_86 Depth 2
	;; [unrolled: 1-line block ×4, first 2 shown]
	v_lshlrev_b64 v[2:3], 6, v[14:15]
	v_add_co_u32_e32 v8, vcc, s16, v2
	v_lshlrev_b64 v[6:7], 2, v[14:15]
	v_addc_co_u32_e32 v9, vcc, v25, v3, vcc
	global_load_dwordx4 v[28:31], v[8:9], off
	global_load_dwordx4 v[2:5], v[8:9], off offset:48
	v_or_b32_e32 v9, 0, v7
	v_or_b32_e32 v8, s40, v6
	v_lshlrev_b64 v[8:9], 4, v[8:9]
	v_add_co_u32_e32 v16, vcc, s16, v8
	v_addc_co_u32_e32 v17, vcc, v25, v9, vcc
	v_or_b32_e32 v8, s41, v6
	v_add_co_u32_e32 v6, vcc, s14, v6
	v_or_b32_e32 v9, 0, v7
	v_addc_co_u32_e32 v7, vcc, v26, v7, vcc
	global_load_dword v24, v[6:7], off
	v_lshlrev_b64 v[6:7], 4, v[8:9]
	v_add_co_u32_e32 v22, vcc, s16, v6
	v_addc_co_u32_e32 v23, vcc, v25, v7, vcc
	global_load_dwordx4 v[10:13], v[16:17], off
	global_load_dwordx4 v[6:9], v[22:23], off
	s_mov_b64 s[20:21], 0
	s_waitcnt vmcnt(4)
	v_mul_f64 v[16:17], v[30:31], -v[18:19]
	v_mul_f64 v[22:23], v[20:21], v[30:31]
	v_fmac_f64_e32 v[16:17], v[20:21], v[28:29]
	v_fmac_f64_e32 v[22:23], v[18:19], v[28:29]
	s_waitcnt vmcnt(2)
	v_subrev_u32_e32 v27, s31, v24
	v_mul_lo_u32 v24, v27, s15
	v_and_b32_e32 v28, 0xff, v24
	v_mov_b32_e32 v29, v28
	s_branch .LBB232_74
.LBB232_73:                             ;   in Loop: Header=BB232_74 Depth=2
	s_or_b64 exec, exec, s[22:23]
	s_xor_b64 s[22:23], s[24:25], -1
	s_and_b64 s[22:23], exec, s[22:23]
	s_or_b64 s[20:21], s[22:23], s[20:21]
	s_andn2_b64 exec, exec, s[20:21]
	s_cbranch_execz .LBB232_84
.LBB232_74:                             ;   Parent Loop BB232_72 Depth=1
                                        ; =>  This Inner Loop Header: Depth=2
	v_lshl_add_u32 v24, v29, 2, 0
	ds_read_b32 v30, v24
                                        ; implicit-def: $sgpr24_sgpr25
	s_waitcnt lgkmcnt(0)
	v_cmp_ne_u32_e32 vcc, v30, v27
	s_and_saveexec_b64 s[22:23], vcc
	s_xor_b64 s[22:23], exec, s[22:23]
	s_cbranch_execz .LBB232_82
; %bb.75:                               ;   in Loop: Header=BB232_74 Depth=2
	v_cmp_ne_u32_e32 vcc, s60, v30
                                        ; implicit-def: $sgpr24_sgpr25
	s_and_saveexec_b64 s[26:27], vcc
	s_xor_b64 s[26:27], exec, s[26:27]
; %bb.76:                               ;   in Loop: Header=BB232_74 Depth=2
	v_add_u32_e32 v24, 1, v29
	v_and_b32_e32 v29, 0xff, v24
	s_mov_b64 s[24:25], -1
                                        ; implicit-def: $vgpr24
; %bb.77:                               ;   in Loop: Header=BB232_74 Depth=2
	s_andn2_saveexec_b64 s[26:27], s[26:27]
	s_cbranch_execz .LBB232_81
; %bb.78:                               ;   in Loop: Header=BB232_74 Depth=2
	v_mov_b32_e32 v30, s60
	ds_cmpst_rtn_b32 v30, v24, v30, v27
	s_mov_b64 s[34:35], -1
	s_waitcnt lgkmcnt(0)
	v_cmp_eq_u32_e32 vcc, s60, v30
	s_and_saveexec_b64 s[28:29], vcc
	s_cbranch_execz .LBB232_80
; %bb.79:                               ;   in Loop: Header=BB232_74 Depth=2
	v_mad_u64_u32 v[30:31], s[34:35], v29, 60, v[24:25]
	ds_add_f64 v30, v[16:17] offset:1024
	ds_add_f64 v30, v[22:23] offset:1032
	s_xor_b64 s[34:35], exec, -1
.LBB232_80:                             ;   in Loop: Header=BB232_74 Depth=2
	s_or_b64 exec, exec, s[28:29]
	s_andn2_b64 s[24:25], s[24:25], exec
	s_and_b64 s[28:29], s[34:35], exec
	s_or_b64 s[24:25], s[24:25], s[28:29]
.LBB232_81:                             ;   in Loop: Header=BB232_74 Depth=2
	s_or_b64 exec, exec, s[26:27]
	s_and_b64 s[24:25], s[24:25], exec
                                        ; implicit-def: $vgpr24
.LBB232_82:                             ;   in Loop: Header=BB232_74 Depth=2
	s_andn2_saveexec_b64 s[22:23], s[22:23]
	s_cbranch_execz .LBB232_73
; %bb.83:                               ;   in Loop: Header=BB232_74 Depth=2
	v_mad_u64_u32 v[30:31], s[26:27], v29, 60, v[24:25]
	ds_add_f64 v30, v[16:17] offset:1024
	ds_add_f64 v30, v[22:23] offset:1032
	s_andn2_b64 s[24:25], s[24:25], exec
	s_branch .LBB232_73
.LBB232_84:                             ;   in Loop: Header=BB232_72 Depth=1
	s_or_b64 exec, exec, s[20:21]
	s_waitcnt vmcnt(1)
	v_mul_f64 v[16:17], v[12:13], -v[18:19]
	v_mul_f64 v[12:13], v[20:21], v[12:13]
	v_fmac_f64_e32 v[16:17], v[20:21], v[10:11]
	v_fmac_f64_e32 v[12:13], v[18:19], v[10:11]
	s_mov_b64 s[20:21], 0
	v_mov_b32_e32 v11, v28
	s_branch .LBB232_86
.LBB232_85:                             ;   in Loop: Header=BB232_86 Depth=2
	s_or_b64 exec, exec, s[22:23]
	s_xor_b64 s[22:23], s[24:25], -1
	s_and_b64 s[22:23], exec, s[22:23]
	s_or_b64 s[20:21], s[22:23], s[20:21]
	s_andn2_b64 exec, exec, s[20:21]
	s_cbranch_execz .LBB232_96
.LBB232_86:                             ;   Parent Loop BB232_72 Depth=1
                                        ; =>  This Inner Loop Header: Depth=2
	v_lshl_add_u32 v10, v11, 2, 0
	ds_read_b32 v22, v10
                                        ; implicit-def: $sgpr24_sgpr25
	s_waitcnt lgkmcnt(0)
	v_cmp_ne_u32_e32 vcc, v22, v27
	s_and_saveexec_b64 s[22:23], vcc
	s_xor_b64 s[22:23], exec, s[22:23]
	s_cbranch_execz .LBB232_94
; %bb.87:                               ;   in Loop: Header=BB232_86 Depth=2
	v_cmp_ne_u32_e32 vcc, s60, v22
                                        ; implicit-def: $sgpr24_sgpr25
	s_and_saveexec_b64 s[26:27], vcc
	s_xor_b64 s[26:27], exec, s[26:27]
; %bb.88:                               ;   in Loop: Header=BB232_86 Depth=2
	v_add_u32_e32 v10, 1, v11
	v_and_b32_e32 v11, 0xff, v10
	s_mov_b64 s[24:25], -1
                                        ; implicit-def: $vgpr10
; %bb.89:                               ;   in Loop: Header=BB232_86 Depth=2
	s_andn2_saveexec_b64 s[26:27], s[26:27]
	s_cbranch_execz .LBB232_93
; %bb.90:                               ;   in Loop: Header=BB232_86 Depth=2
	v_mov_b32_e32 v22, s60
	ds_cmpst_rtn_b32 v22, v10, v22, v27
	s_mov_b64 s[34:35], -1
	s_waitcnt lgkmcnt(0)
	v_cmp_eq_u32_e32 vcc, s60, v22
	s_and_saveexec_b64 s[28:29], vcc
	s_cbranch_execz .LBB232_92
; %bb.91:                               ;   in Loop: Header=BB232_86 Depth=2
	v_mad_u64_u32 v[22:23], s[34:35], v11, 60, v[10:11]
	ds_add_f64 v22, v[16:17] offset:1040
	ds_add_f64 v22, v[12:13] offset:1048
	s_xor_b64 s[34:35], exec, -1
.LBB232_92:                             ;   in Loop: Header=BB232_86 Depth=2
	s_or_b64 exec, exec, s[28:29]
	s_andn2_b64 s[24:25], s[24:25], exec
	s_and_b64 s[28:29], s[34:35], exec
	s_or_b64 s[24:25], s[24:25], s[28:29]
.LBB232_93:                             ;   in Loop: Header=BB232_86 Depth=2
	s_or_b64 exec, exec, s[26:27]
	s_and_b64 s[24:25], s[24:25], exec
                                        ; implicit-def: $vgpr10
.LBB232_94:                             ;   in Loop: Header=BB232_86 Depth=2
	s_andn2_saveexec_b64 s[22:23], s[22:23]
	s_cbranch_execz .LBB232_85
; %bb.95:                               ;   in Loop: Header=BB232_86 Depth=2
	v_mad_u64_u32 v[22:23], s[26:27], v11, 60, v[10:11]
	ds_add_f64 v22, v[16:17] offset:1040
	ds_add_f64 v22, v[12:13] offset:1048
	s_andn2_b64 s[24:25], s[24:25], exec
	s_branch .LBB232_85
.LBB232_96:                             ;   in Loop: Header=BB232_72 Depth=1
	s_or_b64 exec, exec, s[20:21]
	s_waitcnt vmcnt(0)
	v_mul_f64 v[10:11], v[8:9], -v[18:19]
	v_mul_f64 v[8:9], v[20:21], v[8:9]
	v_fmac_f64_e32 v[10:11], v[20:21], v[6:7]
	v_fmac_f64_e32 v[8:9], v[18:19], v[6:7]
	s_mov_b64 s[20:21], 0
	v_mov_b32_e32 v7, v28
	s_branch .LBB232_98
.LBB232_97:                             ;   in Loop: Header=BB232_98 Depth=2
	s_or_b64 exec, exec, s[22:23]
	s_xor_b64 s[22:23], s[24:25], -1
	s_and_b64 s[22:23], exec, s[22:23]
	s_or_b64 s[20:21], s[22:23], s[20:21]
	s_andn2_b64 exec, exec, s[20:21]
	s_cbranch_execz .LBB232_108
.LBB232_98:                             ;   Parent Loop BB232_72 Depth=1
                                        ; =>  This Inner Loop Header: Depth=2
	v_lshl_add_u32 v6, v7, 2, 0
	ds_read_b32 v12, v6
                                        ; implicit-def: $sgpr24_sgpr25
	s_waitcnt lgkmcnt(0)
	v_cmp_ne_u32_e32 vcc, v12, v27
	s_and_saveexec_b64 s[22:23], vcc
	s_xor_b64 s[22:23], exec, s[22:23]
	s_cbranch_execz .LBB232_106
; %bb.99:                               ;   in Loop: Header=BB232_98 Depth=2
	v_cmp_ne_u32_e32 vcc, s60, v12
                                        ; implicit-def: $sgpr24_sgpr25
	s_and_saveexec_b64 s[26:27], vcc
	s_xor_b64 s[26:27], exec, s[26:27]
; %bb.100:                              ;   in Loop: Header=BB232_98 Depth=2
	v_add_u32_e32 v6, 1, v7
	v_and_b32_e32 v7, 0xff, v6
	s_mov_b64 s[24:25], -1
                                        ; implicit-def: $vgpr6
; %bb.101:                              ;   in Loop: Header=BB232_98 Depth=2
	s_andn2_saveexec_b64 s[26:27], s[26:27]
	s_cbranch_execz .LBB232_105
; %bb.102:                              ;   in Loop: Header=BB232_98 Depth=2
	v_mov_b32_e32 v12, s60
	ds_cmpst_rtn_b32 v12, v6, v12, v27
	s_mov_b64 s[34:35], -1
	s_waitcnt lgkmcnt(0)
	v_cmp_eq_u32_e32 vcc, s60, v12
	s_and_saveexec_b64 s[28:29], vcc
	s_cbranch_execz .LBB232_104
; %bb.103:                              ;   in Loop: Header=BB232_98 Depth=2
	v_mad_u64_u32 v[12:13], s[34:35], v7, 60, v[6:7]
	ds_add_f64 v12, v[10:11] offset:1056
	ds_add_f64 v12, v[8:9] offset:1064
	s_xor_b64 s[34:35], exec, -1
.LBB232_104:                            ;   in Loop: Header=BB232_98 Depth=2
	s_or_b64 exec, exec, s[28:29]
	s_andn2_b64 s[24:25], s[24:25], exec
	s_and_b64 s[28:29], s[34:35], exec
	s_or_b64 s[24:25], s[24:25], s[28:29]
.LBB232_105:                            ;   in Loop: Header=BB232_98 Depth=2
	s_or_b64 exec, exec, s[26:27]
	s_and_b64 s[24:25], s[24:25], exec
                                        ; implicit-def: $vgpr6
.LBB232_106:                            ;   in Loop: Header=BB232_98 Depth=2
	s_andn2_saveexec_b64 s[22:23], s[22:23]
	s_cbranch_execz .LBB232_97
; %bb.107:                              ;   in Loop: Header=BB232_98 Depth=2
	v_mad_u64_u32 v[12:13], s[26:27], v7, 60, v[6:7]
	ds_add_f64 v12, v[10:11] offset:1056
	ds_add_f64 v12, v[8:9] offset:1064
	s_andn2_b64 s[24:25], s[24:25], exec
	s_branch .LBB232_97
.LBB232_108:                            ;   in Loop: Header=BB232_72 Depth=1
	s_or_b64 exec, exec, s[20:21]
	v_mul_f64 v[6:7], v[4:5], -v[18:19]
	v_mul_f64 v[4:5], v[20:21], v[4:5]
	v_fmac_f64_e32 v[6:7], v[20:21], v[2:3]
	v_fmac_f64_e32 v[4:5], v[18:19], v[2:3]
	s_mov_b64 s[20:21], 0
	s_branch .LBB232_110
.LBB232_109:                            ;   in Loop: Header=BB232_110 Depth=2
	s_or_b64 exec, exec, s[22:23]
	s_xor_b64 s[22:23], s[24:25], -1
	s_and_b64 s[22:23], exec, s[22:23]
	s_or_b64 s[20:21], s[22:23], s[20:21]
	s_andn2_b64 exec, exec, s[20:21]
	s_cbranch_execz .LBB232_71
.LBB232_110:                            ;   Parent Loop BB232_72 Depth=1
                                        ; =>  This Inner Loop Header: Depth=2
	v_lshl_add_u32 v2, v28, 2, 0
	ds_read_b32 v3, v2
                                        ; implicit-def: $sgpr24_sgpr25
	s_waitcnt lgkmcnt(0)
	v_cmp_ne_u32_e32 vcc, v3, v27
	s_and_saveexec_b64 s[22:23], vcc
	s_xor_b64 s[22:23], exec, s[22:23]
	s_cbranch_execz .LBB232_118
; %bb.111:                              ;   in Loop: Header=BB232_110 Depth=2
	v_cmp_ne_u32_e32 vcc, s60, v3
                                        ; implicit-def: $sgpr24_sgpr25
	s_and_saveexec_b64 s[26:27], vcc
	s_xor_b64 s[26:27], exec, s[26:27]
; %bb.112:                              ;   in Loop: Header=BB232_110 Depth=2
	v_add_u32_e32 v2, 1, v28
	v_and_b32_e32 v28, 0xff, v2
	s_mov_b64 s[24:25], -1
                                        ; implicit-def: $vgpr2
; %bb.113:                              ;   in Loop: Header=BB232_110 Depth=2
	s_andn2_saveexec_b64 s[26:27], s[26:27]
	s_cbranch_execz .LBB232_117
; %bb.114:                              ;   in Loop: Header=BB232_110 Depth=2
	v_mov_b32_e32 v3, s60
	ds_cmpst_rtn_b32 v3, v2, v3, v27
	s_mov_b64 s[34:35], -1
	s_waitcnt lgkmcnt(0)
	v_cmp_eq_u32_e32 vcc, s60, v3
	s_and_saveexec_b64 s[28:29], vcc
	s_cbranch_execz .LBB232_116
; %bb.115:                              ;   in Loop: Header=BB232_110 Depth=2
	v_mad_u64_u32 v[2:3], s[34:35], v28, 60, v[2:3]
	ds_add_f64 v2, v[6:7] offset:1072
	ds_add_f64 v2, v[4:5] offset:1080
	s_xor_b64 s[34:35], exec, -1
.LBB232_116:                            ;   in Loop: Header=BB232_110 Depth=2
	s_or_b64 exec, exec, s[28:29]
	s_andn2_b64 s[24:25], s[24:25], exec
	s_and_b64 s[28:29], s[34:35], exec
	s_or_b64 s[24:25], s[24:25], s[28:29]
.LBB232_117:                            ;   in Loop: Header=BB232_110 Depth=2
	s_or_b64 exec, exec, s[26:27]
	s_and_b64 s[24:25], s[24:25], exec
                                        ; implicit-def: $vgpr2
.LBB232_118:                            ;   in Loop: Header=BB232_110 Depth=2
	s_andn2_saveexec_b64 s[22:23], s[22:23]
	s_cbranch_execz .LBB232_109
; %bb.119:                              ;   in Loop: Header=BB232_110 Depth=2
	v_mad_u64_u32 v[2:3], s[26:27], v28, 60, v[2:3]
	ds_add_f64 v2, v[6:7] offset:1072
	ds_add_f64 v2, v[4:5] offset:1080
	s_andn2_b64 s[24:25], s[24:25], exec
	s_branch .LBB232_109
.LBB232_120:
	s_or_b64 exec, exec, s[10:11]
.LBB232_121:
	s_waitcnt lgkmcnt(0)
	s_barrier
	s_and_saveexec_b64 s[4:5], s[6:7]
	s_cbranch_execz .LBB232_126
; %bb.122:
	ds_read_b32 v1, v1
	s_mov_b32 s4, 0
	s_waitcnt lgkmcnt(0)
	v_cmp_gt_i32_e32 vcc, s60, v1
	s_and_b64 exec, exec, vcc
	s_cbranch_execz .LBB232_126
; %bb.123:
	s_lshl_b64 s[6:7], s[8:9], 3
	s_add_u32 s6, s18, s6
	s_addc_u32 s7, s19, s7
	s_load_dwordx2 s[6:7], s[6:7], 0x0
	s_waitcnt lgkmcnt(0)
	s_sub_u32 s6, s6, s30
	s_subb_u32 s7, s7, 0
	v_pk_mov_b32 v[2:3], s[6:7], s[6:7] op_sel:[0,1]
.LBB232_124:                            ; =>This Inner Loop Header: Depth=1
	s_add_i32 s5, s4, 0
	s_waitcnt vmcnt(0)
	v_mov_b32_e32 v18, s5
	ds_read2_b32 v[4:5], v18 offset1:1
	ds_read2_b32 v[6:7], v18 offset0:2 offset1:3
	ds_read2_b32 v[8:9], v18 offset0:4 offset1:5
	ds_read2_b32 v[10:11], v18 offset0:6 offset1:7
	ds_read2_b32 v[12:13], v18 offset0:8 offset1:9
	ds_read2_b32 v[14:15], v18 offset0:10 offset1:11
	ds_read2_b32 v[16:17], v18 offset0:12 offset1:13
	ds_read2_b32 v[18:19], v18 offset0:14 offset1:15
	s_waitcnt lgkmcnt(7)
	v_cmp_gt_i32_e32 vcc, v1, v4
	v_cndmask_b32_e64 v4, 0, 1, vcc
	v_cmp_gt_i32_e32 vcc, v1, v5
	v_cndmask_b32_e64 v5, 0, 1, vcc
	s_waitcnt lgkmcnt(6)
	v_cmp_gt_i32_e32 vcc, v1, v6
	v_cndmask_b32_e64 v6, 0, 1, vcc
	v_cmp_gt_i32_e32 vcc, v1, v7
	v_cndmask_b32_e64 v7, 0, 1, vcc
	;; [unrolled: 5-line block ×8, first 2 shown]
	v_add_co_u32_e32 v2, vcc, v2, v4
	v_addc_co_u32_e32 v3, vcc, 0, v3, vcc
	v_add_co_u32_e32 v2, vcc, v2, v5
	v_addc_co_u32_e32 v3, vcc, 0, v3, vcc
	;; [unrolled: 2-line block ×15, first 2 shown]
	s_add_i32 s4, s4, 64
	v_add_co_u32_e32 v2, vcc, v2, v19
	s_cmpk_lg_i32 s4, 0x400
	v_addc_co_u32_e32 v3, vcc, 0, v3, vcc
	s_cbranch_scc1 .LBB232_124
; %bb.125:
	v_lshlrev_b64 v[4:5], 2, v[2:3]
	v_mov_b32_e32 v6, s37
	v_add_co_u32_e32 v4, vcc, s36, v4
	s_add_i32 s4, 0, 0x400
	v_add_u32_e32 v1, s30, v1
	v_addc_co_u32_e32 v5, vcc, v6, v5, vcc
	s_cmp_eq_u32 s33, 0
	global_store_dword v[4:5], v1, off
	v_lshlrev_b32_e32 v1, 2, v0
	v_lshlrev_b32_e32 v0, 6, v0
	v_add_u32_e32 v12, s4, v0
	s_cselect_b32 s4, 1, 2
	s_cselect_b32 s5, 2, 1
	v_add_u32_e32 v8, 0, v0
	v_or_b32_e32 v0, s4, v1
	v_or_b32_e32 v1, s5, v1
	v_lshl_add_u32 v0, v0, 4, 0
	v_lshl_add_u32 v4, v1, 4, 0
	v_lshlrev_b64 v[16:17], 6, v[2:3]
	ds_read2_b64 v[0:3], v0 offset0:128 offset1:129
	ds_read2_b64 v[4:7], v4 offset0:128 offset1:129
	;; [unrolled: 1-line block ×4, first 2 shown]
	v_mov_b32_e32 v18, s39
	v_add_co_u32_e32 v16, vcc, s38, v16
	v_addc_co_u32_e32 v17, vcc, v18, v17, vcc
	s_waitcnt lgkmcnt(1)
	global_store_dwordx4 v[16:17], v[8:11], off
	global_store_dwordx4 v[16:17], v[0:3], off offset:16
	global_store_dwordx4 v[16:17], v[4:7], off offset:32
	s_waitcnt lgkmcnt(0)
	global_store_dwordx4 v[16:17], v[12:15], off offset:48
.LBB232_126:
	s_endpgm
	.section	.rodata,"a",@progbits
	.p2align	6, 0x0
	.amdhsa_kernel _ZN9rocsparseL30bsrgemm_fill_block_per_row_2x2ILj256ELj16ELj256ELj137Eli21rocsparse_complex_numIdEEEv20rocsparse_direction_T4_S4_PKS4_S6_NS_24const_host_device_scalarIT5_EEPKT3_S6_PKS8_SC_S6_SE_S9_SC_S6_SE_SC_PS4_PS8_21rocsparse_index_base_SH_SH_SH_bbb
		.amdhsa_group_segment_fixed_size 0
		.amdhsa_private_segment_fixed_size 24
		.amdhsa_kernarg_size 180
		.amdhsa_user_sgpr_count 8
		.amdhsa_user_sgpr_private_segment_buffer 1
		.amdhsa_user_sgpr_dispatch_ptr 0
		.amdhsa_user_sgpr_queue_ptr 0
		.amdhsa_user_sgpr_kernarg_segment_ptr 1
		.amdhsa_user_sgpr_dispatch_id 0
		.amdhsa_user_sgpr_flat_scratch_init 1
		.amdhsa_user_sgpr_kernarg_preload_length 0
		.amdhsa_user_sgpr_kernarg_preload_offset 0
		.amdhsa_user_sgpr_private_segment_size 0
		.amdhsa_uses_dynamic_stack 0
		.amdhsa_system_sgpr_private_segment_wavefront_offset 1
		.amdhsa_system_sgpr_workgroup_id_x 1
		.amdhsa_system_sgpr_workgroup_id_y 0
		.amdhsa_system_sgpr_workgroup_id_z 0
		.amdhsa_system_sgpr_workgroup_info 0
		.amdhsa_system_vgpr_workitem_id 0
		.amdhsa_next_free_vgpr 64
		.amdhsa_next_free_sgpr 64
		.amdhsa_accum_offset 64
		.amdhsa_reserve_vcc 1
		.amdhsa_reserve_flat_scratch 1
		.amdhsa_float_round_mode_32 0
		.amdhsa_float_round_mode_16_64 0
		.amdhsa_float_denorm_mode_32 3
		.amdhsa_float_denorm_mode_16_64 3
		.amdhsa_dx10_clamp 1
		.amdhsa_ieee_mode 1
		.amdhsa_fp16_overflow 0
		.amdhsa_tg_split 0
		.amdhsa_exception_fp_ieee_invalid_op 0
		.amdhsa_exception_fp_denorm_src 0
		.amdhsa_exception_fp_ieee_div_zero 0
		.amdhsa_exception_fp_ieee_overflow 0
		.amdhsa_exception_fp_ieee_underflow 0
		.amdhsa_exception_fp_ieee_inexact 0
		.amdhsa_exception_int_div_zero 0
	.end_amdhsa_kernel
	.section	.text._ZN9rocsparseL30bsrgemm_fill_block_per_row_2x2ILj256ELj16ELj256ELj137Eli21rocsparse_complex_numIdEEEv20rocsparse_direction_T4_S4_PKS4_S6_NS_24const_host_device_scalarIT5_EEPKT3_S6_PKS8_SC_S6_SE_S9_SC_S6_SE_SC_PS4_PS8_21rocsparse_index_base_SH_SH_SH_bbb,"axG",@progbits,_ZN9rocsparseL30bsrgemm_fill_block_per_row_2x2ILj256ELj16ELj256ELj137Eli21rocsparse_complex_numIdEEEv20rocsparse_direction_T4_S4_PKS4_S6_NS_24const_host_device_scalarIT5_EEPKT3_S6_PKS8_SC_S6_SE_S9_SC_S6_SE_SC_PS4_PS8_21rocsparse_index_base_SH_SH_SH_bbb,comdat
.Lfunc_end232:
	.size	_ZN9rocsparseL30bsrgemm_fill_block_per_row_2x2ILj256ELj16ELj256ELj137Eli21rocsparse_complex_numIdEEEv20rocsparse_direction_T4_S4_PKS4_S6_NS_24const_host_device_scalarIT5_EEPKT3_S6_PKS8_SC_S6_SE_S9_SC_S6_SE_SC_PS4_PS8_21rocsparse_index_base_SH_SH_SH_bbb, .Lfunc_end232-_ZN9rocsparseL30bsrgemm_fill_block_per_row_2x2ILj256ELj16ELj256ELj137Eli21rocsparse_complex_numIdEEEv20rocsparse_direction_T4_S4_PKS4_S6_NS_24const_host_device_scalarIT5_EEPKT3_S6_PKS8_SC_S6_SE_S9_SC_S6_SE_SC_PS4_PS8_21rocsparse_index_base_SH_SH_SH_bbb
                                        ; -- End function
	.section	.AMDGPU.csdata,"",@progbits
; Kernel info:
; codeLenInByte = 4472
; NumSgprs: 70
; NumVgprs: 64
; NumAgprs: 0
; TotalNumVgprs: 64
; ScratchSize: 24
; MemoryBound: 0
; FloatMode: 240
; IeeeMode: 1
; LDSByteSize: 0 bytes/workgroup (compile time only)
; SGPRBlocks: 8
; VGPRBlocks: 7
; NumSGPRsForWavesPerEU: 70
; NumVGPRsForWavesPerEU: 64
; AccumOffset: 64
; Occupancy: 8
; WaveLimiterHint : 1
; COMPUTE_PGM_RSRC2:SCRATCH_EN: 1
; COMPUTE_PGM_RSRC2:USER_SGPR: 8
; COMPUTE_PGM_RSRC2:TRAP_HANDLER: 0
; COMPUTE_PGM_RSRC2:TGID_X_EN: 1
; COMPUTE_PGM_RSRC2:TGID_Y_EN: 0
; COMPUTE_PGM_RSRC2:TGID_Z_EN: 0
; COMPUTE_PGM_RSRC2:TIDIG_COMP_CNT: 0
; COMPUTE_PGM_RSRC3_GFX90A:ACCUM_OFFSET: 15
; COMPUTE_PGM_RSRC3_GFX90A:TG_SPLIT: 0
	.section	.text._ZN9rocsparseL38bsrgemm_block_per_row_atomic_multipassILj256ELj256ELj2Eli21rocsparse_complex_numIdEEEv20rocsparse_direction_T3_S4_PKS4_S6_NS_24const_host_device_scalarIT4_EEPKT2_S6_PKS8_SC_S6_SE_S9_SC_S6_SE_SC_PS4_PS8_PSA_21rocsparse_index_base_SI_SI_SI_bbb,"axG",@progbits,_ZN9rocsparseL38bsrgemm_block_per_row_atomic_multipassILj256ELj256ELj2Eli21rocsparse_complex_numIdEEEv20rocsparse_direction_T3_S4_PKS4_S6_NS_24const_host_device_scalarIT4_EEPKT2_S6_PKS8_SC_S6_SE_S9_SC_S6_SE_SC_PS4_PS8_PSA_21rocsparse_index_base_SI_SI_SI_bbb,comdat
	.globl	_ZN9rocsparseL38bsrgemm_block_per_row_atomic_multipassILj256ELj256ELj2Eli21rocsparse_complex_numIdEEEv20rocsparse_direction_T3_S4_PKS4_S6_NS_24const_host_device_scalarIT4_EEPKT2_S6_PKS8_SC_S6_SE_S9_SC_S6_SE_SC_PS4_PS8_PSA_21rocsparse_index_base_SI_SI_SI_bbb ; -- Begin function _ZN9rocsparseL38bsrgemm_block_per_row_atomic_multipassILj256ELj256ELj2Eli21rocsparse_complex_numIdEEEv20rocsparse_direction_T3_S4_PKS4_S6_NS_24const_host_device_scalarIT4_EEPKT2_S6_PKS8_SC_S6_SE_S9_SC_S6_SE_SC_PS4_PS8_PSA_21rocsparse_index_base_SI_SI_SI_bbb
	.p2align	8
	.type	_ZN9rocsparseL38bsrgemm_block_per_row_atomic_multipassILj256ELj256ELj2Eli21rocsparse_complex_numIdEEEv20rocsparse_direction_T3_S4_PKS4_S6_NS_24const_host_device_scalarIT4_EEPKT2_S6_PKS8_SC_S6_SE_S9_SC_S6_SE_SC_PS4_PS8_PSA_21rocsparse_index_base_SI_SI_SI_bbb,@function
_ZN9rocsparseL38bsrgemm_block_per_row_atomic_multipassILj256ELj256ELj2Eli21rocsparse_complex_numIdEEEv20rocsparse_direction_T3_S4_PKS4_S6_NS_24const_host_device_scalarIT4_EEPKT2_S6_PKS8_SC_S6_SE_S9_SC_S6_SE_SC_PS4_PS8_PSA_21rocsparse_index_base_SI_SI_SI_bbb: ; @_ZN9rocsparseL38bsrgemm_block_per_row_atomic_multipassILj256ELj256ELj2Eli21rocsparse_complex_numIdEEEv20rocsparse_direction_T3_S4_PKS4_S6_NS_24const_host_device_scalarIT4_EEPKT2_S6_PKS8_SC_S6_SE_S9_SC_S6_SE_SC_PS4_PS8_PSA_21rocsparse_index_base_SI_SI_SI_bbb
; %bb.0:
	s_add_u32 flat_scratch_lo, s6, s9
	s_addc_u32 flat_scratch_hi, s7, 0
	s_load_dwordx4 s[16:19], s[4:5], 0x20
	s_load_dwordx4 s[12:15], s[4:5], 0x60
	s_add_u32 s0, s0, s9
	s_load_dword s9, s[4:5], 0xb8
	s_load_dwordx4 s[52:55], s[4:5], 0xa8
	s_addc_u32 s1, s1, 0
	s_waitcnt lgkmcnt(0)
	v_mov_b32_e32 v1, s17
	buffer_store_dword v1, off, s[0:3], 0 offset:4
	s_bitcmp1_b32 s9, 0
	s_cselect_b64 s[20:21], -1, 0
	s_bitcmp1_b32 s9, 16
	v_mov_b32_e32 v1, s16
	s_cselect_b64 s[6:7], -1, 0
	buffer_store_dword v1, off, s[0:3], 0
	v_mov_b32_e32 v1, s13
	buffer_store_dword v1, off, s[0:3], 0 offset:12
	v_mov_b32_e32 v1, s12
	s_xor_b64 s[10:11], s[6:7], -1
	buffer_store_dword v1, off, s[0:3], 0 offset:8
	v_pk_mov_b32 v[8:9], 0, 0
	v_cndmask_b32_e64 v1, 0, 1, s[10:11]
	s_bitcmp0_b32 s9, 0
	v_cmp_ne_u32_e64 s[10:11], 1, v1
	v_pk_mov_b32 v[6:7], v[8:9], v[8:9] op_sel:[0,1]
	v_pk_mov_b32 v[10:11], v[8:9], v[8:9] op_sel:[0,1]
	s_cbranch_scc1 .LBB233_3
; %bb.1:
	s_mov_b64 s[22:23], src_private_base
	s_and_b64 s[24:25], s[6:7], exec
	s_cselect_b32 s22, s23, s17
	v_mov_b32_e32 v1, 0
	v_mov_b32_e32 v2, s16
	v_cndmask_b32_e64 v2, v2, v1, s[6:7]
	v_mov_b32_e32 v3, s22
	flat_load_dwordx2 v[6:7], v[2:3]
	s_and_b64 vcc, exec, s[10:11]
	v_pk_mov_b32 v[10:11], s[18:19], s[18:19] op_sel:[0,1]
	s_cbranch_vccnz .LBB233_3
; %bb.2:
	v_pk_mov_b32 v[2:3], s[16:17], s[16:17] op_sel:[0,1]
	flat_load_dwordx2 v[10:11], v[2:3] offset:8
.LBB233_3:
	s_load_dwordx2 s[16:17], s[4:5], 0x18
	s_bitcmp1_b32 s9, 8
	s_cselect_b64 s[64:65], -1, 0
	s_bfe_u32 s9, s9, 0x10008
	s_cmp_eq_u32 s9, 0
	v_pk_mov_b32 v[12:13], v[8:9], v[8:9] op_sel:[0,1]
	s_cbranch_scc1 .LBB233_6
; %bb.4:
	s_mov_b64 s[18:19], src_private_base
	s_and_b64 s[22:23], s[6:7], exec
	s_cselect_b32 s9, s19, s13
	v_mov_b32_e32 v1, 8
	v_mov_b32_e32 v2, s12
	v_cndmask_b32_e64 v2, v2, v1, s[6:7]
	v_mov_b32_e32 v3, s9
	flat_load_dwordx2 v[12:13], v[2:3]
	s_and_b64 vcc, exec, s[10:11]
	v_pk_mov_b32 v[8:9], s[14:15], s[14:15] op_sel:[0,1]
	s_cbranch_vccnz .LBB233_6
; %bb.5:
	v_pk_mov_b32 v[2:3], s[12:13], s[12:13] op_sel:[0,1]
	flat_load_dwordx2 v[8:9], v[2:3] offset:8
.LBB233_6:
	s_load_dwordx2 s[10:11], s[4:5], 0x30
	s_waitcnt lgkmcnt(0)
	s_cmp_eq_u64 s[16:17], 0
	s_cbranch_scc1 .LBB233_8
; %bb.7:
	s_load_dwordx2 s[6:7], s[4:5], 0x10
	s_waitcnt lgkmcnt(0)
	s_load_dword s6, s[6:7], 0x0
	s_mov_b32 s7, 0
	s_waitcnt lgkmcnt(0)
	s_add_i32 s6, s6, s8
	s_lshl_b64 s[6:7], s[6:7], 2
	s_add_u32 s6, s16, s6
	s_addc_u32 s7, s17, s7
	s_load_dword s8, s[6:7], 0x0
.LBB233_8:
	v_cndmask_b32_e64 v1, 0, 1, s[20:21]
	s_mov_b64 s[66:67], 0
	v_cmp_ne_u32_e64 s[6:7], 1, v1
	s_andn2_b64 vcc, exec, s[20:21]
	s_mov_b64 s[68:69], 0
	s_cbranch_vccz .LBB233_11
; %bb.9:
	s_and_b64 vcc, exec, s[6:7]
	s_cbranch_vccz .LBB233_12
.LBB233_10:
	s_load_dwordx4 s[56:59], s[4:5], 0x0
	s_waitcnt lgkmcnt(0)
	s_cmp_lt_i32 s57, 1
	s_cbranch_scc0 .LBB233_13
	s_branch .LBB233_100
.LBB233_11:
	s_waitcnt lgkmcnt(0)
	s_ashr_i32 s9, s8, 31
	s_lshl_b64 s[12:13], s[8:9], 3
	s_add_u32 s12, s10, s12
	s_addc_u32 s13, s11, s13
	s_load_dwordx2 s[12:13], s[12:13], 0x0
	s_waitcnt lgkmcnt(0)
	s_sub_u32 s68, s12, s52
	s_subb_u32 s69, s13, 0
	s_and_b64 vcc, exec, s[6:7]
	s_cbranch_vccnz .LBB233_10
.LBB233_12:
	s_waitcnt lgkmcnt(0)
	s_ashr_i32 s9, s8, 31
	s_lshl_b64 s[6:7], s[8:9], 3
	s_add_u32 s6, s10, s6
	s_addc_u32 s7, s11, s7
	s_load_dwordx2 s[6:7], s[6:7], 0x8
	s_waitcnt lgkmcnt(0)
	s_sub_u32 s66, s6, s52
	s_subb_u32 s67, s7, 0
	s_load_dwordx4 s[56:59], s[4:5], 0x0
	s_waitcnt lgkmcnt(0)
	s_cmp_lt_i32 s57, 1
	s_cbranch_scc1 .LBB233_100
.LBB233_13:
	s_load_dwordx2 s[70:71], s[4:5], 0xa0
	s_load_dwordx4 s[60:63], s[4:5], 0x90
	s_load_dwordx8 s[24:31], s[4:5], 0x70
	s_load_dwordx2 s[76:77], s[4:5], 0x58
	s_load_dwordx8 s[44:51], s[4:5], 0x38
	v_pk_mov_b32 v[2:3], s[66:67], s[66:67] op_sel:[0,1]
	v_bfe_u32 v15, v0, 1, 1
	v_cmp_lt_i64_e32 vcc, s[68:69], v[2:3]
	v_mov_b32_e32 v2, 0
	v_and_b32_e32 v17, 1, v0
	v_mul_lo_u32 v4, v15, s58
	v_mov_b32_e32 v5, v2
	s_ashr_i32 s9, s8, 31
	v_max_i32_e32 v3, v17, v15
	v_lshlrev_b64 v[4:5], 4, v[4:5]
	s_lshl_b64 s[14:15], s[8:9], 3
	v_cmp_gt_i32_e64 s[8:9], s58, v3
	v_cmp_le_i32_e64 s[10:11], s58, v3
	s_waitcnt lgkmcnt(0)
	v_mov_b32_e32 v3, s47
	v_add_co_u32_e64 v16, s[12:13], s46, v4
	v_addc_co_u32_e64 v3, s[12:13], v3, v5, s[12:13]
	v_lshlrev_b32_e32 v20, 4, v17
	v_add_co_u32_e64 v46, s[12:13], v16, v20
	v_mul_lo_u32 v18, v17, s58
	v_mov_b32_e32 v19, v2
	v_addc_co_u32_e64 v47, s[12:13], 0, v3, s[12:13]
	v_lshlrev_b64 v[18:19], 4, v[18:19]
	v_lshlrev_b32_e32 v3, 4, v15
	v_mov_b32_e32 v15, s63
	v_add_co_u32_e64 v16, s[12:13], s62, v18
	s_add_u32 s4, s30, s14
	v_addc_co_u32_e64 v21, s[12:13], v15, v19, s[12:13]
	s_addc_u32 s5, s31, s15
	v_add_co_u32_e64 v16, s[12:13], v16, v3
	s_load_dwordx2 s[4:5], s[4:5], 0x0
	v_addc_co_u32_e64 v21, s[12:13], 0, v21, s[12:13]
	v_add_co_u32_e64 v22, s[12:13], s62, v4
	v_addc_co_u32_e64 v15, s[12:13], v15, v5, s[12:13]
	v_add_co_u32_e64 v22, s[12:13], v22, v20
	v_lshrrev_b32_e32 v14, 2, v0
	v_addc_co_u32_e64 v15, s[12:13], 0, v15, s[12:13]
	s_waitcnt lgkmcnt(0)
	s_sub_u32 s42, s4, s54
	v_subrev_co_u32_e64 v49, s[12:13], s55, v14
	s_subb_u32 s43, s5, 0
	v_subb_co_u32_e64 v50, s[12:13], 0, 0, s[12:13]
	s_cmp_eq_u32 s56, 0
	v_mov_b32_e32 v23, s29
	v_add_co_u32_e64 v24, s[12:13], s28, v18
	s_cselect_b64 s[34:35], -1, 0
	s_cmp_lg_u32 s56, 0
	v_addc_co_u32_e64 v25, s[12:13], v23, v19, s[12:13]
	s_cselect_b64 s[46:47], -1, 0
	s_cmp_gt_i32 s58, 0
	v_add_co_u32_e64 v24, s[12:13], v24, v3
	s_cselect_b64 s[36:37], -1, 0
	s_add_u32 s62, s24, s14
	v_addc_co_u32_e64 v25, s[12:13], 0, v25, s[12:13]
                                        ; implicit-def: $vgpr80 : SGPR spill to VGPR lane
	s_addc_u32 s63, s25, s15
	v_writelane_b32 v80, s24, 0
	v_add_co_u32_e64 v4, s[12:13], s28, v4
	v_addc_co_u32_e64 v5, s[12:13], v23, v5, s[12:13]
	v_add_co_u32_e64 v4, s[12:13], v4, v20
	v_and_b32_e32 v1, 3, v0
	v_addc_co_u32_e64 v5, s[12:13], 0, v5, s[12:13]
	v_cmp_eq_u32_e64 s[12:13], 3, v1
	v_lshlrev_b32_e32 v1, 2, v0
	s_movk_i32 s38, 0x4000
	v_or_b32_e32 v51, 0x5000, v1
	v_add_u32_e32 v53, 0x4ff8, v1
	v_add_u32_e32 v54, 0x4ff0, v1
	;; [unrolled: 1-line block ×7, first 2 shown]
	v_cndmask_b32_e64 v1, v21, v15, s[34:35]
	v_lshlrev_b32_e32 v15, 6, v14
	s_and_b64 s[74:75], s[20:21], vcc
	v_or3_b32 v61, v15, v3, s38
	v_mov_b32_e32 v3, s77
	v_add_co_u32_e32 v15, vcc, s76, v18
	v_addc_co_u32_e32 v19, vcc, v19, v3, vcc
	v_writelane_b32 v80, s25, 1
	v_add_co_u32_e32 v18, vcc, 8, v15
	v_writelane_b32 v80, s26, 2
	v_addc_co_u32_e32 v19, vcc, 0, v19, vcc
	v_writelane_b32 v80, s27, 3
	v_add_co_u32_e32 v15, vcc, s76, v20
	v_writelane_b32 v80, s28, 4
	v_addc_co_u32_e32 v3, vcc, 0, v3, vcc
	v_writelane_b32 v80, s29, 5
	v_add_co_u32_e32 v20, vcc, 8, v15
	v_writelane_b32 v80, s30, 6
	v_cndmask_b32_e64 v4, v24, v4, s[34:35]
	v_addc_co_u32_e32 v21, vcc, 0, v3, vcc
	s_movk_i32 s4, 0x100
	v_lshlrev_b32_e32 v44, 4, v0
	v_writelane_b32 v80, s31, 7
	v_add_co_u32_e64 v23, s[14:15], -1, v0
	v_mov_b32_e32 v26, 0x5000
	s_movk_i32 s30, 0x7f
	v_cndmask_b32_e64 v16, v16, v22, s[34:35]
	v_cndmask_b32_e64 v5, v25, v5, s[34:35]
	s_add_u32 s95, s48, 8
	v_add_co_u32_e32 v22, vcc, 8, v4
	s_mov_b32 s73, 0
	v_cmp_gt_u32_e64 s[4:5], s4, v0
	v_cmp_eq_u32_e64 s[6:7], 0, v0
	v_and_b32_e32 v48, 2, v0
	v_lshl_add_u32 v52, v23, 2, v26
	v_cmp_ne_u32_e64 s[16:17], 0, v0
	v_cmp_lt_u32_e64 s[18:19], 1, v0
	v_cmp_lt_u32_e64 s[20:21], 3, v0
	;; [unrolled: 1-line block ×7, first 2 shown]
	s_addc_u32 s96, s49, 0
	v_or_b32_e32 v60, 0xffffff00, v0
	v_and_b32_e32 v3, 0xfe0, v44
	v_addc_co_u32_e32 v23, vcc, 0, v5, vcc
	v_and_b32_e32 v0, 0xfc, v0
	s_mul_i32 s72, s58, s58
	s_add_u32 s97, s60, -4
	s_mov_b32 s59, s73
	v_or_b32_e32 v62, 0x4000, v3
	v_add_co_u32_e32 v63, vcc, 64, v49
	v_or3_b32 v3, v0, v48, v17
	v_or_b32_e32 v45, 0x4000, v44
	s_mov_b32 s33, s53
	s_mov_b32 s94, s73
	;; [unrolled: 1-line block ×3, first 2 shown]
	s_addc_u32 s98, s61, -1
	s_lshl_b64 s[60:61], s[72:73], 4
	s_lshl_b64 s[76:77], s[58:59], 4
	;; [unrolled: 1-line block ×3, first 2 shown]
	v_addc_co_u32_e32 v64, vcc, 0, v50, vcc
	v_lshlrev_b32_e32 v65, 4, v3
	v_or_b32_e32 v66, 0x5000, v0
	v_mov_b32_e32 v0, 0x100
	v_pk_mov_b32 v[24:25], s[42:43], s[42:43] op_sel:[0,1]
	v_mov_b32_e32 v3, v2
	v_mov_b32_e32 v4, v2
	;; [unrolled: 1-line block ×3, first 2 shown]
	s_movk_i32 s59, 0x2ff
	v_mov_b32_e32 v67, 1
	s_movk_i32 s99, 0xbf
	v_cndmask_b32_e64 v68, 0, 1, s[36:37]
	s_branch .LBB233_15
.LBB233_14:                             ;   in Loop: Header=BB233_15 Depth=1
	s_or_b64 exec, exec, s[34:35]
	s_barrier
	ds_read_b32 v15, v2 offset:21504
	v_ashrrev_i32_e32 v0, 31, v26
	v_add_co_u32_e32 v24, vcc, v24, v26
	v_addc_co_u32_e32 v25, vcc, v25, v0, vcc
	s_waitcnt lgkmcnt(0)
	v_cmp_le_i32_e32 vcc, s57, v15
	v_readfirstlane_b32 s73, v15
	v_add_u32_e32 v0, 0x100, v15
	s_barrier
	s_cbranch_vccnz .LBB233_100
.LBB233_15:                             ; =>This Loop Header: Depth=1
                                        ;     Child Loop BB233_18 Depth 2
                                        ;     Child Loop BB233_24 Depth 2
                                        ;       Child Loop BB233_38 Depth 3
                                        ;         Child Loop BB233_47 Depth 4
                                        ;         Child Loop BB233_52 Depth 4
                                        ;     Child Loop BB233_63 Depth 2
                                        ;     Child Loop BB233_72 Depth 2
	;; [unrolled: 1-line block ×3, first 2 shown]
	s_and_saveexec_b64 s[34:35], s[4:5]
	s_cbranch_execz .LBB233_17
; %bb.16:                               ;   in Loop: Header=BB233_15 Depth=1
	ds_write_b32 v51, v2
.LBB233_17:                             ;   in Loop: Header=BB233_15 Depth=1
	s_or_b64 exec, exec, s[34:35]
	s_mov_b64 s[34:35], 0
	v_mov_b32_e32 v15, v44
	v_mov_b32_e32 v26, v60
.LBB233_18:                             ;   Parent Loop BB233_15 Depth=1
                                        ; =>  This Inner Loop Header: Depth=2
	v_add_u32_e32 v26, 0x100, v26
	v_cmp_lt_u32_e32 vcc, s59, v26
	ds_write_b128 v15, v[2:5]
	s_or_b64 s[34:35], vcc, s[34:35]
	v_add_u32_e32 v15, 0x1000, v15
	s_andn2_b64 exec, exec, s[34:35]
	s_cbranch_execnz .LBB233_18
; %bb.19:                               ;   in Loop: Header=BB233_15 Depth=1
	s_or_b64 exec, exec, s[34:35]
	s_and_saveexec_b64 s[34:35], s[6:7]
	s_cbranch_execz .LBB233_21
; %bb.20:                               ;   in Loop: Header=BB233_15 Depth=1
	v_mov_b32_e32 v15, s57
	ds_write_b32 v2, v15 offset:21504
.LBB233_21:                             ;   in Loop: Header=BB233_15 Depth=1
	s_or_b64 exec, exec, s[34:35]
	s_andn2_b64 vcc, exec, s[74:75]
	v_mov_b32_e32 v15, s57
	s_waitcnt lgkmcnt(0)
	s_barrier
	s_cbranch_vccnz .LBB233_58
; %bb.22:                               ;   in Loop: Header=BB233_15 Depth=1
	s_cmp_lg_u32 s73, 0
	s_cselect_b64 s[40:41], -1, 0
	v_mov_b32_e32 v15, s57
	s_mov_b64 s[42:43], s[68:69]
	s_branch .LBB233_24
.LBB233_23:                             ;   in Loop: Header=BB233_24 Depth=2
	s_or_b64 exec, exec, s[36:37]
	s_add_u32 s42, s42, 64
	s_addc_u32 s43, s43, 0
	v_pk_mov_b32 v[26:27], s[66:67], s[66:67] op_sel:[0,1]
	v_cmp_lt_i64_e32 vcc, s[42:43], v[26:27]
	s_cbranch_vccz .LBB233_58
.LBB233_24:                             ;   Parent Loop BB233_15 Depth=1
                                        ; =>  This Loop Header: Depth=2
                                        ;       Child Loop BB233_38 Depth 3
                                        ;         Child Loop BB233_47 Depth 4
                                        ;         Child Loop BB233_52 Depth 4
	v_mov_b32_e32 v27, s43
	v_add_co_u32_e32 v26, vcc, s42, v14
	v_addc_co_u32_e32 v27, vcc, 0, v27, vcc
	v_cmp_gt_i64_e64 s[34:35], s[66:67], v[26:27]
	s_barrier
	s_and_saveexec_b64 s[36:37], s[34:35]
	s_cbranch_execz .LBB233_29
; %bb.25:                               ;   in Loop: Header=BB233_24 Depth=2
	s_and_saveexec_b64 s[38:39], s[10:11]
	s_xor_b64 s[80:81], exec, s[38:39]
	s_cbranch_execz .LBB233_27
; %bb.26:                               ;   in Loop: Header=BB233_24 Depth=2
	ds_write_b128 v45, v[2:5]
.LBB233_27:                             ;   in Loop: Header=BB233_24 Depth=2
	s_andn2_saveexec_b64 s[38:39], s[80:81]
	s_cbranch_execz .LBB233_29
; %bb.28:                               ;   in Loop: Header=BB233_24 Depth=2
	v_mad_u64_u32 v[28:29], s[38:39], v26, s72, 0
	v_mov_b32_e32 v30, v29
	v_mad_u64_u32 v[30:31], s[38:39], v27, s72, v[30:31]
	v_mov_b32_e32 v29, v30
	v_lshlrev_b64 v[28:29], 4, v[28:29]
	v_add_co_u32_e32 v28, vcc, v46, v28
	v_addc_co_u32_e32 v29, vcc, v47, v29, vcc
	global_load_dwordx4 v[28:31], v[28:29], off
	s_waitcnt vmcnt(0)
	ds_write2_b64 v45, v[28:29], v[30:31] offset1:1
.LBB233_29:                             ;   in Loop: Header=BB233_24 Depth=2
	s_or_b64 exec, exec, s[36:37]
	v_pk_mov_b32 v[28:29], 0, 0
	s_waitcnt lgkmcnt(0)
	s_barrier
	s_and_saveexec_b64 s[80:81], s[34:35]
	s_cbranch_execz .LBB233_55
; %bb.30:                               ;   in Loop: Header=BB233_24 Depth=2
	v_lshlrev_b64 v[28:29], 2, v[26:27]
	v_mov_b32_e32 v30, s45
	v_add_co_u32_e32 v28, vcc, s44, v28
	v_addc_co_u32_e32 v29, vcc, v30, v29, vcc
	global_load_dword v28, v[28:29], off
	s_and_b64 vcc, exec, s[40:41]
	s_waitcnt vmcnt(0)
	v_subrev_u32_e32 v30, s52, v28
	v_ashrrev_i32_e32 v31, 31, v30
	s_cbranch_vccz .LBB233_57
; %bb.31:                               ;   in Loop: Header=BB233_24 Depth=2
	v_lshlrev_b64 v[28:29], 3, v[26:27]
	v_mov_b32_e32 v32, s71
	v_add_co_u32_e32 v28, vcc, s70, v28
	v_addc_co_u32_e32 v29, vcc, v32, v29, vcc
	global_load_dwordx2 v[28:29], v[28:29], off
	s_cbranch_execnz .LBB233_33
.LBB233_32:                             ;   in Loop: Header=BB233_24 Depth=2
	s_waitcnt vmcnt(0)
	v_lshlrev_b64 v[28:29], 3, v[30:31]
	v_mov_b32_e32 v32, s49
	v_add_co_u32_e32 v28, vcc, s48, v28
	v_addc_co_u32_e32 v29, vcc, v32, v29, vcc
	global_load_dwordx2 v[28:29], v[28:29], off
	v_mov_b32_e32 v32, s94
	s_waitcnt vmcnt(0)
	v_subrev_co_u32_e32 v28, vcc, s33, v28
	v_subb_co_u32_e32 v29, vcc, v29, v32, vcc
.LBB233_33:                             ;   in Loop: Header=BB233_24 Depth=2
	v_lshlrev_b64 v[30:31], 3, v[30:31]
	v_mov_b32_e32 v32, s96
	v_add_co_u32_e32 v30, vcc, s95, v30
	v_addc_co_u32_e32 v31, vcc, v32, v31, vcc
	global_load_dwordx2 v[30:31], v[30:31], off
	v_mov_b32_e32 v32, s94
	s_waitcnt vmcnt(0)
	v_subrev_co_u32_e32 v30, vcc, s33, v30
	v_subb_co_u32_e32 v31, vcc, v31, v32, vcc
	v_cmp_lt_i64_e32 vcc, v[28:29], v[30:31]
	s_and_saveexec_b64 s[82:83], vcc
	s_cbranch_execz .LBB233_54
; %bb.34:                               ;   in Loop: Header=BB233_24 Depth=2
	v_mad_u64_u32 v[32:33], s[36:37], s60, v28, v[18:19]
	v_mul_lo_u32 v36, s60, v29
	v_mul_lo_u32 v37, s61, v28
	v_mad_u64_u32 v[34:35], s[36:37], s60, v28, v[20:21]
	v_add3_u32 v33, v37, v33, v36
	v_add3_u32 v35, v37, v35, v36
	s_mov_b64 s[84:85], 0
	v_pk_mov_b32 v[36:37], v[28:29], v[28:29] op_sel:[0,1]
	s_branch .LBB233_38
.LBB233_35:                             ;   in Loop: Header=BB233_38 Depth=3
	v_or3_b32 v42, v69, v48, v17
	v_lshlrev_b32_e32 v69, 4, v42
	v_mul_f64 v[42:43], v[40:41], -v[10:11]
	v_fmac_f64_e32 v[42:43], v[6:7], v[38:39]
	v_mul_f64 v[40:41], v[6:7], v[40:41]
	v_fmac_f64_e32 v[40:41], v[10:11], v[38:39]
	ds_add_f64 v69, v[42:43]
	ds_add_f64 v69, v[40:41] offset:8
.LBB233_36:                             ;   in Loop: Header=BB233_38 Depth=3
	s_or_b64 exec, exec, s[90:91]
	s_or_b64 s[86:87], s[86:87], exec
.LBB233_37:                             ;   in Loop: Header=BB233_38 Depth=3
	s_or_b64 exec, exec, s[88:89]
	v_add_co_u32_e32 v36, vcc, 1, v36
	v_addc_co_u32_e32 v37, vcc, 0, v37, vcc
	v_cmp_ge_i64_e32 vcc, v[36:37], v[30:31]
	s_xor_b64 s[36:37], s[86:87], -1
	s_or_b64 s[36:37], s[36:37], vcc
	v_mov_b32_e32 v38, s61
	v_add_co_u32_e32 v32, vcc, s60, v32
	v_addc_co_u32_e32 v33, vcc, v33, v38, vcc
	s_and_b64 s[36:37], exec, s[36:37]
	v_add_co_u32_e32 v34, vcc, s60, v34
	s_or_b64 s[84:85], s[36:37], s[84:85]
	v_addc_co_u32_e32 v35, vcc, v35, v38, vcc
	s_andn2_b64 exec, exec, s[84:85]
	s_cbranch_execz .LBB233_53
.LBB233_38:                             ;   Parent Loop BB233_15 Depth=1
                                        ;     Parent Loop BB233_24 Depth=2
                                        ; =>    This Loop Header: Depth=3
                                        ;         Child Loop BB233_47 Depth 4
                                        ;         Child Loop BB233_52 Depth 4
	v_lshlrev_b64 v[38:39], 2, v[36:37]
	v_mov_b32_e32 v40, s51
	v_add_co_u32_e32 v38, vcc, s50, v38
	v_addc_co_u32_e32 v39, vcc, v40, v39, vcc
	global_load_dword v38, v[38:39], off
                                        ; implicit-def: $sgpr86_sgpr87
	s_waitcnt vmcnt(0)
	v_subrev_u32_e32 v38, s53, v38
	v_cmp_gt_i32_e64 s[36:37], s73, v38
	v_cmp_ge_i32_e32 vcc, v38, v0
	s_or_b64 s[36:37], s[36:37], vcc
	s_and_saveexec_b64 s[38:39], s[36:37]
	s_xor_b64 s[36:37], exec, s[38:39]
	s_cbranch_execz .LBB233_42
; %bb.39:                               ;   in Loop: Header=BB233_38 Depth=3
	s_mov_b64 s[86:87], -1
	s_and_saveexec_b64 s[88:89], vcc
; %bb.40:                               ;   in Loop: Header=BB233_38 Depth=3
	v_min_i32_e32 v15, v38, v15
	s_xor_b64 s[86:87], exec, -1
	v_pk_mov_b32 v[28:29], v[36:37], v[36:37] op_sel:[0,1]
; %bb.41:                               ;   in Loop: Header=BB233_38 Depth=3
	s_or_b64 exec, exec, s[88:89]
	s_and_b64 s[86:87], s[86:87], exec
                                        ; implicit-def: $vgpr38
.LBB233_42:                             ;   in Loop: Header=BB233_38 Depth=3
	s_andn2_saveexec_b64 s[88:89], s[36:37]
	s_cbranch_execz .LBB233_37
; %bb.43:                               ;   in Loop: Header=BB233_38 Depth=3
	v_subrev_u32_e32 v38, s73, v38
	v_lshlrev_b32_e32 v69, 2, v38
	ds_write_b32 v69, v67 offset:20480
	s_and_saveexec_b64 s[90:91], s[8:9]
	s_cbranch_execz .LBB233_36
; %bb.44:                               ;   in Loop: Header=BB233_38 Depth=3
	s_andn2_b64 vcc, exec, s[46:47]
	v_cmp_ne_u32_e64 s[36:37], 1, v68
	s_cbranch_vccnz .LBB233_49
; %bb.45:                               ;   in Loop: Header=BB233_38 Depth=3
	v_pk_mov_b32 v[38:39], 0, 0
	s_mov_b64 s[92:93], 0
	s_and_b64 vcc, exec, s[36:37]
	v_pk_mov_b32 v[40:41], v[38:39], v[38:39] op_sel:[0,1]
	s_cbranch_vccnz .LBB233_48
; %bb.46:                               ;   in Loop: Header=BB233_38 Depth=3
	v_pk_mov_b32 v[38:39], 0, 0
	v_pk_mov_b32 v[42:43], v[32:33], v[32:33] op_sel:[0,1]
	s_mov_b32 s38, s58
	v_mov_b32_e32 v70, v61
	v_pk_mov_b32 v[40:41], v[38:39], v[38:39] op_sel:[0,1]
.LBB233_47:                             ;   Parent Loop BB233_15 Depth=1
                                        ;     Parent Loop BB233_24 Depth=2
                                        ;       Parent Loop BB233_38 Depth=3
                                        ; =>      This Inner Loop Header: Depth=4
	global_load_dwordx4 v[72:75], v[42:43], off offset:-8
	ds_read_b128 v[76:79], v70
	s_add_i32 s38, s38, -1
	v_add_co_u32_e32 v42, vcc, 16, v42
	v_add_u32_e32 v70, 32, v70
	v_addc_co_u32_e32 v43, vcc, 0, v43, vcc
	s_cmp_lg_u32 s38, 0
	s_waitcnt vmcnt(0) lgkmcnt(0)
	v_fmac_f64_e32 v[38:39], v[76:77], v[72:73]
	v_fmac_f64_e32 v[40:41], v[78:79], v[72:73]
	v_fma_f64 v[38:39], -v[78:79], v[74:75], v[38:39]
	v_fmac_f64_e32 v[40:41], v[76:77], v[74:75]
	s_cbranch_scc1 .LBB233_47
.LBB233_48:                             ;   in Loop: Header=BB233_38 Depth=3
	s_andn2_b64 vcc, exec, s[92:93]
	s_cbranch_vccnz .LBB233_35
	s_branch .LBB233_50
.LBB233_49:                             ;   in Loop: Header=BB233_38 Depth=3
                                        ; implicit-def: $vgpr38_vgpr39
                                        ; implicit-def: $vgpr40_vgpr41
.LBB233_50:                             ;   in Loop: Header=BB233_38 Depth=3
	v_pk_mov_b32 v[38:39], 0, 0
	s_and_b64 vcc, exec, s[36:37]
	v_pk_mov_b32 v[40:41], v[38:39], v[38:39] op_sel:[0,1]
	s_cbranch_vccnz .LBB233_35
; %bb.51:                               ;   in Loop: Header=BB233_38 Depth=3
	v_pk_mov_b32 v[38:39], 0, 0
	v_mov_b32_e32 v70, v62
	v_pk_mov_b32 v[42:43], v[34:35], v[34:35] op_sel:[0,1]
	s_mov_b32 s36, s58
	v_pk_mov_b32 v[40:41], v[38:39], v[38:39] op_sel:[0,1]
.LBB233_52:                             ;   Parent Loop BB233_15 Depth=1
                                        ;     Parent Loop BB233_24 Depth=2
                                        ;       Parent Loop BB233_38 Depth=3
                                        ; =>      This Inner Loop Header: Depth=4
	global_load_dwordx4 v[72:75], v[42:43], off offset:-8
	ds_read_b128 v[76:79], v70
	s_add_i32 s36, s36, -1
	v_mov_b32_e32 v71, s77
	v_add_co_u32_e32 v42, vcc, s76, v42
	v_add_u32_e32 v70, 16, v70
	v_addc_co_u32_e32 v43, vcc, v43, v71, vcc
	s_cmp_eq_u32 s36, 0
	s_waitcnt vmcnt(0) lgkmcnt(0)
	v_fmac_f64_e32 v[38:39], v[76:77], v[72:73]
	v_fmac_f64_e32 v[40:41], v[78:79], v[72:73]
	v_fma_f64 v[38:39], -v[78:79], v[74:75], v[38:39]
	v_fmac_f64_e32 v[40:41], v[76:77], v[74:75]
	s_cbranch_scc0 .LBB233_52
	s_branch .LBB233_35
.LBB233_53:                             ;   in Loop: Header=BB233_24 Depth=2
	s_or_b64 exec, exec, s[84:85]
.LBB233_54:                             ;   in Loop: Header=BB233_24 Depth=2
	s_or_b64 exec, exec, s[82:83]
.LBB233_55:                             ;   in Loop: Header=BB233_24 Depth=2
	s_or_b64 exec, exec, s[80:81]
	s_waitcnt lgkmcnt(0)
	s_barrier
	s_and_saveexec_b64 s[36:37], s[34:35]
	s_cbranch_execz .LBB233_23
; %bb.56:                               ;   in Loop: Header=BB233_24 Depth=2
	v_lshlrev_b64 v[26:27], 3, v[26:27]
	v_mov_b32_e32 v30, s71
	v_add_co_u32_e32 v26, vcc, s70, v26
	v_addc_co_u32_e32 v27, vcc, v30, v27, vcc
	global_store_dwordx2 v[26:27], v[28:29], off
	s_branch .LBB233_23
.LBB233_57:                             ;   in Loop: Header=BB233_24 Depth=2
                                        ; implicit-def: $vgpr28_vgpr29
	s_branch .LBB233_32
.LBB233_58:                             ;   in Loop: Header=BB233_15 Depth=1
	s_andn2_b64 vcc, exec, s[64:65]
	s_cbranch_vccnz .LBB233_70
; %bb.59:                               ;   in Loop: Header=BB233_15 Depth=1
	s_load_dwordx4 s[40:43], s[62:63], 0x0
	s_waitcnt lgkmcnt(0)
	s_sub_u32 s42, s42, s56
	v_mov_b32_e32 v26, s41
	v_add_co_u32_e32 v30, vcc, s40, v49
	s_subb_u32 s43, s43, 0
	v_addc_co_u32_e32 v31, vcc, v26, v50, vcc
	v_cmp_gt_i64_e32 vcc, s[42:43], v[30:31]
	s_and_saveexec_b64 s[80:81], vcc
	s_cbranch_execz .LBB233_69
; %bb.60:                               ;   in Loop: Header=BB233_15 Depth=1
	v_readlane_b32 s84, v80, 0
	v_readlane_b32 s86, v80, 2
	v_readlane_b32 s87, v80, 3
	v_lshlrev_b64 v[26:27], 2, v[30:31]
	s_mov_b64 s[38:39], s[86:87]
	v_mov_b32_e32 v28, s39
	v_add_co_u32_e32 v26, vcc, s38, v26
	v_addc_co_u32_e32 v27, vcc, v28, v27, vcc
	v_mad_u64_u32 v[28:29], s[34:35], s60, v30, v[22:23]
	v_mul_lo_u32 v31, s60, v31
	v_mul_lo_u32 v30, s61, v30
	v_add3_u32 v29, v30, v29, v31
	v_mov_b32_e32 v31, s41
	v_add_co_u32_e32 v30, vcc, s40, v63
	v_addc_co_u32_e32 v31, vcc, v64, v31, vcc
	s_mov_b64 s[40:41], 0
	v_readlane_b32 s85, v80, 1
	v_readlane_b32 s88, v80, 4
	;; [unrolled: 1-line block ×5, first 2 shown]
	s_branch .LBB233_63
.LBB233_61:                             ;   in Loop: Header=BB233_63 Depth=2
	s_or_b64 exec, exec, s[82:83]
	s_or_b64 s[34:35], s[34:35], exec
.LBB233_62:                             ;   in Loop: Header=BB233_63 Depth=2
	s_or_b64 exec, exec, s[36:37]
	v_cmp_le_i64_e32 vcc, s[42:43], v[30:31]
	s_xor_b64 s[34:35], s[34:35], -1
	s_or_b64 s[34:35], s[34:35], vcc
	v_add_co_u32_e32 v26, vcc, 0x100, v26
	v_addc_co_u32_e32 v27, vcc, 0, v27, vcc
	v_mov_b32_e32 v32, s79
	v_add_co_u32_e32 v28, vcc, s78, v28
	v_addc_co_u32_e32 v29, vcc, v29, v32, vcc
	s_and_b64 s[34:35], exec, s[34:35]
	v_add_co_u32_e32 v30, vcc, 64, v30
	s_or_b64 s[40:41], s[34:35], s[40:41]
	v_addc_co_u32_e32 v31, vcc, 0, v31, vcc
	s_andn2_b64 exec, exec, s[40:41]
	s_cbranch_execz .LBB233_68
.LBB233_63:                             ;   Parent Loop BB233_15 Depth=1
                                        ; =>  This Inner Loop Header: Depth=2
	global_load_dword v32, v[26:27], off
	s_waitcnt vmcnt(0)
	v_subrev_u32_e32 v32, s55, v32
	v_cmp_gt_i32_e64 s[34:35], s73, v32
	v_cmp_ge_i32_e64 s[36:37], v32, v0
	v_cmp_lt_i32_e32 vcc, v32, v0
	s_or_b64 s[36:37], s[34:35], s[36:37]
                                        ; implicit-def: $sgpr34_sgpr35
	s_and_saveexec_b64 s[38:39], s[36:37]
	s_xor_b64 s[36:37], exec, s[38:39]
; %bb.64:                               ;   in Loop: Header=BB233_63 Depth=2
	v_min_i32_e32 v32, v32, v15
	v_cndmask_b32_e32 v15, v32, v15, vcc
	s_and_b64 s[34:35], vcc, exec
                                        ; implicit-def: $vgpr32
; %bb.65:                               ;   in Loop: Header=BB233_63 Depth=2
	s_andn2_saveexec_b64 s[36:37], s[36:37]
	s_cbranch_execz .LBB233_62
; %bb.66:                               ;   in Loop: Header=BB233_63 Depth=2
	v_subrev_u32_e32 v32, s73, v32
	v_lshlrev_b32_e32 v32, 2, v32
	ds_write_b32 v32, v67 offset:20480
	s_and_saveexec_b64 s[82:83], s[8:9]
	s_cbranch_execz .LBB233_61
; %bb.67:                               ;   in Loop: Header=BB233_63 Depth=2
	global_load_dwordx4 v[34:37], v[28:29], off offset:-8
	v_or3_b32 v38, v32, v48, v17
	s_waitcnt vmcnt(0)
	v_mul_f64 v[32:33], v[36:37], -v[8:9]
	v_mul_f64 v[36:37], v[12:13], v[36:37]
	v_fmac_f64_e32 v[32:33], v[12:13], v[34:35]
	v_fmac_f64_e32 v[36:37], v[8:9], v[34:35]
	v_lshlrev_b32_e32 v34, 4, v38
	ds_add_f64 v34, v[32:33]
	ds_add_f64 v34, v[36:37] offset:8
	s_branch .LBB233_61
.LBB233_68:                             ;   in Loop: Header=BB233_15 Depth=1
	s_or_b64 exec, exec, s[40:41]
.LBB233_69:                             ;   in Loop: Header=BB233_15 Depth=1
	s_or_b64 exec, exec, s[80:81]
.LBB233_70:                             ;   in Loop: Header=BB233_15 Depth=1
	s_and_saveexec_b64 s[34:35], s[12:13]
	s_cbranch_execz .LBB233_75
; %bb.71:                               ;   in Loop: Header=BB233_15 Depth=1
	s_mov_b64 s[36:37], exec
	s_brev_b32 s38, -2
.LBB233_72:                             ;   Parent Loop BB233_15 Depth=1
                                        ; =>  This Inner Loop Header: Depth=2
	s_ff1_i32_b64 s39, s[36:37]
	v_readlane_b32 s42, v15, s39
	s_lshl_b64 s[40:41], 1, s39
	s_min_i32 s38, s38, s42
	s_andn2_b64 s[36:37], s[36:37], s[40:41]
	s_cmp_lg_u64 s[36:37], 0
	s_cbranch_scc1 .LBB233_72
; %bb.73:                               ;   in Loop: Header=BB233_15 Depth=1
	v_mbcnt_lo_u32_b32 v0, exec_lo, 0
	v_mbcnt_hi_u32_b32 v0, exec_hi, v0
	v_cmp_eq_u32_e32 vcc, 0, v0
	s_and_saveexec_b64 s[36:37], vcc
	s_xor_b64 s[36:37], exec, s[36:37]
	s_cbranch_execz .LBB233_75
; %bb.74:                               ;   in Loop: Header=BB233_15 Depth=1
	v_mov_b32_e32 v0, s38
	ds_min_i32 v2, v0 offset:21504
.LBB233_75:                             ;   in Loop: Header=BB233_15 Depth=1
	s_or_b64 exec, exec, s[34:35]
	s_waitcnt lgkmcnt(0)
	s_barrier
	ds_read_b32 v0, v51
	s_waitcnt lgkmcnt(0)
	s_barrier
	s_and_saveexec_b64 s[34:35], s[16:17]
	s_cbranch_execz .LBB233_77
; %bb.76:                               ;   in Loop: Header=BB233_15 Depth=1
	ds_read_b32 v15, v52
	s_waitcnt lgkmcnt(0)
	v_add_u32_e32 v0, v15, v0
.LBB233_77:                             ;   in Loop: Header=BB233_15 Depth=1
	s_or_b64 exec, exec, s[34:35]
	s_barrier
	ds_write_b32 v51, v0
	s_waitcnt lgkmcnt(0)
	s_barrier
	s_and_saveexec_b64 s[34:35], s[18:19]
	s_cbranch_execz .LBB233_79
; %bb.78:                               ;   in Loop: Header=BB233_15 Depth=1
	ds_read_b32 v15, v53
	s_waitcnt lgkmcnt(0)
	v_add_u32_e32 v0, v15, v0
.LBB233_79:                             ;   in Loop: Header=BB233_15 Depth=1
	s_or_b64 exec, exec, s[34:35]
	s_barrier
	ds_write_b32 v51, v0
	s_waitcnt lgkmcnt(0)
	s_barrier
	s_and_saveexec_b64 s[34:35], s[20:21]
	s_cbranch_execz .LBB233_81
; %bb.80:                               ;   in Loop: Header=BB233_15 Depth=1
	ds_read_b32 v15, v54
	s_waitcnt lgkmcnt(0)
	v_add_u32_e32 v0, v15, v0
.LBB233_81:                             ;   in Loop: Header=BB233_15 Depth=1
	s_or_b64 exec, exec, s[34:35]
	s_barrier
	ds_write_b32 v51, v0
	s_waitcnt lgkmcnt(0)
	s_barrier
	s_and_saveexec_b64 s[34:35], s[22:23]
	s_cbranch_execz .LBB233_83
; %bb.82:                               ;   in Loop: Header=BB233_15 Depth=1
	ds_read_b32 v15, v55
	s_waitcnt lgkmcnt(0)
	v_add_u32_e32 v0, v15, v0
.LBB233_83:                             ;   in Loop: Header=BB233_15 Depth=1
	s_or_b64 exec, exec, s[34:35]
	s_barrier
	ds_write_b32 v51, v0
	s_waitcnt lgkmcnt(0)
	s_barrier
	s_and_saveexec_b64 s[34:35], s[24:25]
	s_cbranch_execz .LBB233_85
; %bb.84:                               ;   in Loop: Header=BB233_15 Depth=1
	ds_read_b32 v15, v56
	s_waitcnt lgkmcnt(0)
	v_add_u32_e32 v0, v15, v0
.LBB233_85:                             ;   in Loop: Header=BB233_15 Depth=1
	s_or_b64 exec, exec, s[34:35]
	s_barrier
	ds_write_b32 v51, v0
	s_waitcnt lgkmcnt(0)
	s_barrier
	s_and_saveexec_b64 s[34:35], s[26:27]
	s_cbranch_execz .LBB233_87
; %bb.86:                               ;   in Loop: Header=BB233_15 Depth=1
	ds_read_b32 v15, v57
	s_waitcnt lgkmcnt(0)
	v_add_u32_e32 v0, v15, v0
.LBB233_87:                             ;   in Loop: Header=BB233_15 Depth=1
	s_or_b64 exec, exec, s[34:35]
	s_barrier
	ds_write_b32 v51, v0
	s_waitcnt lgkmcnt(0)
	s_barrier
	s_and_saveexec_b64 s[34:35], s[28:29]
	s_cbranch_execz .LBB233_89
; %bb.88:                               ;   in Loop: Header=BB233_15 Depth=1
	ds_read_b32 v15, v58
	s_waitcnt lgkmcnt(0)
	v_add_u32_e32 v0, v15, v0
.LBB233_89:                             ;   in Loop: Header=BB233_15 Depth=1
	s_or_b64 exec, exec, s[34:35]
	s_barrier
	ds_write_b32 v51, v0
	s_waitcnt lgkmcnt(0)
	s_barrier
	s_and_saveexec_b64 s[34:35], s[30:31]
	s_cbranch_execz .LBB233_91
; %bb.90:                               ;   in Loop: Header=BB233_15 Depth=1
	ds_read_b32 v15, v59
	s_waitcnt lgkmcnt(0)
	v_add_u32_e32 v0, v15, v0
.LBB233_91:                             ;   in Loop: Header=BB233_15 Depth=1
	s_or_b64 exec, exec, s[34:35]
	s_barrier
	ds_write_b32 v51, v0
	s_waitcnt lgkmcnt(0)
	s_barrier
	ds_read_b32 v26, v2 offset:21500
	v_mov_b32_e32 v15, 0
	s_and_saveexec_b64 s[34:35], s[14:15]
	s_cbranch_execz .LBB233_93
; %bb.92:                               ;   in Loop: Header=BB233_15 Depth=1
	ds_read_b32 v15, v52
.LBB233_93:                             ;   in Loop: Header=BB233_15 Depth=1
	s_or_b64 exec, exec, s[34:35]
	s_waitcnt lgkmcnt(0)
	v_cmp_eq_u32_e32 vcc, v0, v15
	s_and_b64 s[36:37], s[14:15], vcc
	s_barrier
	s_and_saveexec_b64 s[34:35], s[36:37]
	s_cbranch_execz .LBB233_95
; %bb.94:                               ;   in Loop: Header=BB233_15 Depth=1
	ds_write_b32 v51, v2
.LBB233_95:                             ;   in Loop: Header=BB233_15 Depth=1
	s_or_b64 exec, exec, s[34:35]
	v_add_co_u32_e32 v27, vcc, -1, v24
	v_addc_co_u32_e32 v28, vcc, -1, v25, vcc
	s_add_i32 s40, s54, s73
	s_mov_b64 s[34:35], 0
	v_mov_b32_e32 v29, v66
	v_mov_b32_e32 v30, v65
	;; [unrolled: 1-line block ×3, first 2 shown]
	s_waitcnt lgkmcnt(0)
	s_barrier
	s_branch .LBB233_97
.LBB233_96:                             ;   in Loop: Header=BB233_97 Depth=2
	s_or_b64 exec, exec, s[36:37]
	v_add_u32_e32 v0, 64, v31
	v_cmp_lt_u32_e32 vcc, s99, v31
	v_add_u32_e32 v30, 0x1000, v30
	v_add_u32_e32 v29, 0x100, v29
	s_or_b64 s[34:35], vcc, s[34:35]
	v_mov_b32_e32 v31, v0
	s_andn2_b64 exec, exec, s[34:35]
	s_cbranch_execz .LBB233_14
.LBB233_97:                             ;   Parent Loop BB233_15 Depth=1
                                        ; =>  This Inner Loop Header: Depth=2
	ds_read_b32 v0, v29
	s_waitcnt lgkmcnt(0)
	v_cmp_ne_u32_e32 vcc, 0, v0
	s_and_saveexec_b64 s[36:37], vcc
	s_cbranch_execz .LBB233_96
; %bb.98:                               ;   in Loop: Header=BB233_97 Depth=2
	v_ashrrev_i32_e32 v15, 31, v0
	v_add_co_u32_e32 v32, vcc, v24, v0
	v_addc_co_u32_e32 v33, vcc, v25, v15, vcc
	v_lshlrev_b64 v[32:33], 2, v[32:33]
	v_mov_b32_e32 v35, s98
	v_add_co_u32_e32 v32, vcc, s97, v32
	v_add_u32_e32 v34, s40, v31
	v_addc_co_u32_e32 v33, vcc, v35, v33, vcc
	global_store_dword v[32:33], v34, off
	s_and_b64 exec, exec, s[8:9]
	s_cbranch_execz .LBB233_96
; %bb.99:                               ;   in Loop: Header=BB233_97 Depth=2
	v_add_co_u32_e32 v0, vcc, v27, v0
	v_mad_u64_u32 v[32:33], s[38:39], v0, s72, 0
	v_addc_co_u32_e32 v15, vcc, v28, v15, vcc
	v_mov_b32_e32 v0, v33
	v_mad_u64_u32 v[34:35], s[38:39], v15, s72, v[0:1]
	v_mov_b32_e32 v33, v34
	v_lshlrev_b64 v[36:37], 4, v[32:33]
	ds_read2_b64 v[32:35], v30 offset1:1
	v_add_co_u32_e32 v36, vcc, v16, v36
	v_addc_co_u32_e32 v37, vcc, v1, v37, vcc
	s_waitcnt lgkmcnt(0)
	global_store_dwordx4 v[36:37], v[32:35], off
	s_branch .LBB233_96
.LBB233_100:
	s_endpgm
	.section	.rodata,"a",@progbits
	.p2align	6, 0x0
	.amdhsa_kernel _ZN9rocsparseL38bsrgemm_block_per_row_atomic_multipassILj256ELj256ELj2Eli21rocsparse_complex_numIdEEEv20rocsparse_direction_T3_S4_PKS4_S6_NS_24const_host_device_scalarIT4_EEPKT2_S6_PKS8_SC_S6_SE_S9_SC_S6_SE_SC_PS4_PS8_PSA_21rocsparse_index_base_SI_SI_SI_bbb
		.amdhsa_group_segment_fixed_size 21512
		.amdhsa_private_segment_fixed_size 24
		.amdhsa_kernarg_size 188
		.amdhsa_user_sgpr_count 8
		.amdhsa_user_sgpr_private_segment_buffer 1
		.amdhsa_user_sgpr_dispatch_ptr 0
		.amdhsa_user_sgpr_queue_ptr 0
		.amdhsa_user_sgpr_kernarg_segment_ptr 1
		.amdhsa_user_sgpr_dispatch_id 0
		.amdhsa_user_sgpr_flat_scratch_init 1
		.amdhsa_user_sgpr_kernarg_preload_length 0
		.amdhsa_user_sgpr_kernarg_preload_offset 0
		.amdhsa_user_sgpr_private_segment_size 0
		.amdhsa_uses_dynamic_stack 0
		.amdhsa_system_sgpr_private_segment_wavefront_offset 1
		.amdhsa_system_sgpr_workgroup_id_x 1
		.amdhsa_system_sgpr_workgroup_id_y 0
		.amdhsa_system_sgpr_workgroup_id_z 0
		.amdhsa_system_sgpr_workgroup_info 0
		.amdhsa_system_vgpr_workitem_id 0
		.amdhsa_next_free_vgpr 81
		.amdhsa_next_free_sgpr 100
		.amdhsa_accum_offset 84
		.amdhsa_reserve_vcc 1
		.amdhsa_reserve_flat_scratch 1
		.amdhsa_float_round_mode_32 0
		.amdhsa_float_round_mode_16_64 0
		.amdhsa_float_denorm_mode_32 3
		.amdhsa_float_denorm_mode_16_64 3
		.amdhsa_dx10_clamp 1
		.amdhsa_ieee_mode 1
		.amdhsa_fp16_overflow 0
		.amdhsa_tg_split 0
		.amdhsa_exception_fp_ieee_invalid_op 0
		.amdhsa_exception_fp_denorm_src 0
		.amdhsa_exception_fp_ieee_div_zero 0
		.amdhsa_exception_fp_ieee_overflow 0
		.amdhsa_exception_fp_ieee_underflow 0
		.amdhsa_exception_fp_ieee_inexact 0
		.amdhsa_exception_int_div_zero 0
	.end_amdhsa_kernel
	.section	.text._ZN9rocsparseL38bsrgemm_block_per_row_atomic_multipassILj256ELj256ELj2Eli21rocsparse_complex_numIdEEEv20rocsparse_direction_T3_S4_PKS4_S6_NS_24const_host_device_scalarIT4_EEPKT2_S6_PKS8_SC_S6_SE_S9_SC_S6_SE_SC_PS4_PS8_PSA_21rocsparse_index_base_SI_SI_SI_bbb,"axG",@progbits,_ZN9rocsparseL38bsrgemm_block_per_row_atomic_multipassILj256ELj256ELj2Eli21rocsparse_complex_numIdEEEv20rocsparse_direction_T3_S4_PKS4_S6_NS_24const_host_device_scalarIT4_EEPKT2_S6_PKS8_SC_S6_SE_S9_SC_S6_SE_SC_PS4_PS8_PSA_21rocsparse_index_base_SI_SI_SI_bbb,comdat
.Lfunc_end233:
	.size	_ZN9rocsparseL38bsrgemm_block_per_row_atomic_multipassILj256ELj256ELj2Eli21rocsparse_complex_numIdEEEv20rocsparse_direction_T3_S4_PKS4_S6_NS_24const_host_device_scalarIT4_EEPKT2_S6_PKS8_SC_S6_SE_S9_SC_S6_SE_SC_PS4_PS8_PSA_21rocsparse_index_base_SI_SI_SI_bbb, .Lfunc_end233-_ZN9rocsparseL38bsrgemm_block_per_row_atomic_multipassILj256ELj256ELj2Eli21rocsparse_complex_numIdEEEv20rocsparse_direction_T3_S4_PKS4_S6_NS_24const_host_device_scalarIT4_EEPKT2_S6_PKS8_SC_S6_SE_S9_SC_S6_SE_SC_PS4_PS8_PSA_21rocsparse_index_base_SI_SI_SI_bbb
                                        ; -- End function
	.section	.AMDGPU.csdata,"",@progbits
; Kernel info:
; codeLenInByte = 3980
; NumSgprs: 106
; NumVgprs: 81
; NumAgprs: 0
; TotalNumVgprs: 81
; ScratchSize: 24
; MemoryBound: 0
; FloatMode: 240
; IeeeMode: 1
; LDSByteSize: 21512 bytes/workgroup (compile time only)
; SGPRBlocks: 13
; VGPRBlocks: 10
; NumSGPRsForWavesPerEU: 106
; NumVGPRsForWavesPerEU: 81
; AccumOffset: 84
; Occupancy: 3
; WaveLimiterHint : 1
; COMPUTE_PGM_RSRC2:SCRATCH_EN: 1
; COMPUTE_PGM_RSRC2:USER_SGPR: 8
; COMPUTE_PGM_RSRC2:TRAP_HANDLER: 0
; COMPUTE_PGM_RSRC2:TGID_X_EN: 1
; COMPUTE_PGM_RSRC2:TGID_Y_EN: 0
; COMPUTE_PGM_RSRC2:TGID_Z_EN: 0
; COMPUTE_PGM_RSRC2:TIDIG_COMP_CNT: 0
; COMPUTE_PGM_RSRC3_GFX90A:ACCUM_OFFSET: 20
; COMPUTE_PGM_RSRC3_GFX90A:TG_SPLIT: 0
	.section	.text._ZN9rocsparseL23bsrgemm_fill_wf_per_rowILj256ELj64ELj8ELj137ELj4Eli21rocsparse_complex_numIdEEEv20rocsparse_direction_T5_S4_S4_PKS4_S6_NS_24const_host_device_scalarIT6_EEPKT4_S6_PKS8_SC_S6_SE_S9_SC_S6_SE_SC_PS4_PS8_21rocsparse_index_base_SH_SH_SH_bbb,"axG",@progbits,_ZN9rocsparseL23bsrgemm_fill_wf_per_rowILj256ELj64ELj8ELj137ELj4Eli21rocsparse_complex_numIdEEEv20rocsparse_direction_T5_S4_S4_PKS4_S6_NS_24const_host_device_scalarIT6_EEPKT4_S6_PKS8_SC_S6_SE_S9_SC_S6_SE_SC_PS4_PS8_21rocsparse_index_base_SH_SH_SH_bbb,comdat
	.globl	_ZN9rocsparseL23bsrgemm_fill_wf_per_rowILj256ELj64ELj8ELj137ELj4Eli21rocsparse_complex_numIdEEEv20rocsparse_direction_T5_S4_S4_PKS4_S6_NS_24const_host_device_scalarIT6_EEPKT4_S6_PKS8_SC_S6_SE_S9_SC_S6_SE_SC_PS4_PS8_21rocsparse_index_base_SH_SH_SH_bbb ; -- Begin function _ZN9rocsparseL23bsrgemm_fill_wf_per_rowILj256ELj64ELj8ELj137ELj4Eli21rocsparse_complex_numIdEEEv20rocsparse_direction_T5_S4_S4_PKS4_S6_NS_24const_host_device_scalarIT6_EEPKT4_S6_PKS8_SC_S6_SE_S9_SC_S6_SE_SC_PS4_PS8_21rocsparse_index_base_SH_SH_SH_bbb
	.p2align	8
	.type	_ZN9rocsparseL23bsrgemm_fill_wf_per_rowILj256ELj64ELj8ELj137ELj4Eli21rocsparse_complex_numIdEEEv20rocsparse_direction_T5_S4_S4_PKS4_S6_NS_24const_host_device_scalarIT6_EEPKT4_S6_PKS8_SC_S6_SE_S9_SC_S6_SE_SC_PS4_PS8_21rocsparse_index_base_SH_SH_SH_bbb,@function
_ZN9rocsparseL23bsrgemm_fill_wf_per_rowILj256ELj64ELj8ELj137ELj4Eli21rocsparse_complex_numIdEEEv20rocsparse_direction_T5_S4_S4_PKS4_S6_NS_24const_host_device_scalarIT6_EEPKT4_S6_PKS8_SC_S6_SE_S9_SC_S6_SE_SC_PS4_PS8_21rocsparse_index_base_SH_SH_SH_bbb: ; @_ZN9rocsparseL23bsrgemm_fill_wf_per_rowILj256ELj64ELj8ELj137ELj4Eli21rocsparse_complex_numIdEEEv20rocsparse_direction_T5_S4_S4_PKS4_S6_NS_24const_host_device_scalarIT6_EEPKT4_S6_PKS8_SC_S6_SE_S9_SC_S6_SE_SC_PS4_PS8_21rocsparse_index_base_SH_SH_SH_bbb
; %bb.0:
	s_add_u32 flat_scratch_lo, s6, s9
	s_addc_u32 flat_scratch_hi, s7, 0
	s_add_u32 s0, s0, s9
	s_load_dword s9, s[4:5], 0xb0
	s_load_dwordx4 s[16:19], s[4:5], 0x20
	s_load_dwordx4 s[12:15], s[4:5], 0x60
	s_addc_u32 s1, s1, 0
	v_pk_mov_b32 v[6:7], 0, 0
	s_waitcnt lgkmcnt(0)
	s_bitcmp1_b32 s9, 0
	v_mov_b32_e32 v1, s17
	s_cselect_b64 s[52:53], -1, 0
	s_bitcmp1_b32 s9, 16
	buffer_store_dword v1, off, s[0:3], 0 offset:4
	v_mov_b32_e32 v1, s16
	s_cselect_b64 s[6:7], -1, 0
	buffer_store_dword v1, off, s[0:3], 0
	v_mov_b32_e32 v1, s13
	buffer_store_dword v1, off, s[0:3], 0 offset:12
	v_mov_b32_e32 v1, s12
	s_xor_b64 s[10:11], s[6:7], -1
	buffer_store_dword v1, off, s[0:3], 0 offset:8
	v_cndmask_b32_e64 v1, 0, 1, s[10:11]
	s_bitcmp0_b32 s9, 0
	v_cmp_ne_u32_e64 s[10:11], 1, v1
	v_pk_mov_b32 v[12:13], v[6:7], v[6:7] op_sel:[0,1]
	v_pk_mov_b32 v[14:15], v[6:7], v[6:7] op_sel:[0,1]
	s_cbranch_scc1 .LBB234_3
; %bb.1:
	s_mov_b64 s[20:21], src_private_base
	s_and_b64 s[22:23], s[6:7], exec
	s_cselect_b32 s20, s21, s17
	v_mov_b32_e32 v1, 0
	v_mov_b32_e32 v2, s16
	v_cndmask_b32_e64 v2, v2, v1, s[6:7]
	v_mov_b32_e32 v3, s20
	flat_load_dwordx2 v[12:13], v[2:3]
	s_and_b64 vcc, exec, s[10:11]
	v_pk_mov_b32 v[14:15], s[18:19], s[18:19] op_sel:[0,1]
	s_cbranch_vccnz .LBB234_3
; %bb.2:
	v_pk_mov_b32 v[2:3], s[16:17], s[16:17] op_sel:[0,1]
	flat_load_dwordx2 v[14:15], v[2:3] offset:8
.LBB234_3:
	s_load_dwordx4 s[28:31], s[4:5], 0xa0
	s_bitcmp1_b32 s9, 8
	s_cselect_b64 s[34:35], -1, 0
	s_bfe_u32 s9, s9, 0x10008
	s_cmp_eq_u32 s9, 0
	v_pk_mov_b32 v[8:9], v[6:7], v[6:7] op_sel:[0,1]
	s_cbranch_scc1 .LBB234_6
; %bb.4:
	s_mov_b64 s[16:17], src_private_base
	s_and_b64 s[18:19], s[6:7], exec
	s_cselect_b32 s9, s17, s13
	v_mov_b32_e32 v1, 8
	v_mov_b32_e32 v2, s12
	v_cndmask_b32_e64 v2, v2, v1, s[6:7]
	v_mov_b32_e32 v3, s9
	flat_load_dwordx2 v[8:9], v[2:3]
	s_and_b64 vcc, exec, s[10:11]
	v_pk_mov_b32 v[6:7], s[14:15], s[14:15] op_sel:[0,1]
	s_cbranch_vccnz .LBB234_6
; %bb.5:
	v_pk_mov_b32 v[2:3], s[12:13], s[12:13] op_sel:[0,1]
	flat_load_dwordx2 v[6:7], v[2:3] offset:8
.LBB234_6:
	s_load_dwordx4 s[44:47], s[4:5], 0x90
	s_load_dwordx8 s[20:27], s[4:5], 0x70
	s_load_dwordx4 s[48:51], s[4:5], 0x50
	s_load_dwordx8 s[12:19], s[4:5], 0x0
	s_load_dwordx8 s[36:43], s[4:5], 0x30
	v_and_b32_e32 v1, 63, v0
	v_lshrrev_b32_e32 v41, 6, v0
	v_mov_b32_e32 v2, 0x2000
	v_lshl_or_b32 v40, v41, 5, v2
	v_cmp_gt_u32_e32 vcc, 8, v1
	s_and_saveexec_b64 s[4:5], vcc
	s_cbranch_execz .LBB234_8
; %bb.7:
	v_lshl_add_u32 v2, v1, 2, v40
	s_waitcnt lgkmcnt(0)
	v_mov_b32_e32 v3, s14
	ds_write_b32 v2, v3
.LBB234_8:
	s_or_b64 exec, exec, s[4:5]
	v_lshlrev_b32_e32 v42, 11, v41
	v_mov_b32_e32 v2, 0
	v_or_b32_e32 v10, 0xffffffc0, v1
	v_lshl_or_b32 v11, v1, 4, v42
	s_mov_b64 s[4:5], 0
	v_mov_b32_e32 v3, v2
	v_mov_b32_e32 v4, v2
	;; [unrolled: 1-line block ×3, first 2 shown]
.LBB234_9:                              ; =>This Inner Loop Header: Depth=1
	v_add_co_u32_e32 v10, vcc, 64, v10
	s_xor_b64 s[6:7], vcc, -1
	s_and_b64 s[6:7], exec, s[6:7]
	ds_write_b128 v11, v[2:5]
	s_or_b64 s[4:5], s[6:7], s[4:5]
	v_add_u32_e32 v11, 0x400, v11
	s_andn2_b64 exec, exec, s[4:5]
	s_cbranch_execnz .LBB234_9
; %bb.10:
	s_or_b64 exec, exec, s[4:5]
	v_lshl_or_b32 v2, s8, 2, v41
	s_waitcnt lgkmcnt(0)
	v_cmp_gt_i32_e32 vcc, s13, v2
	s_barrier
	s_and_saveexec_b64 s[4:5], vcc
	s_cbranch_execz .LBB234_66
; %bb.11:
	s_cmp_eq_u64 s[18:19], 0
	s_cbranch_scc1 .LBB234_13
; %bb.12:
	s_load_dword s4, s[16:17], 0x0
	v_mov_b32_e32 v4, s19
	s_waitcnt lgkmcnt(0)
	v_add_u32_e32 v2, s4, v2
	v_ashrrev_i32_e32 v3, 31, v2
	v_lshlrev_b64 v[2:3], 2, v[2:3]
	v_add_co_u32_e32 v2, vcc, s18, v2
	v_addc_co_u32_e32 v3, vcc, v4, v3, vcc
	global_load_dword v2, v[2:3], off
.LBB234_13:
	s_waitcnt vmcnt(0)
	v_ashrrev_i32_e32 v3, 31, v2
	v_lshrrev_b32_e32 v43, 4, v1
	v_and_b32_e32 v44, 3, v0
	v_bfe_u32 v45, v0, 2, 2
	s_andn2_b64 vcc, exec, s[52:53]
	s_mul_i32 s8, s15, s15
	v_lshlrev_b64 v[10:11], 3, v[2:3]
	s_cbranch_vccnz .LBB234_43
; %bb.14:
	v_mov_b32_e32 v1, s37
	v_add_co_u32_e32 v2, vcc, s36, v10
	v_addc_co_u32_e32 v3, vcc, v1, v11, vcc
	global_load_dwordx4 v[2:5], v[2:3], off
	v_subrev_co_u32_e32 v1, vcc, s28, v43
	v_subb_co_u32_e64 v19, s[4:5], 0, 0, vcc
	s_mov_b32 s13, 0
	s_waitcnt vmcnt(0)
	v_subrev_co_u32_e32 v16, vcc, s28, v4
	v_subbrev_co_u32_e32 v17, vcc, 0, v5, vcc
	v_add_co_u32_e32 v18, vcc, v2, v1
	v_addc_co_u32_e32 v19, vcc, v3, v19, vcc
	v_cmp_lt_i64_e32 vcc, v[18:19], v[16:17]
	s_and_saveexec_b64 s[10:11], vcc
	s_cbranch_execz .LBB234_42
; %bb.15:
	v_mad_u64_u32 v[20:21], s[6:7], v18, s8, 0
	v_mov_b32_e32 v22, v21
	v_mad_u64_u32 v[22:23], s[6:7], v19, s8, v[22:23]
	v_mov_b32_e32 v21, v22
	v_lshlrev_b64 v[24:25], 4, v[20:21]
	v_lshlrev_b32_e32 v20, 4, v45
	v_add_co_u32_e32 v20, vcc, v24, v20
	v_addc_co_u32_e32 v21, vcc, 0, v25, vcc
	v_mov_b32_e32 v26, s41
	v_add_co_u32_e32 v20, vcc, s40, v20
	v_addc_co_u32_e32 v21, vcc, v21, v26, vcc
	v_mul_lo_u32 v2, v44, s15
	v_mov_b32_e32 v3, 0
	v_add_co_u32_e32 v20, vcc, 8, v20
	v_mov_b32_e32 v5, v3
	v_addc_co_u32_e32 v21, vcc, 0, v21, vcc
	v_lshlrev_b64 v[2:3], 4, v[2:3]
	v_mov_b32_e32 v27, s51
	v_add_co_u32_e32 v2, vcc, s50, v2
	v_addc_co_u32_e32 v3, vcc, v3, v27, vcc
	v_mul_lo_u32 v4, v45, s15
	v_add_co_u32_e32 v22, vcc, 8, v2
	v_addc_co_u32_e32 v23, vcc, 0, v3, vcc
	v_lshlrev_b64 v[2:3], 4, v[4:5]
	v_add_co_u32_e32 v2, vcc, v24, v2
	v_addc_co_u32_e32 v3, vcc, v25, v3, vcc
	v_add_co_u32_e32 v2, vcc, s40, v2
	v_addc_co_u32_e32 v3, vcc, v3, v26, vcc
	v_add_co_u32_e32 v24, vcc, 8, v2
	v_addc_co_u32_e32 v25, vcc, 0, v3, vcc
	v_lshlrev_b32_e32 v2, 4, v44
	v_add_co_u32_e32 v2, vcc, s50, v2
	s_cmp_lg_u32 s12, 0
	v_addc_co_u32_e32 v3, vcc, 0, v27, vcc
	v_max_i32_e32 v1, v44, v45
	s_cselect_b64 s[16:17], -1, 0
	s_cmp_gt_i32 s15, 0
	s_mov_b32 s9, s13
	s_mov_b32 s6, s15
	s_mov_b32 s7, s13
	v_add_co_u32_e32 v26, vcc, 8, v2
	s_mov_b32 s33, s29
	v_cmp_gt_i32_e64 s[4:5], s15, v1
	s_cselect_b64 s[18:19], -1, 0
	v_and_b32_e32 v1, 15, v0
	s_lshl_b64 s[36:37], s[8:9], 6
	s_lshl_b64 s[52:53], s[6:7], 4
	s_lshl_b64 s[54:55], s[8:9], 4
	v_addc_co_u32_e32 v27, vcc, 0, v3, vcc
	s_mov_b64 s[40:41], 0
	v_mov_b32_e32 v46, s39
	v_mov_b32_e32 v47, s43
	s_branch .LBB234_17
.LBB234_16:                             ;   in Loop: Header=BB234_17 Depth=1
	s_or_b64 exec, exec, s[50:51]
	v_add_co_u32_e32 v18, vcc, 4, v18
	v_addc_co_u32_e32 v19, vcc, 0, v19, vcc
	v_mov_b32_e32 v2, s37
	v_add_co_u32_e32 v20, vcc, s36, v20
	v_addc_co_u32_e32 v21, vcc, v21, v2, vcc
	v_cmp_ge_i64_e32 vcc, v[18:19], v[16:17]
	s_or_b64 s[40:41], vcc, s[40:41]
	v_add_co_u32_e32 v24, vcc, s36, v24
	v_addc_co_u32_e32 v25, vcc, v25, v2, vcc
	s_andn2_b64 exec, exec, s[40:41]
	s_cbranch_execz .LBB234_42
.LBB234_17:                             ; =>This Loop Header: Depth=1
                                        ;     Child Loop BB234_20 Depth 2
                                        ;       Child Loop BB234_24 Depth 3
                                        ;       Child Loop BB234_29 Depth 3
	;; [unrolled: 1-line block ×3, first 2 shown]
	v_lshlrev_b64 v[2:3], 2, v[18:19]
	v_add_co_u32_e32 v2, vcc, s38, v2
	v_addc_co_u32_e32 v3, vcc, v46, v3, vcc
	global_load_dword v2, v[2:3], off
	s_waitcnt vmcnt(0)
	v_subrev_u32_e32 v2, s28, v2
	v_ashrrev_i32_e32 v3, 31, v2
	v_lshlrev_b64 v[2:3], 3, v[2:3]
	v_add_co_u32_e32 v2, vcc, s42, v2
	v_addc_co_u32_e32 v3, vcc, v47, v3, vcc
	global_load_dwordx4 v[2:5], v[2:3], off
	s_waitcnt vmcnt(0)
	v_cmp_lt_i64_e32 vcc, v[2:3], v[4:5]
	s_and_saveexec_b64 s[50:51], vcc
	s_cbranch_execz .LBB234_16
; %bb.18:                               ;   in Loop: Header=BB234_17 Depth=1
	v_mov_b32_e32 v28, s13
	v_subrev_co_u32_e32 v4, vcc, s33, v4
	v_subb_co_u32_e32 v5, vcc, v5, v28, vcc
	v_subrev_co_u32_e32 v2, vcc, s33, v2
	v_subb_co_u32_e32 v3, vcc, v3, v28, vcc
	v_mad_u64_u32 v[28:29], s[6:7], s54, v2, v[22:23]
	v_mul_lo_u32 v32, s54, v3
	v_mul_lo_u32 v33, s55, v2
	v_mad_u64_u32 v[30:31], s[6:7], s54, v2, v[26:27]
	v_add3_u32 v29, v33, v29, v32
	v_add3_u32 v31, v33, v31, v32
	s_mov_b64 s[56:57], 0
	s_branch .LBB234_20
.LBB234_19:                             ;   in Loop: Header=BB234_20 Depth=2
	s_or_b64 exec, exec, s[58:59]
	v_add_co_u32_e32 v2, vcc, 1, v2
	v_addc_co_u32_e32 v3, vcc, 0, v3, vcc
	v_mov_b32_e32 v32, s55
	v_add_co_u32_e32 v28, vcc, s54, v28
	v_addc_co_u32_e32 v29, vcc, v29, v32, vcc
	v_cmp_ge_i64_e32 vcc, v[2:3], v[4:5]
	s_or_b64 s[56:57], vcc, s[56:57]
	v_add_co_u32_e32 v30, vcc, s54, v30
	v_addc_co_u32_e32 v31, vcc, v31, v32, vcc
	s_andn2_b64 exec, exec, s[56:57]
	s_cbranch_execz .LBB234_16
.LBB234_20:                             ;   Parent Loop BB234_17 Depth=1
                                        ; =>  This Loop Header: Depth=2
                                        ;       Child Loop BB234_24 Depth 3
                                        ;       Child Loop BB234_29 Depth 3
	;; [unrolled: 1-line block ×3, first 2 shown]
	s_and_saveexec_b64 s[58:59], s[4:5]
	s_cbranch_execz .LBB234_19
; %bb.21:                               ;   in Loop: Header=BB234_20 Depth=2
	v_lshlrev_b64 v[32:33], 2, v[2:3]
	v_mov_b32_e32 v34, s49
	v_add_co_u32_e32 v32, vcc, s48, v32
	v_addc_co_u32_e32 v33, vcc, v34, v33, vcc
	global_load_dword v48, v[32:33], off
	v_cndmask_b32_e64 v32, 0, 1, s[18:19]
	s_andn2_b64 vcc, exec, s[16:17]
	v_cmp_ne_u32_e64 s[6:7], 1, v32
	s_cbranch_vccnz .LBB234_26
; %bb.22:                               ;   in Loop: Header=BB234_20 Depth=2
	v_pk_mov_b32 v[32:33], 0, 0
	s_mov_b64 s[60:61], 0
	s_and_b64 vcc, exec, s[6:7]
	v_pk_mov_b32 v[34:35], v[32:33], v[32:33] op_sel:[0,1]
	s_cbranch_vccnz .LBB234_25
; %bb.23:                               ;   in Loop: Header=BB234_20 Depth=2
	v_pk_mov_b32 v[32:33], 0, 0
	v_pk_mov_b32 v[36:37], v[28:29], v[28:29] op_sel:[0,1]
	v_pk_mov_b32 v[38:39], v[20:21], v[20:21] op_sel:[0,1]
	s_mov_b32 s9, s15
	v_pk_mov_b32 v[34:35], v[32:33], v[32:33] op_sel:[0,1]
.LBB234_24:                             ;   Parent Loop BB234_17 Depth=1
                                        ;     Parent Loop BB234_20 Depth=2
                                        ; =>    This Inner Loop Header: Depth=3
	global_load_dwordx4 v[50:53], v[38:39], off offset:-8
	global_load_dwordx4 v[54:57], v[36:37], off offset:-8
	v_add_co_u32_e32 v36, vcc, 16, v36
	v_addc_co_u32_e32 v37, vcc, 0, v37, vcc
	s_add_i32 s9, s9, -1
	v_mov_b32_e32 v49, s53
	v_add_co_u32_e32 v38, vcc, s52, v38
	v_addc_co_u32_e32 v39, vcc, v39, v49, vcc
	s_cmp_lg_u32 s9, 0
	s_waitcnt vmcnt(0)
	v_fmac_f64_e32 v[32:33], v[50:51], v[54:55]
	v_fmac_f64_e32 v[34:35], v[52:53], v[54:55]
	v_fma_f64 v[32:33], -v[52:53], v[56:57], v[32:33]
	v_fmac_f64_e32 v[34:35], v[50:51], v[56:57]
	s_cbranch_scc1 .LBB234_24
.LBB234_25:                             ;   in Loop: Header=BB234_20 Depth=2
	s_andn2_b64 vcc, exec, s[60:61]
	s_cbranch_vccz .LBB234_27
	s_branch .LBB234_30
.LBB234_26:                             ;   in Loop: Header=BB234_20 Depth=2
                                        ; implicit-def: $vgpr32_vgpr33
                                        ; implicit-def: $vgpr34_vgpr35
.LBB234_27:                             ;   in Loop: Header=BB234_20 Depth=2
	v_pk_mov_b32 v[32:33], 0, 0
	s_and_b64 vcc, exec, s[6:7]
	v_pk_mov_b32 v[34:35], v[32:33], v[32:33] op_sel:[0,1]
	s_cbranch_vccnz .LBB234_30
; %bb.28:                               ;   in Loop: Header=BB234_20 Depth=2
	v_pk_mov_b32 v[32:33], 0, 0
	v_pk_mov_b32 v[36:37], v[30:31], v[30:31] op_sel:[0,1]
	v_pk_mov_b32 v[38:39], v[24:25], v[24:25] op_sel:[0,1]
	s_mov_b32 s6, s15
	v_pk_mov_b32 v[34:35], v[32:33], v[32:33] op_sel:[0,1]
.LBB234_29:                             ;   Parent Loop BB234_17 Depth=1
                                        ;     Parent Loop BB234_20 Depth=2
                                        ; =>    This Inner Loop Header: Depth=3
	global_load_dwordx4 v[50:53], v[38:39], off offset:-8
	global_load_dwordx4 v[54:57], v[36:37], off offset:-8
	v_add_co_u32_e32 v38, vcc, 16, v38
	v_addc_co_u32_e32 v39, vcc, 0, v39, vcc
	s_add_i32 s6, s6, -1
	v_mov_b32_e32 v49, s53
	v_add_co_u32_e32 v36, vcc, s52, v36
	v_addc_co_u32_e32 v37, vcc, v37, v49, vcc
	s_cmp_eq_u32 s6, 0
	s_waitcnt vmcnt(0)
	v_fmac_f64_e32 v[32:33], v[50:51], v[54:55]
	v_fmac_f64_e32 v[34:35], v[52:53], v[54:55]
	v_fma_f64 v[32:33], -v[52:53], v[56:57], v[32:33]
	v_fmac_f64_e32 v[34:35], v[50:51], v[56:57]
	s_cbranch_scc0 .LBB234_29
.LBB234_30:                             ;   in Loop: Header=BB234_20 Depth=2
	s_waitcnt vmcnt(0)
	v_subrev_u32_e32 v38, s29, v48
	v_mul_f64 v[36:37], v[34:35], -v[14:15]
	v_mul_f64 v[34:35], v[12:13], v[34:35]
	v_fmac_f64_e32 v[36:37], v[12:13], v[32:33]
	v_fmac_f64_e32 v[34:35], v[14:15], v[32:33]
	v_and_b32_e32 v32, 7, v38
	s_mov_b64 s[6:7], 0
	s_branch .LBB234_32
.LBB234_31:                             ;   in Loop: Header=BB234_32 Depth=3
	s_or_b64 exec, exec, s[60:61]
	s_xor_b64 s[60:61], s[62:63], -1
	s_and_b64 s[60:61], exec, s[60:61]
	s_or_b64 s[6:7], s[60:61], s[6:7]
	s_andn2_b64 exec, exec, s[6:7]
	s_cbranch_execz .LBB234_19
.LBB234_32:                             ;   Parent Loop BB234_17 Depth=1
                                        ;     Parent Loop BB234_20 Depth=2
                                        ; =>    This Inner Loop Header: Depth=3
	v_lshl_add_u32 v33, v32, 2, v40
	ds_read_b32 v39, v33
                                        ; implicit-def: $sgpr62_sgpr63
	s_waitcnt lgkmcnt(0)
	v_cmp_ne_u32_e32 vcc, v39, v38
	s_and_saveexec_b64 s[60:61], vcc
	s_xor_b64 s[60:61], exec, s[60:61]
	s_cbranch_execz .LBB234_40
; %bb.33:                               ;   in Loop: Header=BB234_32 Depth=3
	v_cmp_ne_u32_e32 vcc, s14, v39
                                        ; implicit-def: $sgpr62_sgpr63
	s_and_saveexec_b64 s[64:65], vcc
	s_xor_b64 s[64:65], exec, s[64:65]
; %bb.34:                               ;   in Loop: Header=BB234_32 Depth=3
	v_add_u32_e32 v32, 1, v32
	v_and_b32_e32 v32, 7, v32
	s_mov_b64 s[62:63], -1
                                        ; implicit-def: $vgpr33
; %bb.35:                               ;   in Loop: Header=BB234_32 Depth=3
	s_andn2_saveexec_b64 s[64:65], s[64:65]
	s_cbranch_execz .LBB234_39
; %bb.36:                               ;   in Loop: Header=BB234_32 Depth=3
	v_mov_b32_e32 v39, s14
	ds_cmpst_rtn_b32 v33, v33, v39, v38
	s_mov_b64 s[68:69], -1
	s_waitcnt lgkmcnt(0)
	v_cmp_eq_u32_e32 vcc, s14, v33
	s_and_saveexec_b64 s[66:67], vcc
	s_cbranch_execz .LBB234_38
; %bb.37:                               ;   in Loop: Header=BB234_32 Depth=3
	v_lshlrev_b32_e32 v33, 4, v1
	v_lshl_or_b32 v33, v32, 8, v33
	v_add_u32_e32 v33, v42, v33
	ds_add_f64 v33, v[36:37]
	ds_add_f64 v33, v[34:35] offset:8
	s_xor_b64 s[68:69], exec, -1
.LBB234_38:                             ;   in Loop: Header=BB234_32 Depth=3
	s_or_b64 exec, exec, s[66:67]
	s_andn2_b64 s[62:63], s[62:63], exec
	s_and_b64 s[66:67], s[68:69], exec
	s_or_b64 s[62:63], s[62:63], s[66:67]
.LBB234_39:                             ;   in Loop: Header=BB234_32 Depth=3
	s_or_b64 exec, exec, s[64:65]
	s_and_b64 s[62:63], s[62:63], exec
.LBB234_40:                             ;   in Loop: Header=BB234_32 Depth=3
	s_andn2_saveexec_b64 s[60:61], s[60:61]
	s_cbranch_execz .LBB234_31
; %bb.41:                               ;   in Loop: Header=BB234_32 Depth=3
	v_lshlrev_b32_e32 v33, 4, v1
	v_lshl_or_b32 v33, v32, 8, v33
	v_add_u32_e32 v33, v42, v33
	ds_add_f64 v33, v[36:37]
	ds_add_f64 v33, v[34:35] offset:8
	s_andn2_b64 s[62:63], s[62:63], exec
	s_branch .LBB234_31
.LBB234_42:
	s_or_b64 exec, exec, s[10:11]
.LBB234_43:
	s_andn2_b64 vcc, exec, s[34:35]
	s_waitcnt lgkmcnt(0)
	s_barrier
	s_cbranch_vccnz .LBB234_61
; %bb.44:
	v_mov_b32_e32 v1, s21
	v_add_co_u32_e32 v2, vcc, s20, v10
	v_addc_co_u32_e32 v3, vcc, v1, v11, vcc
	global_load_dwordx4 v[12:15], v[2:3], off
	v_subrev_co_u32_e32 v1, vcc, s31, v43
	v_subb_co_u32_e64 v5, s[4:5], 0, 0, vcc
	s_waitcnt vmcnt(0)
	v_subrev_co_u32_e32 v2, vcc, s31, v14
	v_subbrev_co_u32_e32 v3, vcc, 0, v15, vcc
	v_add_co_u32_e32 v4, vcc, v12, v1
	v_addc_co_u32_e32 v5, vcc, v13, v5, vcc
	v_cmp_lt_i64_e32 vcc, v[4:5], v[2:3]
	s_and_saveexec_b64 s[6:7], vcc
	s_cbranch_execz .LBB234_60
; %bb.45:
	v_mul_lo_u32 v12, v44, s15
	v_mov_b32_e32 v13, 0
	v_max_i32_e32 v1, v44, v45
	v_lshlrev_b64 v[14:15], 4, v[12:13]
	v_cmp_gt_i32_e32 vcc, s15, v1
	v_mov_b32_e32 v1, s25
	v_add_co_u32_e64 v12, s[4:5], s24, v14
	v_addc_co_u32_e64 v14, s[4:5], v1, v15, s[4:5]
	v_lshlrev_b32_e32 v15, 4, v45
	v_add_co_u32_e64 v15, s[4:5], v12, v15
	v_mul_lo_u32 v12, v45, s15
	v_addc_co_u32_e64 v14, s[4:5], 0, v14, s[4:5]
	v_lshlrev_b64 v[12:13], 4, v[12:13]
	v_add_co_u32_e64 v12, s[4:5], s24, v12
	v_addc_co_u32_e64 v1, s[4:5], v1, v13, s[4:5]
	v_lshlrev_b32_e32 v13, 4, v44
	v_add_co_u32_e64 v12, s[4:5], v12, v13
	s_cmp_eq_u32 s12, 0
	v_addc_co_u32_e64 v1, s[4:5], 0, v1, s[4:5]
	v_and_b32_e32 v13, 15, v0
	s_cselect_b64 s[4:5], -1, 0
	v_cndmask_b32_e64 v1, v14, v1, s[4:5]
	v_cndmask_b32_e64 v0, v15, v12, s[4:5]
	s_mov_b64 s[10:11], 0
	v_lshlrev_b32_e32 v16, 4, v13
	s_branch .LBB234_47
.LBB234_46:                             ;   in Loop: Header=BB234_47 Depth=1
	s_or_b64 exec, exec, s[16:17]
	v_add_co_u32_e64 v4, s[4:5], 4, v4
	v_addc_co_u32_e64 v5, s[4:5], 0, v5, s[4:5]
	v_cmp_ge_i64_e64 s[4:5], v[4:5], v[2:3]
	s_or_b64 s[10:11], s[4:5], s[10:11]
	s_andn2_b64 exec, exec, s[10:11]
	s_cbranch_execz .LBB234_60
.LBB234_47:                             ; =>This Loop Header: Depth=1
                                        ;     Child Loop BB234_50 Depth 2
	s_and_saveexec_b64 s[16:17], vcc
	s_cbranch_execz .LBB234_46
; %bb.48:                               ;   in Loop: Header=BB234_47 Depth=1
	v_lshlrev_b64 v[12:13], 2, v[4:5]
	v_mov_b32_e32 v14, s23
	v_add_co_u32_e64 v12, s[4:5], s22, v12
	v_addc_co_u32_e64 v13, s[4:5], v14, v13, s[4:5]
	global_load_dword v17, v[12:13], off
	v_mad_u64_u32 v[12:13], s[4:5], v4, s8, 0
	v_mov_b32_e32 v14, v13
	v_mad_u64_u32 v[14:15], s[4:5], v5, s8, v[14:15]
	v_mov_b32_e32 v13, v14
	v_lshlrev_b64 v[12:13], 4, v[12:13]
	v_add_co_u32_e64 v12, s[4:5], v0, v12
	v_addc_co_u32_e64 v13, s[4:5], v1, v13, s[4:5]
	global_load_dwordx4 v[20:23], v[12:13], off
	s_mov_b64 s[18:19], 0
	s_waitcnt vmcnt(1)
	v_subrev_u32_e32 v17, s31, v17
	v_and_b32_e32 v18, 7, v17
	s_waitcnt vmcnt(0)
	v_mul_f64 v[12:13], v[22:23], -v[6:7]
	v_mul_f64 v[14:15], v[8:9], v[22:23]
	v_fmac_f64_e32 v[12:13], v[8:9], v[20:21]
	v_fmac_f64_e32 v[14:15], v[6:7], v[20:21]
	s_branch .LBB234_50
.LBB234_49:                             ;   in Loop: Header=BB234_50 Depth=2
	s_or_b64 exec, exec, s[4:5]
	s_xor_b64 s[4:5], s[24:25], -1
	s_and_b64 s[4:5], exec, s[4:5]
	s_or_b64 s[18:19], s[4:5], s[18:19]
	s_andn2_b64 exec, exec, s[18:19]
	s_cbranch_execz .LBB234_46
.LBB234_50:                             ;   Parent Loop BB234_47 Depth=1
                                        ; =>  This Inner Loop Header: Depth=2
	v_lshl_add_u32 v19, v18, 2, v40
	ds_read_b32 v20, v19
                                        ; implicit-def: $sgpr24_sgpr25
	s_waitcnt lgkmcnt(0)
	v_cmp_ne_u32_e64 s[4:5], v20, v17
	s_and_saveexec_b64 s[20:21], s[4:5]
	s_xor_b64 s[20:21], exec, s[20:21]
	s_cbranch_execz .LBB234_58
; %bb.51:                               ;   in Loop: Header=BB234_50 Depth=2
	v_cmp_ne_u32_e64 s[4:5], s14, v20
                                        ; implicit-def: $sgpr24_sgpr25
	s_and_saveexec_b64 s[28:29], s[4:5]
	s_xor_b64 s[4:5], exec, s[28:29]
; %bb.52:                               ;   in Loop: Header=BB234_50 Depth=2
	v_add_u32_e32 v18, 1, v18
	v_and_b32_e32 v18, 7, v18
	s_mov_b64 s[24:25], -1
                                        ; implicit-def: $vgpr19
; %bb.53:                               ;   in Loop: Header=BB234_50 Depth=2
	s_andn2_saveexec_b64 s[28:29], s[4:5]
	s_cbranch_execz .LBB234_57
; %bb.54:                               ;   in Loop: Header=BB234_50 Depth=2
	v_mov_b32_e32 v20, s14
	ds_cmpst_rtn_b32 v19, v19, v20, v17
	s_mov_b64 s[36:37], -1
	s_waitcnt lgkmcnt(0)
	v_cmp_eq_u32_e64 s[4:5], s14, v19
	s_and_saveexec_b64 s[34:35], s[4:5]
	s_cbranch_execz .LBB234_56
; %bb.55:                               ;   in Loop: Header=BB234_50 Depth=2
	v_lshl_or_b32 v19, v18, 8, v16
	v_add_u32_e32 v19, v42, v19
	ds_add_f64 v19, v[12:13]
	ds_add_f64 v19, v[14:15] offset:8
	s_xor_b64 s[36:37], exec, -1
.LBB234_56:                             ;   in Loop: Header=BB234_50 Depth=2
	s_or_b64 exec, exec, s[34:35]
	s_andn2_b64 s[4:5], s[24:25], exec
	s_and_b64 s[24:25], s[36:37], exec
	s_or_b64 s[24:25], s[4:5], s[24:25]
.LBB234_57:                             ;   in Loop: Header=BB234_50 Depth=2
	s_or_b64 exec, exec, s[28:29]
	s_and_b64 s[24:25], s[24:25], exec
.LBB234_58:                             ;   in Loop: Header=BB234_50 Depth=2
	s_andn2_saveexec_b64 s[4:5], s[20:21]
	s_cbranch_execz .LBB234_49
; %bb.59:                               ;   in Loop: Header=BB234_50 Depth=2
	v_lshl_or_b32 v19, v18, 8, v16
	v_add_u32_e32 v19, v42, v19
	ds_add_f64 v19, v[12:13]
	ds_add_f64 v19, v[14:15] offset:8
	s_andn2_b64 s[24:25], s[24:25], exec
	s_branch .LBB234_49
.LBB234_60:
	s_or_b64 exec, exec, s[6:7]
.LBB234_61:
	v_mov_b32_e32 v1, s27
	v_add_co_u32_e32 v0, vcc, s26, v10
	v_addc_co_u32_e32 v1, vcc, v1, v11, vcc
	s_waitcnt lgkmcnt(0)
	s_barrier
	global_load_dwordx2 v[0:1], v[0:1], off
	v_mul_lo_u32 v4, v45, s15
	v_mov_b32_e32 v5, 0
	v_max_i32_e32 v3, v44, v45
	s_cmp_eq_u32 s12, 0
	v_lshlrev_b32_e32 v8, 5, v41
	v_lshlrev_b32_e32 v9, 2, v43
	s_movk_i32 s6, 0x2000
	v_lshlrev_b64 v[4:5], 4, v[4:5]
	v_mov_b32_e32 v6, s47
	v_cmp_gt_i32_e32 vcc, s15, v3
	s_cselect_b64 s[4:5], -1, 0
	v_or3_b32 v3, v8, v9, s6
	v_add_co_u32_e64 v4, s[6:7], s46, v4
	v_lshlrev_b32_e32 v7, 4, v44
	v_addc_co_u32_e64 v5, s[6:7], v6, v5, s[6:7]
	v_cndmask_b32_e64 v6, v45, v44, s[4:5]
	v_cndmask_b32_e64 v10, v44, v45, s[4:5]
	v_add_co_u32_e64 v4, s[4:5], v4, v7
	v_lshlrev_b32_e32 v6, 4, v6
	v_addc_co_u32_e64 v5, s[4:5], 0, v5, s[4:5]
	v_lshl_or_b32 v6, v43, 8, v6
	v_lshl_or_b32 v6, v10, 6, v6
	v_or_b32_e32 v2, -4, v43
	v_add_u32_e32 v6, v42, v6
	s_mov_b64 s[6:7], 0
	s_waitcnt vmcnt(0)
	v_subrev_co_u32_e64 v7, s[4:5], s30, v0
	v_subbrev_co_u32_e64 v8, s[4:5], 0, v1, s[4:5]
	s_branch .LBB234_63
.LBB234_62:                             ;   in Loop: Header=BB234_63 Depth=1
	s_or_b64 exec, exec, s[10:11]
	v_add_co_u32_e64 v2, s[4:5], 4, v2
	s_xor_b64 s[4:5], s[4:5], -1
	s_and_b64 s[4:5], exec, s[4:5]
	v_add_u32_e32 v6, 0x400, v6
	s_or_b64 s[6:7], s[4:5], s[6:7]
	v_add_u32_e32 v3, 16, v3
	s_andn2_b64 exec, exec, s[6:7]
	s_cbranch_execz .LBB234_66
.LBB234_63:                             ; =>This Inner Loop Header: Depth=1
	ds_read_b32 v9, v3
	s_waitcnt lgkmcnt(0)
	v_cmp_gt_i32_e64 s[4:5], s14, v9
	s_and_saveexec_b64 s[10:11], s[4:5]
	s_cbranch_execz .LBB234_62
; %bb.64:                               ;   in Loop: Header=BB234_63 Depth=1
	ds_read_b128 v[10:13], v40
	ds_read_b128 v[14:17], v40 offset:16
	s_waitcnt lgkmcnt(1)
	v_cmp_gt_i32_e64 s[4:5], v9, v10
	v_cndmask_b32_e64 v0, 0, 1, s[4:5]
	v_add_co_u32_e64 v0, s[4:5], v7, v0
	v_addc_co_u32_e64 v1, s[4:5], 0, v8, s[4:5]
	v_cmp_gt_i32_e64 s[4:5], v9, v11
	v_cndmask_b32_e64 v10, 0, 1, s[4:5]
	v_add_co_u32_e64 v0, s[4:5], v0, v10
	v_addc_co_u32_e64 v1, s[4:5], 0, v1, s[4:5]
	;; [unrolled: 4-line block ×4, first 2 shown]
	s_waitcnt lgkmcnt(0)
	v_cmp_gt_i32_e64 s[4:5], v9, v14
	v_cndmask_b32_e64 v10, 0, 1, s[4:5]
	v_add_co_u32_e64 v0, s[4:5], v0, v10
	v_addc_co_u32_e64 v1, s[4:5], 0, v1, s[4:5]
	v_cmp_gt_i32_e64 s[4:5], v9, v15
	v_cndmask_b32_e64 v10, 0, 1, s[4:5]
	v_add_co_u32_e64 v0, s[4:5], v0, v10
	v_addc_co_u32_e64 v1, s[4:5], 0, v1, s[4:5]
	;; [unrolled: 4-line block ×4, first 2 shown]
	v_lshlrev_b64 v[10:11], 2, v[0:1]
	v_mov_b32_e32 v12, s45
	v_add_co_u32_e64 v10, s[4:5], s44, v10
	v_add_u32_e32 v9, s30, v9
	v_addc_co_u32_e64 v11, s[4:5], v12, v11, s[4:5]
	global_store_dword v[10:11], v9, off
	s_and_b64 exec, exec, vcc
	s_cbranch_execz .LBB234_62
; %bb.65:                               ;   in Loop: Header=BB234_63 Depth=1
	v_mad_u64_u32 v[10:11], s[4:5], v0, s8, 0
	v_mov_b32_e32 v0, v11
	v_mad_u64_u32 v[0:1], s[4:5], v1, s8, v[0:1]
	v_mov_b32_e32 v11, v0
	v_lshlrev_b64 v[0:1], 4, v[10:11]
	ds_read2_b64 v[10:13], v6 offset1:1
	v_add_co_u32_e64 v0, s[4:5], v4, v0
	v_addc_co_u32_e64 v1, s[4:5], v5, v1, s[4:5]
	s_waitcnt lgkmcnt(0)
	global_store_dwordx4 v[0:1], v[10:13], off
	s_branch .LBB234_62
.LBB234_66:
	s_endpgm
	.section	.rodata,"a",@progbits
	.p2align	6, 0x0
	.amdhsa_kernel _ZN9rocsparseL23bsrgemm_fill_wf_per_rowILj256ELj64ELj8ELj137ELj4Eli21rocsparse_complex_numIdEEEv20rocsparse_direction_T5_S4_S4_PKS4_S6_NS_24const_host_device_scalarIT6_EEPKT4_S6_PKS8_SC_S6_SE_S9_SC_S6_SE_SC_PS4_PS8_21rocsparse_index_base_SH_SH_SH_bbb
		.amdhsa_group_segment_fixed_size 8320
		.amdhsa_private_segment_fixed_size 24
		.amdhsa_kernarg_size 180
		.amdhsa_user_sgpr_count 8
		.amdhsa_user_sgpr_private_segment_buffer 1
		.amdhsa_user_sgpr_dispatch_ptr 0
		.amdhsa_user_sgpr_queue_ptr 0
		.amdhsa_user_sgpr_kernarg_segment_ptr 1
		.amdhsa_user_sgpr_dispatch_id 0
		.amdhsa_user_sgpr_flat_scratch_init 1
		.amdhsa_user_sgpr_kernarg_preload_length 0
		.amdhsa_user_sgpr_kernarg_preload_offset 0
		.amdhsa_user_sgpr_private_segment_size 0
		.amdhsa_uses_dynamic_stack 0
		.amdhsa_system_sgpr_private_segment_wavefront_offset 1
		.amdhsa_system_sgpr_workgroup_id_x 1
		.amdhsa_system_sgpr_workgroup_id_y 0
		.amdhsa_system_sgpr_workgroup_id_z 0
		.amdhsa_system_sgpr_workgroup_info 0
		.amdhsa_system_vgpr_workitem_id 0
		.amdhsa_next_free_vgpr 58
		.amdhsa_next_free_sgpr 70
		.amdhsa_accum_offset 60
		.amdhsa_reserve_vcc 1
		.amdhsa_reserve_flat_scratch 1
		.amdhsa_float_round_mode_32 0
		.amdhsa_float_round_mode_16_64 0
		.amdhsa_float_denorm_mode_32 3
		.amdhsa_float_denorm_mode_16_64 3
		.amdhsa_dx10_clamp 1
		.amdhsa_ieee_mode 1
		.amdhsa_fp16_overflow 0
		.amdhsa_tg_split 0
		.amdhsa_exception_fp_ieee_invalid_op 0
		.amdhsa_exception_fp_denorm_src 0
		.amdhsa_exception_fp_ieee_div_zero 0
		.amdhsa_exception_fp_ieee_overflow 0
		.amdhsa_exception_fp_ieee_underflow 0
		.amdhsa_exception_fp_ieee_inexact 0
		.amdhsa_exception_int_div_zero 0
	.end_amdhsa_kernel
	.section	.text._ZN9rocsparseL23bsrgemm_fill_wf_per_rowILj256ELj64ELj8ELj137ELj4Eli21rocsparse_complex_numIdEEEv20rocsparse_direction_T5_S4_S4_PKS4_S6_NS_24const_host_device_scalarIT6_EEPKT4_S6_PKS8_SC_S6_SE_S9_SC_S6_SE_SC_PS4_PS8_21rocsparse_index_base_SH_SH_SH_bbb,"axG",@progbits,_ZN9rocsparseL23bsrgemm_fill_wf_per_rowILj256ELj64ELj8ELj137ELj4Eli21rocsparse_complex_numIdEEEv20rocsparse_direction_T5_S4_S4_PKS4_S6_NS_24const_host_device_scalarIT6_EEPKT4_S6_PKS8_SC_S6_SE_S9_SC_S6_SE_SC_PS4_PS8_21rocsparse_index_base_SH_SH_SH_bbb,comdat
.Lfunc_end234:
	.size	_ZN9rocsparseL23bsrgemm_fill_wf_per_rowILj256ELj64ELj8ELj137ELj4Eli21rocsparse_complex_numIdEEEv20rocsparse_direction_T5_S4_S4_PKS4_S6_NS_24const_host_device_scalarIT6_EEPKT4_S6_PKS8_SC_S6_SE_S9_SC_S6_SE_SC_PS4_PS8_21rocsparse_index_base_SH_SH_SH_bbb, .Lfunc_end234-_ZN9rocsparseL23bsrgemm_fill_wf_per_rowILj256ELj64ELj8ELj137ELj4Eli21rocsparse_complex_numIdEEEv20rocsparse_direction_T5_S4_S4_PKS4_S6_NS_24const_host_device_scalarIT6_EEPKT4_S6_PKS8_SC_S6_SE_S9_SC_S6_SE_SC_PS4_PS8_21rocsparse_index_base_SH_SH_SH_bbb
                                        ; -- End function
	.section	.AMDGPU.csdata,"",@progbits
; Kernel info:
; codeLenInByte = 3180
; NumSgprs: 76
; NumVgprs: 58
; NumAgprs: 0
; TotalNumVgprs: 58
; ScratchSize: 24
; MemoryBound: 0
; FloatMode: 240
; IeeeMode: 1
; LDSByteSize: 8320 bytes/workgroup (compile time only)
; SGPRBlocks: 9
; VGPRBlocks: 7
; NumSGPRsForWavesPerEU: 76
; NumVGPRsForWavesPerEU: 58
; AccumOffset: 60
; Occupancy: 7
; WaveLimiterHint : 1
; COMPUTE_PGM_RSRC2:SCRATCH_EN: 1
; COMPUTE_PGM_RSRC2:USER_SGPR: 8
; COMPUTE_PGM_RSRC2:TRAP_HANDLER: 0
; COMPUTE_PGM_RSRC2:TGID_X_EN: 1
; COMPUTE_PGM_RSRC2:TGID_Y_EN: 0
; COMPUTE_PGM_RSRC2:TGID_Z_EN: 0
; COMPUTE_PGM_RSRC2:TIDIG_COMP_CNT: 0
; COMPUTE_PGM_RSRC3_GFX90A:ACCUM_OFFSET: 14
; COMPUTE_PGM_RSRC3_GFX90A:TG_SPLIT: 0
	.section	.text._ZN9rocsparseL23bsrgemm_fill_wf_per_rowILj256ELj64ELj16ELj137ELj4Eli21rocsparse_complex_numIdEEEv20rocsparse_direction_T5_S4_S4_PKS4_S6_NS_24const_host_device_scalarIT6_EEPKT4_S6_PKS8_SC_S6_SE_S9_SC_S6_SE_SC_PS4_PS8_21rocsparse_index_base_SH_SH_SH_bbb,"axG",@progbits,_ZN9rocsparseL23bsrgemm_fill_wf_per_rowILj256ELj64ELj16ELj137ELj4Eli21rocsparse_complex_numIdEEEv20rocsparse_direction_T5_S4_S4_PKS4_S6_NS_24const_host_device_scalarIT6_EEPKT4_S6_PKS8_SC_S6_SE_S9_SC_S6_SE_SC_PS4_PS8_21rocsparse_index_base_SH_SH_SH_bbb,comdat
	.globl	_ZN9rocsparseL23bsrgemm_fill_wf_per_rowILj256ELj64ELj16ELj137ELj4Eli21rocsparse_complex_numIdEEEv20rocsparse_direction_T5_S4_S4_PKS4_S6_NS_24const_host_device_scalarIT6_EEPKT4_S6_PKS8_SC_S6_SE_S9_SC_S6_SE_SC_PS4_PS8_21rocsparse_index_base_SH_SH_SH_bbb ; -- Begin function _ZN9rocsparseL23bsrgemm_fill_wf_per_rowILj256ELj64ELj16ELj137ELj4Eli21rocsparse_complex_numIdEEEv20rocsparse_direction_T5_S4_S4_PKS4_S6_NS_24const_host_device_scalarIT6_EEPKT4_S6_PKS8_SC_S6_SE_S9_SC_S6_SE_SC_PS4_PS8_21rocsparse_index_base_SH_SH_SH_bbb
	.p2align	8
	.type	_ZN9rocsparseL23bsrgemm_fill_wf_per_rowILj256ELj64ELj16ELj137ELj4Eli21rocsparse_complex_numIdEEEv20rocsparse_direction_T5_S4_S4_PKS4_S6_NS_24const_host_device_scalarIT6_EEPKT4_S6_PKS8_SC_S6_SE_S9_SC_S6_SE_SC_PS4_PS8_21rocsparse_index_base_SH_SH_SH_bbb,@function
_ZN9rocsparseL23bsrgemm_fill_wf_per_rowILj256ELj64ELj16ELj137ELj4Eli21rocsparse_complex_numIdEEEv20rocsparse_direction_T5_S4_S4_PKS4_S6_NS_24const_host_device_scalarIT6_EEPKT4_S6_PKS8_SC_S6_SE_S9_SC_S6_SE_SC_PS4_PS8_21rocsparse_index_base_SH_SH_SH_bbb: ; @_ZN9rocsparseL23bsrgemm_fill_wf_per_rowILj256ELj64ELj16ELj137ELj4Eli21rocsparse_complex_numIdEEEv20rocsparse_direction_T5_S4_S4_PKS4_S6_NS_24const_host_device_scalarIT6_EEPKT4_S6_PKS8_SC_S6_SE_S9_SC_S6_SE_SC_PS4_PS8_21rocsparse_index_base_SH_SH_SH_bbb
; %bb.0:
	s_load_dword s9, s[6:7], 0xb0
	s_load_dwordx2 s[2:3], s[4:5], 0x4
	s_load_dwordx4 s[16:19], s[6:7], 0x20
	s_load_dwordx4 s[12:15], s[6:7], 0x60
	v_and_b32_e32 v44, 0x3ff, v0
	v_bfe_u32 v2, v0, 10, 10
	s_waitcnt lgkmcnt(0)
	s_bitcmp1_b32 s9, 0
	s_cselect_b64 s[4:5], -1, 0
	s_bitcmp1_b32 s9, 16
	s_cselect_b64 s[0:1], -1, 0
	s_lshr_b32 s2, s2, 16
	s_mul_i32 s2, s2, s3
	v_mul_lo_u32 v1, s2, v44
	v_mad_u32_u24 v1, v2, s3, v1
	v_bfe_u32 v0, v0, 20, 10
	v_add_lshl_u32 v0, v1, v0, 3
	v_pk_mov_b32 v[2:3], s[16:17], s[16:17] op_sel:[0,1]
	v_pk_mov_b32 v[4:5], s[12:13], s[12:13] op_sel:[0,1]
	v_add_u32_e32 v1, 0x100, v0
	s_xor_b64 s[2:3], s[0:1], -1
	ds_write2st64_b64 v1, v[4:5], v[2:3] offset0:32 offset1:36
	v_pk_mov_b32 v[4:5], 0, 0
	v_cndmask_b32_e64 v1, 0, 1, s[2:3]
	s_bitcmp0_b32 s9, 0
	v_cmp_ne_u32_e64 s[2:3], 1, v1
	v_pk_mov_b32 v[10:11], v[4:5], v[4:5] op_sel:[0,1]
	v_pk_mov_b32 v[12:13], v[4:5], v[4:5] op_sel:[0,1]
	s_cbranch_scc1 .LBB235_3
; %bb.1:
	s_mov_b64 s[10:11], src_shared_base
	s_and_b64 s[20:21], s[0:1], exec
	v_add_u32_e32 v1, 0x4900, v0
	s_cselect_b32 s10, s11, s17
	v_mov_b32_e32 v2, s16
	v_cndmask_b32_e64 v2, v2, v1, s[0:1]
	v_mov_b32_e32 v3, s10
	flat_load_dwordx2 v[10:11], v[2:3]
	s_and_b64 vcc, exec, s[2:3]
	v_pk_mov_b32 v[12:13], s[18:19], s[18:19] op_sel:[0,1]
	s_cbranch_vccnz .LBB235_3
; %bb.2:
	v_pk_mov_b32 v[2:3], s[16:17], s[16:17] op_sel:[0,1]
	flat_load_dwordx2 v[12:13], v[2:3] offset:8
.LBB235_3:
	s_load_dwordx4 s[28:31], s[6:7], 0xa0
	s_bitcmp1_b32 s9, 8
	s_cselect_b64 s[10:11], -1, 0
	s_bfe_u32 s9, s9, 0x10008
	s_cmp_eq_u32 s9, 0
	v_pk_mov_b32 v[6:7], v[4:5], v[4:5] op_sel:[0,1]
	s_cbranch_scc1 .LBB235_6
; %bb.4:
	s_mov_b64 s[16:17], src_shared_base
	s_and_b64 s[18:19], s[0:1], exec
	v_add_u32_e32 v0, 0x4100, v0
	s_cselect_b32 s9, s17, s13
	v_mov_b32_e32 v1, s12
	v_cndmask_b32_e64 v0, v1, v0, s[0:1]
	v_mov_b32_e32 v1, s9
	flat_load_dwordx2 v[6:7], v[0:1]
	s_and_b64 vcc, exec, s[2:3]
	v_pk_mov_b32 v[4:5], s[14:15], s[14:15] op_sel:[0,1]
	s_cbranch_vccnz .LBB235_6
; %bb.5:
	v_pk_mov_b32 v[0:1], s[12:13], s[12:13] op_sel:[0,1]
	flat_load_dwordx2 v[4:5], v[0:1] offset:8
.LBB235_6:
	s_load_dwordx4 s[44:47], s[6:7], 0x90
	s_load_dwordx8 s[20:27], s[6:7], 0x70
	s_load_dwordx4 s[48:51], s[6:7], 0x50
	s_load_dwordx8 s[12:19], s[6:7], 0x0
	s_load_dwordx8 s[36:43], s[6:7], 0x30
	v_and_b32_e32 v8, 63, v44
	v_and_b32_e32 v0, 0xc0, v44
	v_lshrrev_b32_e32 v39, 6, v44
	v_or_b32_e32 v38, 0x4000, v0
	v_cmp_gt_u32_e32 vcc, 16, v8
	s_and_saveexec_b64 s[0:1], vcc
	s_cbranch_execz .LBB235_8
; %bb.7:
	v_lshl_add_u32 v0, v8, 2, v38
	s_waitcnt lgkmcnt(0)
	v_mov_b32_e32 v1, s14
	ds_write_b32 v0, v1
.LBB235_8:
	s_or_b64 exec, exec, s[0:1]
	v_lshlrev_b32_e32 v40, 12, v39
	v_mov_b32_e32 v0, 0
	v_or_b32_e32 v9, 0xffffffc0, v8
	v_lshl_or_b32 v14, v8, 4, v40
	s_mov_b64 s[0:1], 0
	v_mov_b32_e32 v1, v0
	v_mov_b32_e32 v2, v0
	;; [unrolled: 1-line block ×3, first 2 shown]
	s_movk_i32 s2, 0xbf
.LBB235_9:                              ; =>This Inner Loop Header: Depth=1
	v_add_u32_e32 v9, 64, v9
	v_cmp_lt_u32_e32 vcc, s2, v9
	ds_write_b128 v14, v[0:3]
	s_or_b64 s[0:1], vcc, s[0:1]
	v_add_u32_e32 v14, 0x400, v14
	s_andn2_b64 exec, exec, s[0:1]
	s_cbranch_execnz .LBB235_9
; %bb.10:
	s_or_b64 exec, exec, s[0:1]
	v_lshl_or_b32 v0, s8, 2, v39
	s_waitcnt lgkmcnt(0)
	v_cmp_gt_i32_e32 vcc, s13, v0
	s_barrier
	s_and_saveexec_b64 s[0:1], vcc
	s_cbranch_execz .LBB235_66
; %bb.11:
	s_cmp_eq_u64 s[18:19], 0
	s_cbranch_scc1 .LBB235_13
; %bb.12:
	s_load_dword s0, s[16:17], 0x0
	v_mov_b32_e32 v2, s19
	s_waitcnt lgkmcnt(0)
	v_add_u32_e32 v0, s0, v0
	v_ashrrev_i32_e32 v1, 31, v0
	v_lshlrev_b64 v[0:1], 2, v[0:1]
	v_add_co_u32_e32 v0, vcc, s18, v0
	v_addc_co_u32_e32 v1, vcc, v2, v1, vcc
	global_load_dword v0, v[0:1], off
.LBB235_13:
	s_waitcnt vmcnt(0)
	v_ashrrev_i32_e32 v1, 31, v0
	v_lshrrev_b32_e32 v41, 4, v8
	v_and_b32_e32 v42, 3, v44
	v_bfe_u32 v43, v44, 2, 2
	s_andn2_b64 vcc, exec, s[4:5]
	s_mul_i32 s6, s15, s15
	v_lshlrev_b64 v[8:9], 3, v[0:1]
	s_cbranch_vccnz .LBB235_43
; %bb.14:
	v_mov_b32_e32 v1, s37
	v_add_co_u32_e32 v0, vcc, s36, v8
	v_addc_co_u32_e32 v1, vcc, v1, v9, vcc
	global_load_dwordx4 v[0:3], v[0:1], off
	v_subrev_co_u32_e32 v16, vcc, s28, v41
	v_subb_co_u32_e64 v17, s[0:1], 0, 0, vcc
	s_mov_b32 s13, 0
	s_waitcnt vmcnt(0)
	v_subrev_co_u32_e32 v14, vcc, s28, v2
	v_subbrev_co_u32_e32 v15, vcc, 0, v3, vcc
	v_add_co_u32_e32 v16, vcc, v0, v16
	v_addc_co_u32_e32 v17, vcc, v1, v17, vcc
	v_cmp_lt_i64_e32 vcc, v[16:17], v[14:15]
	s_and_saveexec_b64 s[8:9], vcc
	s_cbranch_execz .LBB235_42
; %bb.15:
	v_mad_u64_u32 v[18:19], s[16:17], v16, s6, 0
	v_mov_b32_e32 v20, v19
	v_mad_u64_u32 v[20:21], s[16:17], v17, s6, v[20:21]
	v_mov_b32_e32 v19, v20
	v_lshlrev_b64 v[22:23], 4, v[18:19]
	v_lshlrev_b32_e32 v18, 4, v43
	v_add_co_u32_e32 v18, vcc, v22, v18
	v_addc_co_u32_e32 v19, vcc, 0, v23, vcc
	v_mov_b32_e32 v24, s41
	v_add_co_u32_e32 v18, vcc, s40, v18
	v_max_i32_e32 v0, v42, v43
	v_addc_co_u32_e32 v19, vcc, v19, v24, vcc
	v_cmp_gt_i32_e64 s[0:1], s15, v0
	v_mul_lo_u32 v0, v42, s15
	v_mov_b32_e32 v1, 0
	v_add_co_u32_e32 v18, vcc, 8, v18
	v_mov_b32_e32 v3, v1
	v_addc_co_u32_e32 v19, vcc, 0, v19, vcc
	v_lshlrev_b64 v[0:1], 4, v[0:1]
	v_mov_b32_e32 v25, s51
	v_add_co_u32_e32 v0, vcc, s50, v0
	v_addc_co_u32_e32 v1, vcc, v1, v25, vcc
	v_mul_lo_u32 v2, v43, s15
	v_add_co_u32_e32 v20, vcc, 8, v0
	v_addc_co_u32_e32 v21, vcc, 0, v1, vcc
	v_lshlrev_b64 v[0:1], 4, v[2:3]
	v_add_co_u32_e32 v0, vcc, v22, v0
	v_addc_co_u32_e32 v1, vcc, v23, v1, vcc
	v_add_co_u32_e32 v0, vcc, s40, v0
	v_addc_co_u32_e32 v1, vcc, v1, v24, vcc
	;; [unrolled: 2-line block ×3, first 2 shown]
	v_lshlrev_b32_e32 v0, 4, v42
	s_cmp_lg_u32 s12, 0
	v_add_co_u32_e32 v0, vcc, s50, v0
	s_cselect_b64 s[2:3], -1, 0
	s_cmp_gt_i32 s15, 0
	v_addc_co_u32_e32 v1, vcc, 0, v25, vcc
	s_cselect_b64 s[4:5], -1, 0
	s_mov_b32 s18, s15
	s_mov_b32 s19, s13
	v_add_co_u32_e32 v24, vcc, 8, v0
	v_cndmask_b32_e64 v0, 0, 1, s[2:3]
	s_mov_b32 s7, s13
	s_lshl_b64 s[18:19], s[18:19], 4
	v_cmp_ne_u32_e64 s[2:3], 1, v0
	v_cndmask_b32_e64 v0, 0, 1, s[4:5]
	s_mov_b32 s33, s29
	v_and_b32_e32 v45, 15, v44
	s_lshl_b64 s[16:17], s[6:7], 6
	s_lshl_b64 s[34:35], s[6:7], 4
	v_addc_co_u32_e32 v25, vcc, 0, v1, vcc
	s_mov_b64 s[36:37], 0
	v_mov_b32_e32 v46, s39
	v_mov_b32_e32 v47, s43
	v_cmp_ne_u32_e64 s[4:5], 1, v0
	v_mov_b32_e32 v48, s19
	s_branch .LBB235_17
.LBB235_16:                             ;   in Loop: Header=BB235_17 Depth=1
	s_or_b64 exec, exec, s[40:41]
	v_add_co_u32_e32 v16, vcc, 4, v16
	v_addc_co_u32_e32 v17, vcc, 0, v17, vcc
	v_mov_b32_e32 v0, s17
	v_add_co_u32_e32 v18, vcc, s16, v18
	v_addc_co_u32_e32 v19, vcc, v19, v0, vcc
	v_cmp_ge_i64_e32 vcc, v[16:17], v[14:15]
	s_or_b64 s[36:37], vcc, s[36:37]
	v_add_co_u32_e32 v22, vcc, s16, v22
	v_addc_co_u32_e32 v23, vcc, v23, v0, vcc
	s_andn2_b64 exec, exec, s[36:37]
	s_cbranch_execz .LBB235_42
.LBB235_17:                             ; =>This Loop Header: Depth=1
                                        ;     Child Loop BB235_20 Depth 2
                                        ;       Child Loop BB235_24 Depth 3
                                        ;       Child Loop BB235_29 Depth 3
	;; [unrolled: 1-line block ×3, first 2 shown]
	v_lshlrev_b64 v[0:1], 2, v[16:17]
	v_add_co_u32_e32 v0, vcc, s38, v0
	v_addc_co_u32_e32 v1, vcc, v46, v1, vcc
	global_load_dword v0, v[0:1], off
	s_waitcnt vmcnt(0)
	v_subrev_u32_e32 v0, s28, v0
	v_ashrrev_i32_e32 v1, 31, v0
	v_lshlrev_b64 v[0:1], 3, v[0:1]
	v_add_co_u32_e32 v0, vcc, s42, v0
	v_addc_co_u32_e32 v1, vcc, v47, v1, vcc
	global_load_dwordx4 v[0:3], v[0:1], off
	s_waitcnt vmcnt(0)
	v_cmp_lt_i64_e32 vcc, v[0:1], v[2:3]
	s_and_saveexec_b64 s[40:41], vcc
	s_cbranch_execz .LBB235_16
; %bb.18:                               ;   in Loop: Header=BB235_17 Depth=1
	v_mov_b32_e32 v26, s13
	v_subrev_co_u32_e32 v2, vcc, s33, v2
	v_subb_co_u32_e32 v3, vcc, v3, v26, vcc
	v_subrev_co_u32_e32 v0, vcc, s33, v0
	v_subb_co_u32_e32 v1, vcc, v1, v26, vcc
	v_mad_u64_u32 v[26:27], s[50:51], s34, v0, v[20:21]
	v_mul_lo_u32 v30, s34, v1
	v_mul_lo_u32 v31, s35, v0
	v_mad_u64_u32 v[28:29], s[50:51], s34, v0, v[24:25]
	v_add3_u32 v27, v31, v27, v30
	v_add3_u32 v29, v31, v29, v30
	s_mov_b64 s[50:51], 0
	s_branch .LBB235_20
.LBB235_19:                             ;   in Loop: Header=BB235_20 Depth=2
	s_or_b64 exec, exec, s[52:53]
	v_add_co_u32_e32 v0, vcc, 1, v0
	v_addc_co_u32_e32 v1, vcc, 0, v1, vcc
	v_mov_b32_e32 v30, s35
	v_add_co_u32_e32 v26, vcc, s34, v26
	v_addc_co_u32_e32 v27, vcc, v27, v30, vcc
	v_cmp_ge_i64_e32 vcc, v[0:1], v[2:3]
	s_or_b64 s[50:51], vcc, s[50:51]
	v_add_co_u32_e32 v28, vcc, s34, v28
	v_addc_co_u32_e32 v29, vcc, v29, v30, vcc
	s_andn2_b64 exec, exec, s[50:51]
	s_cbranch_execz .LBB235_16
.LBB235_20:                             ;   Parent Loop BB235_17 Depth=1
                                        ; =>  This Loop Header: Depth=2
                                        ;       Child Loop BB235_24 Depth 3
                                        ;       Child Loop BB235_29 Depth 3
	;; [unrolled: 1-line block ×3, first 2 shown]
	s_and_saveexec_b64 s[52:53], s[0:1]
	s_cbranch_execz .LBB235_19
; %bb.21:                               ;   in Loop: Header=BB235_20 Depth=2
	v_lshlrev_b64 v[30:31], 2, v[0:1]
	v_mov_b32_e32 v32, s49
	v_add_co_u32_e32 v30, vcc, s48, v30
	v_addc_co_u32_e32 v31, vcc, v32, v31, vcc
	global_load_dword v49, v[30:31], off
	s_and_b64 vcc, exec, s[2:3]
	s_cbranch_vccnz .LBB235_26
; %bb.22:                               ;   in Loop: Header=BB235_20 Depth=2
	v_pk_mov_b32 v[30:31], 0, 0
	s_mov_b64 s[54:55], 0
	s_and_b64 vcc, exec, s[4:5]
	v_pk_mov_b32 v[32:33], v[30:31], v[30:31] op_sel:[0,1]
	s_cbranch_vccnz .LBB235_25
; %bb.23:                               ;   in Loop: Header=BB235_20 Depth=2
	v_pk_mov_b32 v[30:31], 0, 0
	v_pk_mov_b32 v[34:35], v[26:27], v[26:27] op_sel:[0,1]
	v_pk_mov_b32 v[36:37], v[18:19], v[18:19] op_sel:[0,1]
	s_mov_b32 s7, s15
	v_pk_mov_b32 v[32:33], v[30:31], v[30:31] op_sel:[0,1]
.LBB235_24:                             ;   Parent Loop BB235_17 Depth=1
                                        ;     Parent Loop BB235_20 Depth=2
                                        ; =>    This Inner Loop Header: Depth=3
	global_load_dwordx4 v[50:53], v[36:37], off offset:-8
	global_load_dwordx4 v[54:57], v[34:35], off offset:-8
	v_add_co_u32_e32 v36, vcc, s18, v36
	v_addc_co_u32_e32 v37, vcc, v37, v48, vcc
	s_add_i32 s7, s7, -1
	v_add_co_u32_e32 v34, vcc, 16, v34
	v_addc_co_u32_e32 v35, vcc, 0, v35, vcc
	s_cmp_lg_u32 s7, 0
	s_waitcnt vmcnt(0)
	v_fmac_f64_e32 v[30:31], v[50:51], v[54:55]
	v_fmac_f64_e32 v[32:33], v[52:53], v[54:55]
	v_fma_f64 v[30:31], -v[52:53], v[56:57], v[30:31]
	v_fmac_f64_e32 v[32:33], v[50:51], v[56:57]
	s_cbranch_scc1 .LBB235_24
.LBB235_25:                             ;   in Loop: Header=BB235_20 Depth=2
	s_andn2_b64 vcc, exec, s[54:55]
	s_cbranch_vccz .LBB235_27
	s_branch .LBB235_30
.LBB235_26:                             ;   in Loop: Header=BB235_20 Depth=2
                                        ; implicit-def: $vgpr30_vgpr31
                                        ; implicit-def: $vgpr32_vgpr33
.LBB235_27:                             ;   in Loop: Header=BB235_20 Depth=2
	v_pk_mov_b32 v[30:31], 0, 0
	s_and_b64 vcc, exec, s[4:5]
	v_pk_mov_b32 v[32:33], v[30:31], v[30:31] op_sel:[0,1]
	s_cbranch_vccnz .LBB235_30
; %bb.28:                               ;   in Loop: Header=BB235_20 Depth=2
	v_pk_mov_b32 v[30:31], 0, 0
	v_pk_mov_b32 v[34:35], v[28:29], v[28:29] op_sel:[0,1]
	v_pk_mov_b32 v[36:37], v[22:23], v[22:23] op_sel:[0,1]
	s_mov_b32 s7, s15
	v_pk_mov_b32 v[32:33], v[30:31], v[30:31] op_sel:[0,1]
.LBB235_29:                             ;   Parent Loop BB235_17 Depth=1
                                        ;     Parent Loop BB235_20 Depth=2
                                        ; =>    This Inner Loop Header: Depth=3
	global_load_dwordx4 v[50:53], v[36:37], off offset:-8
	global_load_dwordx4 v[54:57], v[34:35], off offset:-8
	v_add_co_u32_e32 v36, vcc, 16, v36
	v_addc_co_u32_e32 v37, vcc, 0, v37, vcc
	s_add_i32 s7, s7, -1
	v_add_co_u32_e32 v34, vcc, s18, v34
	v_addc_co_u32_e32 v35, vcc, v35, v48, vcc
	s_cmp_eq_u32 s7, 0
	s_waitcnt vmcnt(0)
	v_fmac_f64_e32 v[30:31], v[50:51], v[54:55]
	v_fmac_f64_e32 v[32:33], v[52:53], v[54:55]
	v_fma_f64 v[30:31], -v[52:53], v[56:57], v[30:31]
	v_fmac_f64_e32 v[32:33], v[50:51], v[56:57]
	s_cbranch_scc0 .LBB235_29
.LBB235_30:                             ;   in Loop: Header=BB235_20 Depth=2
	s_waitcnt vmcnt(0)
	v_subrev_u32_e32 v36, s29, v49
	v_mul_f64 v[34:35], v[32:33], -v[12:13]
	v_mul_f64 v[32:33], v[10:11], v[32:33]
	v_fmac_f64_e32 v[34:35], v[10:11], v[30:31]
	v_fmac_f64_e32 v[32:33], v[12:13], v[30:31]
	v_lshl_add_u32 v30, v36, 3, v36
	v_and_b32_e32 v30, 15, v30
	s_mov_b64 s[54:55], 0
	s_branch .LBB235_32
.LBB235_31:                             ;   in Loop: Header=BB235_32 Depth=3
	s_or_b64 exec, exec, s[56:57]
	s_xor_b64 s[56:57], s[58:59], -1
	s_and_b64 s[56:57], exec, s[56:57]
	s_or_b64 s[54:55], s[56:57], s[54:55]
	s_andn2_b64 exec, exec, s[54:55]
	s_cbranch_execz .LBB235_19
.LBB235_32:                             ;   Parent Loop BB235_17 Depth=1
                                        ;     Parent Loop BB235_20 Depth=2
                                        ; =>    This Inner Loop Header: Depth=3
	v_lshl_add_u32 v31, v30, 2, v38
	ds_read_b32 v37, v31
                                        ; implicit-def: $sgpr58_sgpr59
	s_waitcnt lgkmcnt(0)
	v_cmp_ne_u32_e32 vcc, v37, v36
	s_and_saveexec_b64 s[56:57], vcc
	s_xor_b64 s[56:57], exec, s[56:57]
	s_cbranch_execz .LBB235_40
; %bb.33:                               ;   in Loop: Header=BB235_32 Depth=3
	v_cmp_ne_u32_e32 vcc, s14, v37
                                        ; implicit-def: $sgpr58_sgpr59
	s_and_saveexec_b64 s[60:61], vcc
	s_xor_b64 s[60:61], exec, s[60:61]
; %bb.34:                               ;   in Loop: Header=BB235_32 Depth=3
	v_add_u32_e32 v30, 1, v30
	v_and_b32_e32 v30, 15, v30
	s_mov_b64 s[58:59], -1
                                        ; implicit-def: $vgpr31
; %bb.35:                               ;   in Loop: Header=BB235_32 Depth=3
	s_andn2_saveexec_b64 s[60:61], s[60:61]
	s_cbranch_execz .LBB235_39
; %bb.36:                               ;   in Loop: Header=BB235_32 Depth=3
	v_mov_b32_e32 v37, s14
	ds_cmpst_rtn_b32 v31, v31, v37, v36
	s_mov_b64 s[64:65], -1
	s_waitcnt lgkmcnt(0)
	v_cmp_eq_u32_e32 vcc, s14, v31
	s_and_saveexec_b64 s[62:63], vcc
	s_cbranch_execz .LBB235_38
; %bb.37:                               ;   in Loop: Header=BB235_32 Depth=3
	v_lshlrev_b32_e32 v31, 4, v45
	v_lshl_or_b32 v31, v30, 8, v31
	v_add_u32_e32 v31, v40, v31
	ds_add_f64 v31, v[34:35]
	ds_add_f64 v31, v[32:33] offset:8
	s_xor_b64 s[64:65], exec, -1
.LBB235_38:                             ;   in Loop: Header=BB235_32 Depth=3
	s_or_b64 exec, exec, s[62:63]
	s_andn2_b64 s[58:59], s[58:59], exec
	s_and_b64 s[62:63], s[64:65], exec
	s_or_b64 s[58:59], s[58:59], s[62:63]
.LBB235_39:                             ;   in Loop: Header=BB235_32 Depth=3
	s_or_b64 exec, exec, s[60:61]
	s_and_b64 s[58:59], s[58:59], exec
.LBB235_40:                             ;   in Loop: Header=BB235_32 Depth=3
	s_andn2_saveexec_b64 s[56:57], s[56:57]
	s_cbranch_execz .LBB235_31
; %bb.41:                               ;   in Loop: Header=BB235_32 Depth=3
	v_lshlrev_b32_e32 v31, 4, v45
	v_lshl_or_b32 v31, v30, 8, v31
	v_add_u32_e32 v31, v40, v31
	ds_add_f64 v31, v[34:35]
	ds_add_f64 v31, v[32:33] offset:8
	s_andn2_b64 s[58:59], s[58:59], exec
	s_branch .LBB235_31
.LBB235_42:
	s_or_b64 exec, exec, s[8:9]
.LBB235_43:
	s_andn2_b64 vcc, exec, s[10:11]
	s_waitcnt lgkmcnt(0)
	s_barrier
	s_cbranch_vccnz .LBB235_61
; %bb.44:
	v_mov_b32_e32 v1, s21
	v_add_co_u32_e32 v0, vcc, s20, v8
	v_addc_co_u32_e32 v1, vcc, v1, v9, vcc
	global_load_dwordx4 v[10:13], v[0:1], off
	v_subrev_co_u32_e32 v2, vcc, s31, v41
	v_subb_co_u32_e64 v3, s[0:1], 0, 0, vcc
	s_waitcnt vmcnt(0)
	v_subrev_co_u32_e32 v0, vcc, s31, v12
	v_subbrev_co_u32_e32 v1, vcc, 0, v13, vcc
	v_add_co_u32_e32 v2, vcc, v10, v2
	v_addc_co_u32_e32 v3, vcc, v11, v3, vcc
	v_cmp_lt_i64_e32 vcc, v[2:3], v[0:1]
	s_and_saveexec_b64 s[2:3], vcc
	s_cbranch_execz .LBB235_60
; %bb.45:
	v_max_i32_e32 v10, v42, v43
	v_cmp_gt_i32_e32 vcc, s15, v10
	v_mul_lo_u32 v10, v42, s15
	v_mov_b32_e32 v11, 0
	v_lshlrev_b64 v[12:13], 4, v[10:11]
	v_mov_b32_e32 v14, s25
	v_add_co_u32_e64 v10, s[0:1], s24, v12
	v_addc_co_u32_e64 v12, s[0:1], v14, v13, s[0:1]
	v_lshlrev_b32_e32 v13, 4, v43
	v_add_co_u32_e64 v13, s[0:1], v10, v13
	v_mul_lo_u32 v10, v43, s15
	v_addc_co_u32_e64 v12, s[0:1], 0, v12, s[0:1]
	v_lshlrev_b64 v[10:11], 4, v[10:11]
	v_add_co_u32_e64 v10, s[0:1], s24, v10
	v_addc_co_u32_e64 v11, s[0:1], v14, v11, s[0:1]
	v_lshlrev_b32_e32 v14, 4, v42
	v_add_co_u32_e64 v10, s[0:1], v10, v14
	s_cmp_eq_u32 s12, 0
	v_addc_co_u32_e64 v11, s[0:1], 0, v11, s[0:1]
	v_and_b32_e32 v14, 15, v44
	s_cselect_b64 s[0:1], -1, 0
	v_cndmask_b32_e64 v11, v12, v11, s[0:1]
	v_cndmask_b32_e64 v10, v13, v10, s[0:1]
	s_mov_b64 s[4:5], 0
	v_lshlrev_b32_e32 v16, 4, v14
	s_branch .LBB235_47
.LBB235_46:                             ;   in Loop: Header=BB235_47 Depth=1
	s_or_b64 exec, exec, s[8:9]
	v_add_co_u32_e64 v2, s[0:1], 4, v2
	v_addc_co_u32_e64 v3, s[0:1], 0, v3, s[0:1]
	v_cmp_ge_i64_e64 s[0:1], v[2:3], v[0:1]
	s_or_b64 s[4:5], s[0:1], s[4:5]
	s_andn2_b64 exec, exec, s[4:5]
	s_cbranch_execz .LBB235_60
.LBB235_47:                             ; =>This Loop Header: Depth=1
                                        ;     Child Loop BB235_50 Depth 2
	s_and_saveexec_b64 s[8:9], vcc
	s_cbranch_execz .LBB235_46
; %bb.48:                               ;   in Loop: Header=BB235_47 Depth=1
	v_lshlrev_b64 v[12:13], 2, v[2:3]
	v_mov_b32_e32 v14, s23
	v_add_co_u32_e64 v12, s[0:1], s22, v12
	v_addc_co_u32_e64 v13, s[0:1], v14, v13, s[0:1]
	global_load_dword v17, v[12:13], off
	v_mad_u64_u32 v[12:13], s[0:1], v2, s6, 0
	v_mov_b32_e32 v14, v13
	v_mad_u64_u32 v[14:15], s[0:1], v3, s6, v[14:15]
	v_mov_b32_e32 v13, v14
	v_lshlrev_b64 v[12:13], 4, v[12:13]
	v_add_co_u32_e64 v12, s[0:1], v10, v12
	v_addc_co_u32_e64 v13, s[0:1], v11, v13, s[0:1]
	global_load_dwordx4 v[20:23], v[12:13], off
	s_mov_b64 s[10:11], 0
	s_waitcnt vmcnt(1)
	v_subrev_u32_e32 v17, s31, v17
	v_lshl_add_u32 v12, v17, 3, v17
	v_and_b32_e32 v18, 15, v12
	s_waitcnt vmcnt(0)
	v_mul_f64 v[12:13], v[22:23], -v[4:5]
	v_mul_f64 v[14:15], v[6:7], v[22:23]
	v_fmac_f64_e32 v[12:13], v[6:7], v[20:21]
	v_fmac_f64_e32 v[14:15], v[4:5], v[20:21]
	s_branch .LBB235_50
.LBB235_49:                             ;   in Loop: Header=BB235_50 Depth=2
	s_or_b64 exec, exec, s[0:1]
	s_xor_b64 s[0:1], s[18:19], -1
	s_and_b64 s[0:1], exec, s[0:1]
	s_or_b64 s[10:11], s[0:1], s[10:11]
	s_andn2_b64 exec, exec, s[10:11]
	s_cbranch_execz .LBB235_46
.LBB235_50:                             ;   Parent Loop BB235_47 Depth=1
                                        ; =>  This Inner Loop Header: Depth=2
	v_lshl_add_u32 v19, v18, 2, v38
	ds_read_b32 v20, v19
                                        ; implicit-def: $sgpr18_sgpr19
	s_waitcnt lgkmcnt(0)
	v_cmp_ne_u32_e64 s[0:1], v20, v17
	s_and_saveexec_b64 s[16:17], s[0:1]
	s_xor_b64 s[16:17], exec, s[16:17]
	s_cbranch_execz .LBB235_58
; %bb.51:                               ;   in Loop: Header=BB235_50 Depth=2
	v_cmp_ne_u32_e64 s[0:1], s14, v20
                                        ; implicit-def: $sgpr18_sgpr19
	s_and_saveexec_b64 s[20:21], s[0:1]
	s_xor_b64 s[0:1], exec, s[20:21]
; %bb.52:                               ;   in Loop: Header=BB235_50 Depth=2
	v_add_u32_e32 v18, 1, v18
	v_and_b32_e32 v18, 15, v18
	s_mov_b64 s[18:19], -1
                                        ; implicit-def: $vgpr19
; %bb.53:                               ;   in Loop: Header=BB235_50 Depth=2
	s_andn2_saveexec_b64 s[20:21], s[0:1]
	s_cbranch_execz .LBB235_57
; %bb.54:                               ;   in Loop: Header=BB235_50 Depth=2
	v_mov_b32_e32 v20, s14
	ds_cmpst_rtn_b32 v19, v19, v20, v17
	s_mov_b64 s[28:29], -1
	s_waitcnt lgkmcnt(0)
	v_cmp_eq_u32_e64 s[0:1], s14, v19
	s_and_saveexec_b64 s[24:25], s[0:1]
	s_cbranch_execz .LBB235_56
; %bb.55:                               ;   in Loop: Header=BB235_50 Depth=2
	v_lshl_or_b32 v19, v18, 8, v16
	v_add_u32_e32 v19, v40, v19
	ds_add_f64 v19, v[12:13]
	ds_add_f64 v19, v[14:15] offset:8
	s_xor_b64 s[28:29], exec, -1
.LBB235_56:                             ;   in Loop: Header=BB235_50 Depth=2
	s_or_b64 exec, exec, s[24:25]
	s_andn2_b64 s[0:1], s[18:19], exec
	s_and_b64 s[18:19], s[28:29], exec
	s_or_b64 s[18:19], s[0:1], s[18:19]
.LBB235_57:                             ;   in Loop: Header=BB235_50 Depth=2
	s_or_b64 exec, exec, s[20:21]
	s_and_b64 s[18:19], s[18:19], exec
.LBB235_58:                             ;   in Loop: Header=BB235_50 Depth=2
	s_andn2_saveexec_b64 s[0:1], s[16:17]
	s_cbranch_execz .LBB235_49
; %bb.59:                               ;   in Loop: Header=BB235_50 Depth=2
	v_lshl_or_b32 v19, v18, 8, v16
	v_add_u32_e32 v19, v40, v19
	ds_add_f64 v19, v[12:13]
	ds_add_f64 v19, v[14:15] offset:8
	s_andn2_b64 s[18:19], s[18:19], exec
	s_branch .LBB235_49
.LBB235_60:
	s_or_b64 exec, exec, s[2:3]
.LBB235_61:
	v_mov_b32_e32 v1, s27
	v_add_co_u32_e32 v0, vcc, s26, v8
	v_addc_co_u32_e32 v1, vcc, v1, v9, vcc
	s_waitcnt lgkmcnt(0)
	s_barrier
	global_load_dwordx2 v[0:1], v[0:1], off
	v_mul_lo_u32 v4, v43, s15
	v_mov_b32_e32 v5, 0
	v_max_i32_e32 v3, v42, v43
	s_cmp_eq_u32 s12, 0
	v_lshlrev_b32_e32 v8, 6, v39
	v_lshlrev_b32_e32 v9, 2, v41
	s_movk_i32 s2, 0x4000
	v_lshlrev_b64 v[4:5], 4, v[4:5]
	v_mov_b32_e32 v6, s47
	v_cmp_gt_i32_e32 vcc, s15, v3
	s_cselect_b64 s[0:1], -1, 0
	v_or3_b32 v3, v8, v9, s2
	v_add_co_u32_e64 v4, s[2:3], s46, v4
	v_lshlrev_b32_e32 v7, 4, v42
	v_addc_co_u32_e64 v5, s[2:3], v6, v5, s[2:3]
	v_cndmask_b32_e64 v6, v43, v42, s[0:1]
	v_cndmask_b32_e64 v10, v42, v43, s[0:1]
	v_add_co_u32_e64 v4, s[0:1], v4, v7
	v_lshlrev_b32_e32 v6, 4, v6
	v_addc_co_u32_e64 v5, s[0:1], 0, v5, s[0:1]
	v_lshl_or_b32 v6, v41, 8, v6
	v_lshl_or_b32 v6, v10, 6, v6
	v_or_b32_e32 v2, -4, v41
	v_add_u32_e32 v6, v40, v6
	s_mov_b64 s[2:3], 0
	s_waitcnt vmcnt(0)
	v_subrev_co_u32_e64 v7, s[0:1], s30, v0
	v_subbrev_co_u32_e64 v8, s[0:1], 0, v1, s[0:1]
	s_branch .LBB235_63
.LBB235_62:                             ;   in Loop: Header=BB235_63 Depth=1
	s_or_b64 exec, exec, s[4:5]
	v_add_u32_e32 v2, 4, v2
	v_cmp_lt_u32_e64 s[0:1], 11, v2
	v_add_u32_e32 v6, 0x400, v6
	s_or_b64 s[2:3], s[0:1], s[2:3]
	v_add_u32_e32 v3, 16, v3
	s_andn2_b64 exec, exec, s[2:3]
	s_cbranch_execz .LBB235_66
.LBB235_63:                             ; =>This Inner Loop Header: Depth=1
	ds_read_b32 v9, v3
	s_waitcnt lgkmcnt(0)
	v_cmp_gt_i32_e64 s[0:1], s14, v9
	s_and_saveexec_b64 s[4:5], s[0:1]
	s_cbranch_execz .LBB235_62
; %bb.64:                               ;   in Loop: Header=BB235_63 Depth=1
	ds_read_b128 v[10:13], v38
	ds_read_b128 v[14:17], v38 offset:16
	ds_read_b128 v[18:21], v38 offset:32
	ds_read_b128 v[22:25], v38 offset:48
	s_waitcnt lgkmcnt(3)
	v_cmp_gt_i32_e64 s[0:1], v9, v10
	v_cndmask_b32_e64 v0, 0, 1, s[0:1]
	v_add_co_u32_e64 v0, s[0:1], v7, v0
	v_addc_co_u32_e64 v1, s[0:1], 0, v8, s[0:1]
	v_cmp_gt_i32_e64 s[0:1], v9, v11
	v_cndmask_b32_e64 v10, 0, 1, s[0:1]
	v_add_co_u32_e64 v0, s[0:1], v0, v10
	v_addc_co_u32_e64 v1, s[0:1], 0, v1, s[0:1]
	v_cmp_gt_i32_e64 s[0:1], v9, v12
	v_cndmask_b32_e64 v10, 0, 1, s[0:1]
	v_add_co_u32_e64 v0, s[0:1], v0, v10
	v_addc_co_u32_e64 v1, s[0:1], 0, v1, s[0:1]
	v_cmp_gt_i32_e64 s[0:1], v9, v13
	v_cndmask_b32_e64 v10, 0, 1, s[0:1]
	v_add_co_u32_e64 v0, s[0:1], v0, v10
	v_addc_co_u32_e64 v1, s[0:1], 0, v1, s[0:1]
	s_waitcnt lgkmcnt(2)
	v_cmp_gt_i32_e64 s[0:1], v9, v14
	v_cndmask_b32_e64 v10, 0, 1, s[0:1]
	v_add_co_u32_e64 v0, s[0:1], v0, v10
	v_addc_co_u32_e64 v1, s[0:1], 0, v1, s[0:1]
	v_cmp_gt_i32_e64 s[0:1], v9, v15
	v_cndmask_b32_e64 v10, 0, 1, s[0:1]
	v_add_co_u32_e64 v0, s[0:1], v0, v10
	v_addc_co_u32_e64 v1, s[0:1], 0, v1, s[0:1]
	v_cmp_gt_i32_e64 s[0:1], v9, v16
	v_cndmask_b32_e64 v10, 0, 1, s[0:1]
	v_add_co_u32_e64 v0, s[0:1], v0, v10
	v_addc_co_u32_e64 v1, s[0:1], 0, v1, s[0:1]
	v_cmp_gt_i32_e64 s[0:1], v9, v17
	v_cndmask_b32_e64 v10, 0, 1, s[0:1]
	v_add_co_u32_e64 v0, s[0:1], v0, v10
	v_addc_co_u32_e64 v1, s[0:1], 0, v1, s[0:1]
	;; [unrolled: 17-line block ×4, first 2 shown]
	v_lshlrev_b64 v[10:11], 2, v[0:1]
	v_mov_b32_e32 v12, s45
	v_add_co_u32_e64 v10, s[0:1], s44, v10
	v_add_u32_e32 v9, s30, v9
	v_addc_co_u32_e64 v11, s[0:1], v12, v11, s[0:1]
	global_store_dword v[10:11], v9, off
	s_and_b64 exec, exec, vcc
	s_cbranch_execz .LBB235_62
; %bb.65:                               ;   in Loop: Header=BB235_63 Depth=1
	v_mad_u64_u32 v[10:11], s[0:1], v0, s6, 0
	v_mov_b32_e32 v0, v11
	v_mad_u64_u32 v[0:1], s[0:1], v1, s6, v[0:1]
	v_mov_b32_e32 v11, v0
	v_lshlrev_b64 v[0:1], 4, v[10:11]
	ds_read2_b64 v[10:13], v6 offset1:1
	v_add_co_u32_e64 v0, s[0:1], v4, v0
	v_addc_co_u32_e64 v1, s[0:1], v5, v1, s[0:1]
	s_waitcnt lgkmcnt(0)
	global_store_dwordx4 v[0:1], v[10:13], off
	s_branch .LBB235_62
.LBB235_66:
	s_endpgm
	.section	.rodata,"a",@progbits
	.p2align	6, 0x0
	.amdhsa_kernel _ZN9rocsparseL23bsrgemm_fill_wf_per_rowILj256ELj64ELj16ELj137ELj4Eli21rocsparse_complex_numIdEEEv20rocsparse_direction_T5_S4_S4_PKS4_S6_NS_24const_host_device_scalarIT6_EEPKT4_S6_PKS8_SC_S6_SE_S9_SC_S6_SE_SC_PS4_PS8_21rocsparse_index_base_SH_SH_SH_bbb
		.amdhsa_group_segment_fixed_size 20736
		.amdhsa_private_segment_fixed_size 0
		.amdhsa_kernarg_size 180
		.amdhsa_user_sgpr_count 8
		.amdhsa_user_sgpr_private_segment_buffer 1
		.amdhsa_user_sgpr_dispatch_ptr 1
		.amdhsa_user_sgpr_queue_ptr 0
		.amdhsa_user_sgpr_kernarg_segment_ptr 1
		.amdhsa_user_sgpr_dispatch_id 0
		.amdhsa_user_sgpr_flat_scratch_init 0
		.amdhsa_user_sgpr_kernarg_preload_length 0
		.amdhsa_user_sgpr_kernarg_preload_offset 0
		.amdhsa_user_sgpr_private_segment_size 0
		.amdhsa_uses_dynamic_stack 0
		.amdhsa_system_sgpr_private_segment_wavefront_offset 0
		.amdhsa_system_sgpr_workgroup_id_x 1
		.amdhsa_system_sgpr_workgroup_id_y 0
		.amdhsa_system_sgpr_workgroup_id_z 0
		.amdhsa_system_sgpr_workgroup_info 0
		.amdhsa_system_vgpr_workitem_id 2
		.amdhsa_next_free_vgpr 58
		.amdhsa_next_free_sgpr 66
		.amdhsa_accum_offset 60
		.amdhsa_reserve_vcc 1
		.amdhsa_reserve_flat_scratch 0
		.amdhsa_float_round_mode_32 0
		.amdhsa_float_round_mode_16_64 0
		.amdhsa_float_denorm_mode_32 3
		.amdhsa_float_denorm_mode_16_64 3
		.amdhsa_dx10_clamp 1
		.amdhsa_ieee_mode 1
		.amdhsa_fp16_overflow 0
		.amdhsa_tg_split 0
		.amdhsa_exception_fp_ieee_invalid_op 0
		.amdhsa_exception_fp_denorm_src 0
		.amdhsa_exception_fp_ieee_div_zero 0
		.amdhsa_exception_fp_ieee_overflow 0
		.amdhsa_exception_fp_ieee_underflow 0
		.amdhsa_exception_fp_ieee_inexact 0
		.amdhsa_exception_int_div_zero 0
	.end_amdhsa_kernel
	.section	.text._ZN9rocsparseL23bsrgemm_fill_wf_per_rowILj256ELj64ELj16ELj137ELj4Eli21rocsparse_complex_numIdEEEv20rocsparse_direction_T5_S4_S4_PKS4_S6_NS_24const_host_device_scalarIT6_EEPKT4_S6_PKS8_SC_S6_SE_S9_SC_S6_SE_SC_PS4_PS8_21rocsparse_index_base_SH_SH_SH_bbb,"axG",@progbits,_ZN9rocsparseL23bsrgemm_fill_wf_per_rowILj256ELj64ELj16ELj137ELj4Eli21rocsparse_complex_numIdEEEv20rocsparse_direction_T5_S4_S4_PKS4_S6_NS_24const_host_device_scalarIT6_EEPKT4_S6_PKS8_SC_S6_SE_S9_SC_S6_SE_SC_PS4_PS8_21rocsparse_index_base_SH_SH_SH_bbb,comdat
.Lfunc_end235:
	.size	_ZN9rocsparseL23bsrgemm_fill_wf_per_rowILj256ELj64ELj16ELj137ELj4Eli21rocsparse_complex_numIdEEEv20rocsparse_direction_T5_S4_S4_PKS4_S6_NS_24const_host_device_scalarIT6_EEPKT4_S6_PKS8_SC_S6_SE_S9_SC_S6_SE_SC_PS4_PS8_21rocsparse_index_base_SH_SH_SH_bbb, .Lfunc_end235-_ZN9rocsparseL23bsrgemm_fill_wf_per_rowILj256ELj64ELj16ELj137ELj4Eli21rocsparse_complex_numIdEEEv20rocsparse_direction_T5_S4_S4_PKS4_S6_NS_24const_host_device_scalarIT6_EEPKT4_S6_PKS8_SC_S6_SE_S9_SC_S6_SE_SC_PS4_PS8_21rocsparse_index_base_SH_SH_SH_bbb
                                        ; -- End function
	.section	.AMDGPU.csdata,"",@progbits
; Kernel info:
; codeLenInByte = 3524
; NumSgprs: 70
; NumVgprs: 58
; NumAgprs: 0
; TotalNumVgprs: 58
; ScratchSize: 0
; MemoryBound: 0
; FloatMode: 240
; IeeeMode: 1
; LDSByteSize: 20736 bytes/workgroup (compile time only)
; SGPRBlocks: 8
; VGPRBlocks: 7
; NumSGPRsForWavesPerEU: 70
; NumVGPRsForWavesPerEU: 58
; AccumOffset: 60
; Occupancy: 3
; WaveLimiterHint : 1
; COMPUTE_PGM_RSRC2:SCRATCH_EN: 0
; COMPUTE_PGM_RSRC2:USER_SGPR: 8
; COMPUTE_PGM_RSRC2:TRAP_HANDLER: 0
; COMPUTE_PGM_RSRC2:TGID_X_EN: 1
; COMPUTE_PGM_RSRC2:TGID_Y_EN: 0
; COMPUTE_PGM_RSRC2:TGID_Z_EN: 0
; COMPUTE_PGM_RSRC2:TIDIG_COMP_CNT: 2
; COMPUTE_PGM_RSRC3_GFX90A:ACCUM_OFFSET: 14
; COMPUTE_PGM_RSRC3_GFX90A:TG_SPLIT: 0
	.section	.text._ZN9rocsparseL38bsrgemm_block_per_row_atomic_multipassILj256ELj32ELj4Eli21rocsparse_complex_numIdEEEv20rocsparse_direction_T3_S4_PKS4_S6_NS_24const_host_device_scalarIT4_EEPKT2_S6_PKS8_SC_S6_SE_S9_SC_S6_SE_SC_PS4_PS8_PSA_21rocsparse_index_base_SI_SI_SI_bbb,"axG",@progbits,_ZN9rocsparseL38bsrgemm_block_per_row_atomic_multipassILj256ELj32ELj4Eli21rocsparse_complex_numIdEEEv20rocsparse_direction_T3_S4_PKS4_S6_NS_24const_host_device_scalarIT4_EEPKT2_S6_PKS8_SC_S6_SE_S9_SC_S6_SE_SC_PS4_PS8_PSA_21rocsparse_index_base_SI_SI_SI_bbb,comdat
	.globl	_ZN9rocsparseL38bsrgemm_block_per_row_atomic_multipassILj256ELj32ELj4Eli21rocsparse_complex_numIdEEEv20rocsparse_direction_T3_S4_PKS4_S6_NS_24const_host_device_scalarIT4_EEPKT2_S6_PKS8_SC_S6_SE_S9_SC_S6_SE_SC_PS4_PS8_PSA_21rocsparse_index_base_SI_SI_SI_bbb ; -- Begin function _ZN9rocsparseL38bsrgemm_block_per_row_atomic_multipassILj256ELj32ELj4Eli21rocsparse_complex_numIdEEEv20rocsparse_direction_T3_S4_PKS4_S6_NS_24const_host_device_scalarIT4_EEPKT2_S6_PKS8_SC_S6_SE_S9_SC_S6_SE_SC_PS4_PS8_PSA_21rocsparse_index_base_SI_SI_SI_bbb
	.p2align	8
	.type	_ZN9rocsparseL38bsrgemm_block_per_row_atomic_multipassILj256ELj32ELj4Eli21rocsparse_complex_numIdEEEv20rocsparse_direction_T3_S4_PKS4_S6_NS_24const_host_device_scalarIT4_EEPKT2_S6_PKS8_SC_S6_SE_S9_SC_S6_SE_SC_PS4_PS8_PSA_21rocsparse_index_base_SI_SI_SI_bbb,@function
_ZN9rocsparseL38bsrgemm_block_per_row_atomic_multipassILj256ELj32ELj4Eli21rocsparse_complex_numIdEEEv20rocsparse_direction_T3_S4_PKS4_S6_NS_24const_host_device_scalarIT4_EEPKT2_S6_PKS8_SC_S6_SE_S9_SC_S6_SE_SC_PS4_PS8_PSA_21rocsparse_index_base_SI_SI_SI_bbb: ; @_ZN9rocsparseL38bsrgemm_block_per_row_atomic_multipassILj256ELj32ELj4Eli21rocsparse_complex_numIdEEEv20rocsparse_direction_T3_S4_PKS4_S6_NS_24const_host_device_scalarIT4_EEPKT2_S6_PKS8_SC_S6_SE_S9_SC_S6_SE_SC_PS4_PS8_PSA_21rocsparse_index_base_SI_SI_SI_bbb
; %bb.0:
	s_add_u32 flat_scratch_lo, s6, s9
	s_addc_u32 flat_scratch_hi, s7, 0
	s_load_dwordx4 s[16:19], s[4:5], 0x20
	s_load_dwordx4 s[12:15], s[4:5], 0x60
	s_add_u32 s0, s0, s9
	s_load_dword s9, s[4:5], 0xb8
	s_load_dwordx4 s[52:55], s[4:5], 0xa8
	s_addc_u32 s1, s1, 0
	s_waitcnt lgkmcnt(0)
	v_mov_b32_e32 v1, s17
	buffer_store_dword v1, off, s[0:3], 0 offset:4
	s_bitcmp1_b32 s9, 0
	s_cselect_b64 s[20:21], -1, 0
	s_bitcmp1_b32 s9, 16
	v_mov_b32_e32 v1, s16
	s_cselect_b64 s[6:7], -1, 0
	buffer_store_dword v1, off, s[0:3], 0
	v_mov_b32_e32 v1, s13
	buffer_store_dword v1, off, s[0:3], 0 offset:12
	v_mov_b32_e32 v1, s12
	s_xor_b64 s[10:11], s[6:7], -1
	buffer_store_dword v1, off, s[0:3], 0 offset:8
	v_pk_mov_b32 v[8:9], 0, 0
	v_cndmask_b32_e64 v1, 0, 1, s[10:11]
	s_bitcmp0_b32 s9, 0
	v_cmp_ne_u32_e64 s[10:11], 1, v1
	v_pk_mov_b32 v[6:7], v[8:9], v[8:9] op_sel:[0,1]
	v_pk_mov_b32 v[10:11], v[8:9], v[8:9] op_sel:[0,1]
	s_cbranch_scc1 .LBB236_3
; %bb.1:
	s_mov_b64 s[22:23], src_private_base
	s_and_b64 s[24:25], s[6:7], exec
	s_cselect_b32 s22, s23, s17
	v_mov_b32_e32 v1, 0
	v_mov_b32_e32 v2, s16
	v_cndmask_b32_e64 v2, v2, v1, s[6:7]
	v_mov_b32_e32 v3, s22
	flat_load_dwordx2 v[6:7], v[2:3]
	s_and_b64 vcc, exec, s[10:11]
	v_pk_mov_b32 v[10:11], s[18:19], s[18:19] op_sel:[0,1]
	s_cbranch_vccnz .LBB236_3
; %bb.2:
	v_pk_mov_b32 v[2:3], s[16:17], s[16:17] op_sel:[0,1]
	flat_load_dwordx2 v[10:11], v[2:3] offset:8
.LBB236_3:
	s_load_dwordx2 s[16:17], s[4:5], 0x18
	s_bitcmp1_b32 s9, 8
	s_cselect_b64 s[34:35], -1, 0
	s_bfe_u32 s9, s9, 0x10008
	s_cmp_eq_u32 s9, 0
	v_pk_mov_b32 v[12:13], v[8:9], v[8:9] op_sel:[0,1]
	s_cbranch_scc1 .LBB236_6
; %bb.4:
	s_mov_b64 s[18:19], src_private_base
	s_and_b64 s[22:23], s[6:7], exec
	s_cselect_b32 s9, s19, s13
	v_mov_b32_e32 v1, 8
	v_mov_b32_e32 v2, s12
	v_cndmask_b32_e64 v2, v2, v1, s[6:7]
	v_mov_b32_e32 v3, s9
	flat_load_dwordx2 v[12:13], v[2:3]
	s_and_b64 vcc, exec, s[10:11]
	v_pk_mov_b32 v[8:9], s[14:15], s[14:15] op_sel:[0,1]
	s_cbranch_vccnz .LBB236_6
; %bb.5:
	v_pk_mov_b32 v[2:3], s[12:13], s[12:13] op_sel:[0,1]
	flat_load_dwordx2 v[8:9], v[2:3] offset:8
.LBB236_6:
	s_load_dwordx2 s[10:11], s[4:5], 0x30
	s_waitcnt lgkmcnt(0)
	s_cmp_eq_u64 s[16:17], 0
	s_cbranch_scc1 .LBB236_8
; %bb.7:
	s_load_dwordx2 s[6:7], s[4:5], 0x10
	s_waitcnt lgkmcnt(0)
	s_load_dword s6, s[6:7], 0x0
	s_mov_b32 s7, 0
	s_waitcnt lgkmcnt(0)
	s_add_i32 s6, s6, s8
	s_lshl_b64 s[6:7], s[6:7], 2
	s_add_u32 s6, s16, s6
	s_addc_u32 s7, s17, s7
	s_load_dword s8, s[6:7], 0x0
.LBB236_8:
	v_cndmask_b32_e64 v1, 0, 1, s[20:21]
	s_mov_b64 s[64:65], 0
	v_cmp_ne_u32_e64 s[6:7], 1, v1
	s_andn2_b64 vcc, exec, s[20:21]
	s_mov_b64 s[66:67], 0
	s_cbranch_vccz .LBB236_11
; %bb.9:
	s_and_b64 vcc, exec, s[6:7]
	s_cbranch_vccz .LBB236_12
.LBB236_10:
	s_load_dwordx4 s[56:59], s[4:5], 0x0
	s_waitcnt lgkmcnt(0)
	s_cmp_lt_i32 s57, 1
	s_cbranch_scc0 .LBB236_13
	s_branch .LBB236_96
.LBB236_11:
	s_waitcnt lgkmcnt(0)
	s_ashr_i32 s9, s8, 31
	s_lshl_b64 s[12:13], s[8:9], 3
	s_add_u32 s12, s10, s12
	s_addc_u32 s13, s11, s13
	s_load_dwordx2 s[12:13], s[12:13], 0x0
	s_waitcnt lgkmcnt(0)
	s_sub_u32 s66, s12, s52
	s_subb_u32 s67, s13, 0
	s_and_b64 vcc, exec, s[6:7]
	s_cbranch_vccnz .LBB236_10
.LBB236_12:
	s_waitcnt lgkmcnt(0)
	s_ashr_i32 s9, s8, 31
	s_lshl_b64 s[6:7], s[8:9], 3
	s_add_u32 s6, s10, s6
	s_addc_u32 s7, s11, s7
	s_load_dwordx2 s[6:7], s[6:7], 0x8
	s_waitcnt lgkmcnt(0)
	s_sub_u32 s64, s6, s52
	s_subb_u32 s65, s7, 0
	s_load_dwordx4 s[56:59], s[4:5], 0x0
	s_waitcnt lgkmcnt(0)
	s_cmp_lt_i32 s57, 1
	s_cbranch_scc1 .LBB236_96
.LBB236_13:
	s_load_dwordx2 s[68:69], s[4:5], 0xa0
	s_load_dwordx4 s[60:63], s[4:5], 0x90
	s_load_dwordx8 s[36:43], s[4:5], 0x70
	s_load_dwordx2 s[30:31], s[4:5], 0x58
	s_load_dwordx8 s[44:51], s[4:5], 0x38
	v_pk_mov_b32 v[2:3], s[64:65], s[64:65] op_sel:[0,1]
	v_bfe_u32 v16, v0, 2, 2
	v_cmp_lt_i64_e32 vcc, s[66:67], v[2:3]
	v_mov_b32_e32 v2, 0
	v_and_b32_e32 v15, 3, v0
	v_mul_lo_u32 v4, v16, s58
	v_mov_b32_e32 v5, v2
	v_max_i32_e32 v3, v15, v16
	v_lshlrev_b64 v[4:5], 4, v[4:5]
	s_ashr_i32 s9, s8, 31
	v_cmp_gt_i32_e64 s[10:11], s58, v3
	v_cmp_le_i32_e64 s[12:13], s58, v3
	s_waitcnt lgkmcnt(0)
	v_mov_b32_e32 v3, s47
	v_add_co_u32_e64 v18, s[14:15], s46, v4
	s_lshl_b64 s[16:17], s[8:9], 3
	v_addc_co_u32_e64 v3, s[14:15], v3, v5, s[14:15]
	v_lshlrev_b32_e32 v20, 4, v15
	s_add_u32 s4, s42, s16
	v_add_co_u32_e64 v43, s[14:15], v18, v20
	v_mul_lo_u32 v18, v15, s58
	v_mov_b32_e32 v19, v2
	s_addc_u32 s5, s43, s17
	v_addc_co_u32_e64 v44, s[14:15], 0, v3, s[14:15]
	v_lshlrev_b64 v[18:19], 4, v[18:19]
	s_load_dwordx2 s[4:5], s[4:5], 0x0
	v_mov_b32_e32 v3, s41
	v_add_co_u32_e64 v21, s[14:15], s40, v18
	v_addc_co_u32_e64 v22, s[14:15], v3, v19, s[14:15]
	v_lshlrev_b32_e32 v23, 4, v16
	v_add_co_u32_e64 v16, s[14:15], v21, v23
	v_addc_co_u32_e64 v21, s[14:15], 0, v22, s[14:15]
	v_add_co_u32_e64 v22, s[14:15], s40, v4
	s_waitcnt lgkmcnt(0)
	s_sub_u32 s74, s4, s54
	v_addc_co_u32_e64 v3, s[14:15], v3, v5, s[14:15]
	s_subb_u32 s75, s5, 0
	v_add_co_u32_e64 v22, s[14:15], v22, v20
	v_lshrrev_b32_e32 v14, 4, v0
	s_cmp_eq_u32 s56, 0
	v_addc_co_u32_e64 v3, s[14:15], 0, v3, s[14:15]
	s_cselect_b64 s[28:29], -1, 0
	s_cmp_lg_u32 s56, 0
	v_subrev_co_u32_e64 v46, s[14:15], s55, v14
	v_and_b32_e32 v1, 15, v0
	s_cselect_b64 s[40:41], -1, 0
	s_cmp_gt_i32 s58, 0
	v_subb_co_u32_e64 v47, s[14:15], 0, 0, s[14:15]
	s_cselect_b64 s[46:47], -1, 0
	s_add_u32 s36, s36, s16
	v_cmp_eq_u32_e64 s[14:15], 15, v1
	v_and_b32_e32 v1, 31, v0
	s_addc_u32 s37, s37, s17
	v_add_co_u32_e64 v25, s[16:17], -1, v1
	v_mov_b32_e32 v26, 0x3000
	v_lshl_add_u32 v49, v25, 2, v26
	v_mov_b32_e32 v25, s63
	v_add_co_u32_e64 v27, s[18:19], s62, v18
	v_addc_co_u32_e64 v28, s[18:19], v25, v19, s[18:19]
	v_add_co_u32_e64 v27, s[18:19], v27, v23
	v_addc_co_u32_e64 v28, s[18:19], 0, v28, s[18:19]
	v_add_co_u32_e64 v4, s[18:19], s62, v4
	s_movk_i32 s6, 0x200
	v_addc_co_u32_e64 v5, s[18:19], v25, v5, s[18:19]
	v_cmp_gt_u32_e64 s[4:5], 32, v0
	v_cmp_gt_u32_e64 s[6:7], s6, v0
	v_cmp_eq_u32_e64 s[8:9], 0, v0
	v_lshlrev_b32_e32 v17, 4, v0
	s_movk_i32 s59, 0x2000
	v_and_b32_e32 v45, 12, v0
	v_add_co_u32_e64 v4, s[18:19], v4, v20
	v_lshl_or_b32 v50, v0, 2, v26
	v_or_b32_e32 v55, 0xffffff00, v0
	v_lshlrev_b32_e32 v0, 8, v14
	v_addc_co_u32_e64 v5, s[18:19], 0, v5, s[18:19]
	s_and_b64 s[62:63], s[20:21], vcc
	v_cndmask_b32_e64 v22, v16, v22, s[28:29]
	v_cndmask_b32_e64 v16, v27, v4, s[28:29]
	v_or3_b32 v56, v0, v23, s59
	v_mov_b32_e32 v0, s31
	v_add_co_u32_e32 v4, vcc, s30, v18
	v_lshlrev_b32_e32 v24, 2, v1
	v_cmp_ne_u32_e64 s[18:19], 0, v1
	v_cmp_lt_u32_e64 s[20:21], 1, v1
	v_cmp_lt_u32_e64 s[22:23], 3, v1
	;; [unrolled: 1-line block ×4, first 2 shown]
	v_cndmask_b32_e64 v1, v28, v5, s[28:29]
	v_addc_co_u32_e32 v5, vcc, v19, v0, vcc
	v_add_co_u32_e32 v18, vcc, 8, v4
	v_addc_co_u32_e32 v19, vcc, 0, v5, vcc
	v_add_co_u32_e32 v4, vcc, s30, v20
	;; [unrolled: 2-line block ×3, first 2 shown]
	v_cndmask_b32_e64 v3, v21, v3, s[28:29]
	v_addc_co_u32_e32 v21, vcc, 0, v0, vcc
	s_add_u32 s93, s48, 8
	v_add_co_u32_e32 v22, vcc, 8, v22
	s_mov_b32 s43, 0
	s_addc_u32 s94, s49, 0
	v_addc_co_u32_e32 v23, vcc, 0, v3, vcc
	s_mul_i32 s42, s58, s58
	s_add_u32 s95, s60, -4
	s_mov_b32 s59, s43
	v_and_b32_e32 v0, 0xfc0, v17
	v_add_co_u32_e32 v58, vcc, 16, v46
	v_or_b32_e32 v42, 0x2000, v17
	s_mov_b32 s33, s53
	s_mov_b32 s92, s43
	;; [unrolled: 1-line block ×3, first 2 shown]
	v_or_b32_e32 v48, 0x3000, v24
	v_add_u32_e32 v51, 0x2ff8, v24
	v_add_u32_e32 v52, 0x2ff0, v24
	;; [unrolled: 1-line block ×4, first 2 shown]
	s_addc_u32 s96, s61, -1
	s_lshl_b64 s[60:61], s[42:43], 4
	s_lshl_b64 s[70:71], s[58:59], 4
	v_or_b32_e32 v57, 0x2000, v0
	s_lshl_b64 s[72:73], s[42:43], 8
	v_addc_co_u32_e32 v59, vcc, 0, v47, vcc
	v_lshl_or_b32 v60, v14, 2, v26
	v_mov_b32_e32 v0, 32
	v_pk_mov_b32 v[24:25], s[74:75], s[74:75] op_sel:[0,1]
	v_mov_b32_e32 v61, 1
	s_branch .LBB236_15
.LBB236_14:                             ;   in Loop: Header=BB236_15 Depth=1
	s_or_b64 exec, exec, s[28:29]
	s_barrier
	ds_read_b32 v3, v2 offset:12416
	v_ashrrev_i32_e32 v0, 31, v4
	v_add_co_u32_e32 v24, vcc, v24, v4
	v_addc_co_u32_e32 v25, vcc, v25, v0, vcc
	s_waitcnt lgkmcnt(0)
	v_cmp_le_i32_e32 vcc, s57, v3
	v_readfirstlane_b32 s43, v3
	v_add_u32_e32 v0, 32, v3
	s_barrier
	s_cbranch_vccnz .LBB236_96
.LBB236_15:                             ; =>This Loop Header: Depth=1
                                        ;     Child Loop BB236_19 Depth 2
                                        ;     Child Loop BB236_25 Depth 2
                                        ;       Child Loop BB236_39 Depth 3
                                        ;         Child Loop BB236_48 Depth 4
                                        ;         Child Loop BB236_53 Depth 4
                                        ;     Child Loop BB236_64 Depth 2
                                        ;     Child Loop BB236_73 Depth 2
	;; [unrolled: 1-line block ×3, first 2 shown]
	s_and_saveexec_b64 s[28:29], s[4:5]
	s_cbranch_execz .LBB236_17
; %bb.16:                               ;   in Loop: Header=BB236_15 Depth=1
	ds_write_b32 v50, v2
.LBB236_17:                             ;   in Loop: Header=BB236_15 Depth=1
	s_or_b64 exec, exec, s[28:29]
	s_and_saveexec_b64 s[28:29], s[6:7]
	s_cbranch_execz .LBB236_20
; %bb.18:                               ;   in Loop: Header=BB236_15 Depth=1
	s_mov_b64 s[30:31], 0
	v_mov_b32_e32 v26, v17
	v_mov_b32_e32 v27, v55
.LBB236_19:                             ;   Parent Loop BB236_15 Depth=1
                                        ; =>  This Inner Loop Header: Depth=2
	v_add_co_u32_e32 v27, vcc, 0x100, v27
	s_xor_b64 s[74:75], vcc, -1
	v_mov_b32_e32 v3, v2
	v_mov_b32_e32 v4, v2
	;; [unrolled: 1-line block ×3, first 2 shown]
	s_and_b64 s[74:75], exec, s[74:75]
	ds_write_b128 v26, v[2:5]
	s_or_b64 s[30:31], s[74:75], s[30:31]
	v_add_u32_e32 v26, 0x1000, v26
	s_andn2_b64 exec, exec, s[30:31]
	s_cbranch_execnz .LBB236_19
.LBB236_20:                             ;   in Loop: Header=BB236_15 Depth=1
	s_or_b64 exec, exec, s[28:29]
	s_and_saveexec_b64 s[28:29], s[8:9]
	s_cbranch_execz .LBB236_22
; %bb.21:                               ;   in Loop: Header=BB236_15 Depth=1
	v_mov_b32_e32 v3, s57
	ds_write_b32 v2, v3 offset:12416
.LBB236_22:                             ;   in Loop: Header=BB236_15 Depth=1
	s_or_b64 exec, exec, s[28:29]
	s_andn2_b64 vcc, exec, s[62:63]
	v_mov_b32_e32 v62, s57
	s_waitcnt lgkmcnt(0)
	s_barrier
	s_cbranch_vccnz .LBB236_59
; %bb.23:                               ;   in Loop: Header=BB236_15 Depth=1
	s_cmp_lg_u32 s43, 0
	s_cselect_b64 s[74:75], -1, 0
	v_mov_b32_e32 v62, s57
	s_mov_b64 s[76:77], s[66:67]
	s_branch .LBB236_25
.LBB236_24:                             ;   in Loop: Header=BB236_25 Depth=2
	s_or_b64 exec, exec, s[30:31]
	s_add_u32 s76, s76, 16
	s_addc_u32 s77, s77, 0
	v_pk_mov_b32 v[4:5], s[64:65], s[64:65] op_sel:[0,1]
	v_cmp_lt_i64_e32 vcc, s[76:77], v[4:5]
	s_cbranch_vccz .LBB236_59
.LBB236_25:                             ;   Parent Loop BB236_15 Depth=1
                                        ; =>  This Loop Header: Depth=2
                                        ;       Child Loop BB236_39 Depth 3
                                        ;         Child Loop BB236_48 Depth 4
                                        ;         Child Loop BB236_53 Depth 4
	v_mov_b32_e32 v3, s77
	v_add_co_u32_e32 v26, vcc, s76, v14
	v_addc_co_u32_e32 v27, vcc, 0, v3, vcc
	v_cmp_gt_i64_e64 s[28:29], s[64:65], v[26:27]
	s_barrier
	s_and_saveexec_b64 s[30:31], s[28:29]
	s_cbranch_execz .LBB236_30
; %bb.26:                               ;   in Loop: Header=BB236_25 Depth=2
	s_and_saveexec_b64 s[78:79], s[12:13]
	s_xor_b64 s[78:79], exec, s[78:79]
	s_cbranch_execz .LBB236_28
; %bb.27:                               ;   in Loop: Header=BB236_25 Depth=2
	v_mov_b32_e32 v3, v2
	v_mov_b32_e32 v4, v2
	;; [unrolled: 1-line block ×3, first 2 shown]
	ds_write_b128 v42, v[2:5]
.LBB236_28:                             ;   in Loop: Header=BB236_25 Depth=2
	s_andn2_saveexec_b64 s[78:79], s[78:79]
	s_cbranch_execz .LBB236_30
; %bb.29:                               ;   in Loop: Header=BB236_25 Depth=2
	v_mad_u64_u32 v[4:5], s[78:79], v26, s42, 0
	v_mov_b32_e32 v28, v5
	v_mad_u64_u32 v[28:29], s[78:79], v27, s42, v[28:29]
	v_mov_b32_e32 v5, v28
	v_lshlrev_b64 v[4:5], 4, v[4:5]
	v_add_co_u32_e32 v4, vcc, v43, v4
	v_addc_co_u32_e32 v5, vcc, v44, v5, vcc
	global_load_dwordx4 v[28:31], v[4:5], off
	s_waitcnt vmcnt(0)
	ds_write2_b64 v42, v[28:29], v[30:31] offset1:1
.LBB236_30:                             ;   in Loop: Header=BB236_25 Depth=2
	s_or_b64 exec, exec, s[30:31]
	v_pk_mov_b32 v[4:5], 0, 0
	s_waitcnt lgkmcnt(0)
	s_barrier
	s_and_saveexec_b64 s[78:79], s[28:29]
	s_cbranch_execz .LBB236_56
; %bb.31:                               ;   in Loop: Header=BB236_25 Depth=2
	v_lshlrev_b64 v[4:5], 2, v[26:27]
	v_mov_b32_e32 v3, s45
	v_add_co_u32_e32 v4, vcc, s44, v4
	v_addc_co_u32_e32 v5, vcc, v3, v5, vcc
	global_load_dword v3, v[4:5], off
	s_and_b64 vcc, exec, s[74:75]
	s_waitcnt vmcnt(0)
	v_subrev_u32_e32 v28, s52, v3
	v_ashrrev_i32_e32 v29, 31, v28
	s_cbranch_vccz .LBB236_58
; %bb.32:                               ;   in Loop: Header=BB236_25 Depth=2
	v_lshlrev_b64 v[4:5], 3, v[26:27]
	v_mov_b32_e32 v3, s69
	v_add_co_u32_e32 v4, vcc, s68, v4
	v_addc_co_u32_e32 v5, vcc, v3, v5, vcc
	global_load_dwordx2 v[4:5], v[4:5], off
	s_cbranch_execnz .LBB236_34
.LBB236_33:                             ;   in Loop: Header=BB236_25 Depth=2
	s_waitcnt vmcnt(0)
	v_lshlrev_b64 v[4:5], 3, v[28:29]
	v_mov_b32_e32 v3, s49
	v_add_co_u32_e32 v4, vcc, s48, v4
	v_addc_co_u32_e32 v5, vcc, v3, v5, vcc
	global_load_dwordx2 v[4:5], v[4:5], off
	v_mov_b32_e32 v3, s92
	s_waitcnt vmcnt(0)
	v_subrev_co_u32_e32 v4, vcc, s33, v4
	v_subb_co_u32_e32 v5, vcc, v5, v3, vcc
.LBB236_34:                             ;   in Loop: Header=BB236_25 Depth=2
	v_lshlrev_b64 v[28:29], 3, v[28:29]
	v_mov_b32_e32 v3, s94
	v_add_co_u32_e32 v28, vcc, s93, v28
	v_addc_co_u32_e32 v29, vcc, v3, v29, vcc
	global_load_dwordx2 v[28:29], v[28:29], off
	v_mov_b32_e32 v3, s92
	s_waitcnt vmcnt(0)
	v_subrev_co_u32_e32 v28, vcc, s33, v28
	v_subb_co_u32_e32 v29, vcc, v29, v3, vcc
	v_cmp_lt_i64_e32 vcc, v[4:5], v[28:29]
	s_and_saveexec_b64 s[80:81], vcc
	s_cbranch_execz .LBB236_55
; %bb.35:                               ;   in Loop: Header=BB236_25 Depth=2
	v_mad_u64_u32 v[30:31], s[30:31], s60, v4, v[18:19]
	v_mul_lo_u32 v3, s60, v5
	v_mul_lo_u32 v34, s61, v4
	v_mad_u64_u32 v[32:33], s[30:31], s60, v4, v[20:21]
	v_add3_u32 v31, v34, v31, v3
	v_add3_u32 v33, v34, v33, v3
	s_mov_b64 s[82:83], 0
	v_pk_mov_b32 v[34:35], v[4:5], v[4:5] op_sel:[0,1]
	s_branch .LBB236_39
.LBB236_36:                             ;   in Loop: Header=BB236_39 Depth=3
	v_lshlrev_b32_e32 v3, 4, v3
	v_or3_b32 v3, v3, v45, v15
	v_mul_f64 v[40:41], v[38:39], -v[10:11]
	v_lshlrev_b32_e32 v3, 4, v3
	v_fmac_f64_e32 v[40:41], v[6:7], v[36:37]
	v_mul_f64 v[38:39], v[6:7], v[38:39]
	v_fmac_f64_e32 v[38:39], v[10:11], v[36:37]
	ds_add_f64 v3, v[40:41]
	ds_add_f64 v3, v[38:39] offset:8
.LBB236_37:                             ;   in Loop: Header=BB236_39 Depth=3
	s_or_b64 exec, exec, s[88:89]
	s_or_b64 s[84:85], s[84:85], exec
.LBB236_38:                             ;   in Loop: Header=BB236_39 Depth=3
	s_or_b64 exec, exec, s[86:87]
	v_add_co_u32_e32 v34, vcc, 1, v34
	v_addc_co_u32_e32 v35, vcc, 0, v35, vcc
	v_cmp_ge_i64_e32 vcc, v[34:35], v[28:29]
	s_xor_b64 s[30:31], s[84:85], -1
	s_or_b64 s[30:31], s[30:31], vcc
	v_mov_b32_e32 v3, s61
	v_add_co_u32_e32 v30, vcc, s60, v30
	v_addc_co_u32_e32 v31, vcc, v31, v3, vcc
	s_and_b64 s[30:31], exec, s[30:31]
	v_add_co_u32_e32 v32, vcc, s60, v32
	s_or_b64 s[82:83], s[30:31], s[82:83]
	v_addc_co_u32_e32 v33, vcc, v33, v3, vcc
	s_andn2_b64 exec, exec, s[82:83]
	s_cbranch_execz .LBB236_54
.LBB236_39:                             ;   Parent Loop BB236_15 Depth=1
                                        ;     Parent Loop BB236_25 Depth=2
                                        ; =>    This Loop Header: Depth=3
                                        ;         Child Loop BB236_48 Depth 4
                                        ;         Child Loop BB236_53 Depth 4
	v_lshlrev_b64 v[36:37], 2, v[34:35]
	v_mov_b32_e32 v3, s51
	v_add_co_u32_e32 v36, vcc, s50, v36
	v_addc_co_u32_e32 v37, vcc, v3, v37, vcc
	global_load_dword v3, v[36:37], off
                                        ; implicit-def: $sgpr84_sgpr85
	s_waitcnt vmcnt(0)
	v_subrev_u32_e32 v3, s53, v3
	v_cmp_gt_i32_e64 s[30:31], s43, v3
	v_cmp_ge_i32_e32 vcc, v3, v0
	s_or_b64 s[30:31], s[30:31], vcc
	s_and_saveexec_b64 s[86:87], s[30:31]
	s_xor_b64 s[30:31], exec, s[86:87]
	s_cbranch_execz .LBB236_43
; %bb.40:                               ;   in Loop: Header=BB236_39 Depth=3
	s_mov_b64 s[84:85], -1
	s_and_saveexec_b64 s[86:87], vcc
; %bb.41:                               ;   in Loop: Header=BB236_39 Depth=3
	v_min_i32_e32 v62, v3, v62
	s_xor_b64 s[84:85], exec, -1
	v_pk_mov_b32 v[4:5], v[34:35], v[34:35] op_sel:[0,1]
; %bb.42:                               ;   in Loop: Header=BB236_39 Depth=3
	s_or_b64 exec, exec, s[86:87]
	s_and_b64 s[84:85], s[84:85], exec
                                        ; implicit-def: $vgpr3
.LBB236_43:                             ;   in Loop: Header=BB236_39 Depth=3
	s_andn2_saveexec_b64 s[86:87], s[30:31]
	s_cbranch_execz .LBB236_38
; %bb.44:                               ;   in Loop: Header=BB236_39 Depth=3
	v_subrev_u32_e32 v3, s43, v3
	v_lshlrev_b32_e32 v36, 2, v3
	ds_write_b32 v36, v61 offset:12288
	s_and_saveexec_b64 s[88:89], s[10:11]
	s_cbranch_execz .LBB236_37
; %bb.45:                               ;   in Loop: Header=BB236_39 Depth=3
	v_cndmask_b32_e64 v36, 0, 1, s[46:47]
	s_andn2_b64 vcc, exec, s[40:41]
	v_cmp_ne_u32_e64 s[30:31], 1, v36
	s_cbranch_vccnz .LBB236_50
; %bb.46:                               ;   in Loop: Header=BB236_39 Depth=3
	v_pk_mov_b32 v[36:37], 0, 0
	s_mov_b64 s[90:91], 0
	s_and_b64 vcc, exec, s[30:31]
	v_pk_mov_b32 v[38:39], v[36:37], v[36:37] op_sel:[0,1]
	s_cbranch_vccnz .LBB236_49
; %bb.47:                               ;   in Loop: Header=BB236_39 Depth=3
	v_pk_mov_b32 v[36:37], 0, 0
	v_pk_mov_b32 v[40:41], v[30:31], v[30:31] op_sel:[0,1]
	s_mov_b32 s59, s58
	v_mov_b32_e32 v63, v56
	v_pk_mov_b32 v[38:39], v[36:37], v[36:37] op_sel:[0,1]
.LBB236_48:                             ;   Parent Loop BB236_15 Depth=1
                                        ;     Parent Loop BB236_25 Depth=2
                                        ;       Parent Loop BB236_39 Depth=3
                                        ; =>      This Inner Loop Header: Depth=4
	global_load_dwordx4 v[64:67], v[40:41], off offset:-8
	ds_read_b128 v[68:71], v63
	s_add_i32 s59, s59, -1
	v_add_co_u32_e32 v40, vcc, 16, v40
	v_add_u32_e32 v63, 64, v63
	v_addc_co_u32_e32 v41, vcc, 0, v41, vcc
	s_cmp_lg_u32 s59, 0
	s_waitcnt vmcnt(0) lgkmcnt(0)
	v_fmac_f64_e32 v[36:37], v[68:69], v[64:65]
	v_fmac_f64_e32 v[38:39], v[70:71], v[64:65]
	v_fma_f64 v[36:37], -v[70:71], v[66:67], v[36:37]
	v_fmac_f64_e32 v[38:39], v[68:69], v[66:67]
	s_cbranch_scc1 .LBB236_48
.LBB236_49:                             ;   in Loop: Header=BB236_39 Depth=3
	s_andn2_b64 vcc, exec, s[90:91]
	s_cbranch_vccnz .LBB236_36
	s_branch .LBB236_51
.LBB236_50:                             ;   in Loop: Header=BB236_39 Depth=3
                                        ; implicit-def: $vgpr36_vgpr37
                                        ; implicit-def: $vgpr38_vgpr39
.LBB236_51:                             ;   in Loop: Header=BB236_39 Depth=3
	v_pk_mov_b32 v[36:37], 0, 0
	s_and_b64 vcc, exec, s[30:31]
	v_pk_mov_b32 v[38:39], v[36:37], v[36:37] op_sel:[0,1]
	s_cbranch_vccnz .LBB236_36
; %bb.52:                               ;   in Loop: Header=BB236_39 Depth=3
	v_pk_mov_b32 v[36:37], 0, 0
	v_mov_b32_e32 v63, v57
	v_pk_mov_b32 v[40:41], v[32:33], v[32:33] op_sel:[0,1]
	s_mov_b32 s30, s58
	v_pk_mov_b32 v[38:39], v[36:37], v[36:37] op_sel:[0,1]
.LBB236_53:                             ;   Parent Loop BB236_15 Depth=1
                                        ;     Parent Loop BB236_25 Depth=2
                                        ;       Parent Loop BB236_39 Depth=3
                                        ; =>      This Inner Loop Header: Depth=4
	global_load_dwordx4 v[64:67], v[40:41], off offset:-8
	ds_read_b128 v[68:71], v63
	s_add_i32 s30, s30, -1
	v_mov_b32_e32 v72, s71
	v_add_co_u32_e32 v40, vcc, s70, v40
	v_add_u32_e32 v63, 16, v63
	v_addc_co_u32_e32 v41, vcc, v41, v72, vcc
	s_cmp_eq_u32 s30, 0
	s_waitcnt vmcnt(0) lgkmcnt(0)
	v_fmac_f64_e32 v[36:37], v[68:69], v[64:65]
	v_fmac_f64_e32 v[38:39], v[70:71], v[64:65]
	v_fma_f64 v[36:37], -v[70:71], v[66:67], v[36:37]
	v_fmac_f64_e32 v[38:39], v[68:69], v[66:67]
	s_cbranch_scc0 .LBB236_53
	s_branch .LBB236_36
.LBB236_54:                             ;   in Loop: Header=BB236_25 Depth=2
	s_or_b64 exec, exec, s[82:83]
.LBB236_55:                             ;   in Loop: Header=BB236_25 Depth=2
	s_or_b64 exec, exec, s[80:81]
.LBB236_56:                             ;   in Loop: Header=BB236_25 Depth=2
	s_or_b64 exec, exec, s[78:79]
	s_waitcnt lgkmcnt(0)
	s_barrier
	s_and_saveexec_b64 s[30:31], s[28:29]
	s_cbranch_execz .LBB236_24
; %bb.57:                               ;   in Loop: Header=BB236_25 Depth=2
	v_lshlrev_b64 v[26:27], 3, v[26:27]
	v_mov_b32_e32 v3, s69
	v_add_co_u32_e32 v26, vcc, s68, v26
	v_addc_co_u32_e32 v27, vcc, v3, v27, vcc
	global_store_dwordx2 v[26:27], v[4:5], off
	s_branch .LBB236_24
.LBB236_58:                             ;   in Loop: Header=BB236_25 Depth=2
                                        ; implicit-def: $vgpr4_vgpr5
	s_branch .LBB236_33
.LBB236_59:                             ;   in Loop: Header=BB236_15 Depth=1
	s_andn2_b64 vcc, exec, s[34:35]
	s_cbranch_vccnz .LBB236_71
; %bb.60:                               ;   in Loop: Header=BB236_15 Depth=1
	s_load_dwordx4 s[28:31], s[36:37], 0x0
	s_waitcnt lgkmcnt(0)
	s_sub_u32 s74, s30, s56
	v_mov_b32_e32 v3, s29
	v_add_co_u32_e32 v28, vcc, s28, v46
	s_subb_u32 s75, s31, 0
	v_addc_co_u32_e32 v29, vcc, v3, v47, vcc
	v_cmp_gt_i64_e32 vcc, s[74:75], v[28:29]
	s_and_saveexec_b64 s[76:77], vcc
	s_cbranch_execz .LBB236_70
; %bb.61:                               ;   in Loop: Header=BB236_15 Depth=1
	v_lshlrev_b64 v[4:5], 2, v[28:29]
	v_mov_b32_e32 v3, s39
	v_add_co_u32_e32 v4, vcc, s38, v4
	v_addc_co_u32_e32 v5, vcc, v3, v5, vcc
	v_mad_u64_u32 v[26:27], s[30:31], s60, v28, v[22:23]
	v_mul_lo_u32 v3, s60, v29
	v_mul_lo_u32 v28, s61, v28
	v_add3_u32 v27, v28, v27, v3
	v_mov_b32_e32 v3, s29
	v_add_co_u32_e32 v28, vcc, s28, v58
	v_addc_co_u32_e32 v29, vcc, v59, v3, vcc
	s_mov_b64 s[78:79], 0
	s_branch .LBB236_64
.LBB236_62:                             ;   in Loop: Header=BB236_64 Depth=2
	s_or_b64 exec, exec, s[80:81]
	s_or_b64 s[28:29], s[28:29], exec
.LBB236_63:                             ;   in Loop: Header=BB236_64 Depth=2
	s_or_b64 exec, exec, s[30:31]
	v_cmp_le_i64_e32 vcc, s[74:75], v[28:29]
	s_xor_b64 s[28:29], s[28:29], -1
	s_or_b64 s[28:29], s[28:29], vcc
	v_add_co_u32_e32 v4, vcc, 64, v4
	v_addc_co_u32_e32 v5, vcc, 0, v5, vcc
	v_mov_b32_e32 v3, s73
	v_add_co_u32_e32 v26, vcc, s72, v26
	v_addc_co_u32_e32 v27, vcc, v27, v3, vcc
	s_and_b64 s[28:29], exec, s[28:29]
	v_add_co_u32_e32 v28, vcc, 16, v28
	s_or_b64 s[78:79], s[28:29], s[78:79]
	v_addc_co_u32_e32 v29, vcc, 0, v29, vcc
	s_andn2_b64 exec, exec, s[78:79]
	s_cbranch_execz .LBB236_69
.LBB236_64:                             ;   Parent Loop BB236_15 Depth=1
                                        ; =>  This Inner Loop Header: Depth=2
	global_load_dword v3, v[4:5], off
	s_waitcnt vmcnt(0)
	v_subrev_u32_e32 v3, s55, v3
	v_cmp_gt_i32_e64 s[28:29], s43, v3
	v_cmp_ge_i32_e64 s[30:31], v3, v0
	v_cmp_lt_i32_e32 vcc, v3, v0
	s_or_b64 s[30:31], s[28:29], s[30:31]
                                        ; implicit-def: $sgpr28_sgpr29
	s_and_saveexec_b64 s[80:81], s[30:31]
	s_xor_b64 s[30:31], exec, s[80:81]
; %bb.65:                               ;   in Loop: Header=BB236_64 Depth=2
	v_min_i32_e32 v3, v3, v62
	v_cndmask_b32_e32 v62, v3, v62, vcc
	s_and_b64 s[28:29], vcc, exec
                                        ; implicit-def: $vgpr3
; %bb.66:                               ;   in Loop: Header=BB236_64 Depth=2
	s_andn2_saveexec_b64 s[30:31], s[30:31]
	s_cbranch_execz .LBB236_63
; %bb.67:                               ;   in Loop: Header=BB236_64 Depth=2
	v_subrev_u32_e32 v3, s43, v3
	v_lshlrev_b32_e32 v30, 2, v3
	ds_write_b32 v30, v61 offset:12288
	s_and_saveexec_b64 s[80:81], s[10:11]
	s_cbranch_execz .LBB236_62
; %bb.68:                               ;   in Loop: Header=BB236_64 Depth=2
	global_load_dwordx4 v[30:33], v[26:27], off offset:-8
	v_lshlrev_b32_e32 v3, 4, v3
	v_or3_b32 v3, v3, v45, v15
	v_lshlrev_b32_e32 v3, 4, v3
	s_waitcnt vmcnt(0)
	v_mul_f64 v[34:35], v[32:33], -v[8:9]
	v_mul_f64 v[32:33], v[12:13], v[32:33]
	v_fmac_f64_e32 v[34:35], v[12:13], v[30:31]
	v_fmac_f64_e32 v[32:33], v[8:9], v[30:31]
	ds_add_f64 v3, v[34:35]
	ds_add_f64 v3, v[32:33] offset:8
	s_branch .LBB236_62
.LBB236_69:                             ;   in Loop: Header=BB236_15 Depth=1
	s_or_b64 exec, exec, s[78:79]
.LBB236_70:                             ;   in Loop: Header=BB236_15 Depth=1
	s_or_b64 exec, exec, s[76:77]
.LBB236_71:                             ;   in Loop: Header=BB236_15 Depth=1
	s_and_saveexec_b64 s[28:29], s[14:15]
	s_cbranch_execz .LBB236_76
; %bb.72:                               ;   in Loop: Header=BB236_15 Depth=1
	s_mov_b64 s[30:31], exec
	s_brev_b32 s59, -2
.LBB236_73:                             ;   Parent Loop BB236_15 Depth=1
                                        ; =>  This Inner Loop Header: Depth=2
	s_ff1_i32_b64 s74, s[30:31]
	v_readlane_b32 s76, v62, s74
	s_lshl_b64 s[74:75], 1, s74
	s_min_i32 s59, s59, s76
	s_andn2_b64 s[30:31], s[30:31], s[74:75]
	s_cmp_lg_u64 s[30:31], 0
	s_cbranch_scc1 .LBB236_73
; %bb.74:                               ;   in Loop: Header=BB236_15 Depth=1
	v_mbcnt_lo_u32_b32 v0, exec_lo, 0
	v_mbcnt_hi_u32_b32 v0, exec_hi, v0
	v_cmp_eq_u32_e32 vcc, 0, v0
	s_and_saveexec_b64 s[30:31], vcc
	s_xor_b64 s[30:31], exec, s[30:31]
	s_cbranch_execz .LBB236_76
; %bb.75:                               ;   in Loop: Header=BB236_15 Depth=1
	v_mov_b32_e32 v0, s59
	ds_min_i32 v2, v0 offset:12416
.LBB236_76:                             ;   in Loop: Header=BB236_15 Depth=1
	s_or_b64 exec, exec, s[28:29]
	s_waitcnt lgkmcnt(0)
	s_barrier
	ds_read_b32 v0, v48
	s_waitcnt lgkmcnt(0)
	s_barrier
	s_and_saveexec_b64 s[28:29], s[18:19]
	s_cbranch_execz .LBB236_78
; %bb.77:                               ;   in Loop: Header=BB236_15 Depth=1
	ds_read_b32 v3, v49
	s_waitcnt lgkmcnt(0)
	v_add_u32_e32 v0, v3, v0
.LBB236_78:                             ;   in Loop: Header=BB236_15 Depth=1
	s_or_b64 exec, exec, s[28:29]
	s_barrier
	ds_write_b32 v48, v0
	s_waitcnt lgkmcnt(0)
	s_barrier
	s_and_saveexec_b64 s[28:29], s[20:21]
	s_cbranch_execz .LBB236_80
; %bb.79:                               ;   in Loop: Header=BB236_15 Depth=1
	ds_read_b32 v3, v51
	s_waitcnt lgkmcnt(0)
	v_add_u32_e32 v0, v3, v0
.LBB236_80:                             ;   in Loop: Header=BB236_15 Depth=1
	s_or_b64 exec, exec, s[28:29]
	s_barrier
	ds_write_b32 v48, v0
	s_waitcnt lgkmcnt(0)
	s_barrier
	s_and_saveexec_b64 s[28:29], s[22:23]
	s_cbranch_execz .LBB236_82
; %bb.81:                               ;   in Loop: Header=BB236_15 Depth=1
	ds_read_b32 v3, v52
	s_waitcnt lgkmcnt(0)
	v_add_u32_e32 v0, v3, v0
.LBB236_82:                             ;   in Loop: Header=BB236_15 Depth=1
	s_or_b64 exec, exec, s[28:29]
	s_barrier
	ds_write_b32 v48, v0
	s_waitcnt lgkmcnt(0)
	s_barrier
	s_and_saveexec_b64 s[28:29], s[24:25]
	s_cbranch_execz .LBB236_84
; %bb.83:                               ;   in Loop: Header=BB236_15 Depth=1
	ds_read_b32 v3, v53
	s_waitcnt lgkmcnt(0)
	v_add_u32_e32 v0, v3, v0
.LBB236_84:                             ;   in Loop: Header=BB236_15 Depth=1
	s_or_b64 exec, exec, s[28:29]
	s_barrier
	ds_write_b32 v48, v0
	s_waitcnt lgkmcnt(0)
	s_barrier
	s_and_saveexec_b64 s[28:29], s[26:27]
	s_cbranch_execz .LBB236_86
; %bb.85:                               ;   in Loop: Header=BB236_15 Depth=1
	ds_read_b32 v3, v54
	s_waitcnt lgkmcnt(0)
	v_add_u32_e32 v0, v3, v0
.LBB236_86:                             ;   in Loop: Header=BB236_15 Depth=1
	s_or_b64 exec, exec, s[28:29]
	s_barrier
	ds_write_b32 v48, v0
	s_waitcnt lgkmcnt(0)
	s_barrier
	ds_read_b32 v4, v2 offset:12412
	v_mov_b32_e32 v3, 0
	s_and_saveexec_b64 s[28:29], s[16:17]
	s_cbranch_execz .LBB236_88
; %bb.87:                               ;   in Loop: Header=BB236_15 Depth=1
	ds_read_b32 v3, v49
.LBB236_88:                             ;   in Loop: Header=BB236_15 Depth=1
	s_or_b64 exec, exec, s[28:29]
	s_waitcnt lgkmcnt(0)
	v_cmp_eq_u32_e32 vcc, v0, v3
	s_and_b64 s[30:31], s[16:17], vcc
	s_barrier
	s_and_saveexec_b64 s[28:29], s[30:31]
	s_cbranch_execz .LBB236_90
; %bb.89:                               ;   in Loop: Header=BB236_15 Depth=1
	ds_write_b32 v48, v2
.LBB236_90:                             ;   in Loop: Header=BB236_15 Depth=1
	s_or_b64 exec, exec, s[28:29]
	s_waitcnt lgkmcnt(0)
	s_barrier
	s_and_saveexec_b64 s[28:29], s[6:7]
	s_cbranch_execz .LBB236_14
; %bb.91:                               ;   in Loop: Header=BB236_15 Depth=1
	v_add_co_u32_e32 v5, vcc, -1, v24
	v_addc_co_u32_e32 v26, vcc, -1, v25, vcc
	s_add_i32 s43, s54, s43
	s_mov_b64 s[30:31], 0
	v_mov_b32_e32 v27, v60
	v_mov_b32_e32 v28, v17
	;; [unrolled: 1-line block ×3, first 2 shown]
	s_branch .LBB236_93
.LBB236_92:                             ;   in Loop: Header=BB236_93 Depth=2
	s_or_b64 exec, exec, s[74:75]
	v_add_u32_e32 v0, 16, v29
	v_cmp_lt_u32_e32 vcc, 15, v29
	v_add_u32_e32 v28, 0x1000, v28
	v_add_u32_e32 v27, 64, v27
	s_or_b64 s[30:31], vcc, s[30:31]
	v_mov_b32_e32 v29, v0
	s_andn2_b64 exec, exec, s[30:31]
	s_cbranch_execz .LBB236_14
.LBB236_93:                             ;   Parent Loop BB236_15 Depth=1
                                        ; =>  This Inner Loop Header: Depth=2
	ds_read_b32 v0, v27
	s_waitcnt lgkmcnt(0)
	v_cmp_ne_u32_e32 vcc, 0, v0
	s_and_saveexec_b64 s[74:75], vcc
	s_cbranch_execz .LBB236_92
; %bb.94:                               ;   in Loop: Header=BB236_93 Depth=2
	v_ashrrev_i32_e32 v3, 31, v0
	v_add_co_u32_e32 v30, vcc, v24, v0
	v_addc_co_u32_e32 v31, vcc, v25, v3, vcc
	v_lshlrev_b64 v[30:31], 2, v[30:31]
	v_mov_b32_e32 v33, s96
	v_add_co_u32_e32 v30, vcc, s95, v30
	v_add_u32_e32 v32, s43, v29
	v_addc_co_u32_e32 v31, vcc, v33, v31, vcc
	global_store_dword v[30:31], v32, off
	s_and_b64 exec, exec, s[10:11]
	s_cbranch_execz .LBB236_92
; %bb.95:                               ;   in Loop: Header=BB236_93 Depth=2
	v_add_co_u32_e32 v0, vcc, v5, v0
	v_mad_u64_u32 v[30:31], s[76:77], v0, s42, 0
	v_addc_co_u32_e32 v3, vcc, v26, v3, vcc
	v_mov_b32_e32 v0, v31
	v_mad_u64_u32 v[32:33], s[76:77], v3, s42, v[0:1]
	v_mov_b32_e32 v31, v32
	v_lshlrev_b64 v[34:35], 4, v[30:31]
	ds_read2_b64 v[30:33], v28 offset1:1
	v_add_co_u32_e32 v34, vcc, v16, v34
	v_addc_co_u32_e32 v35, vcc, v1, v35, vcc
	s_waitcnt lgkmcnt(0)
	global_store_dwordx4 v[34:35], v[30:33], off
	s_branch .LBB236_92
.LBB236_96:
	s_endpgm
	.section	.rodata,"a",@progbits
	.p2align	6, 0x0
	.amdhsa_kernel _ZN9rocsparseL38bsrgemm_block_per_row_atomic_multipassILj256ELj32ELj4Eli21rocsparse_complex_numIdEEEv20rocsparse_direction_T3_S4_PKS4_S6_NS_24const_host_device_scalarIT4_EEPKT2_S6_PKS8_SC_S6_SE_S9_SC_S6_SE_SC_PS4_PS8_PSA_21rocsparse_index_base_SI_SI_SI_bbb
		.amdhsa_group_segment_fixed_size 12424
		.amdhsa_private_segment_fixed_size 24
		.amdhsa_kernarg_size 188
		.amdhsa_user_sgpr_count 8
		.amdhsa_user_sgpr_private_segment_buffer 1
		.amdhsa_user_sgpr_dispatch_ptr 0
		.amdhsa_user_sgpr_queue_ptr 0
		.amdhsa_user_sgpr_kernarg_segment_ptr 1
		.amdhsa_user_sgpr_dispatch_id 0
		.amdhsa_user_sgpr_flat_scratch_init 1
		.amdhsa_user_sgpr_kernarg_preload_length 0
		.amdhsa_user_sgpr_kernarg_preload_offset 0
		.amdhsa_user_sgpr_private_segment_size 0
		.amdhsa_uses_dynamic_stack 0
		.amdhsa_system_sgpr_private_segment_wavefront_offset 1
		.amdhsa_system_sgpr_workgroup_id_x 1
		.amdhsa_system_sgpr_workgroup_id_y 0
		.amdhsa_system_sgpr_workgroup_id_z 0
		.amdhsa_system_sgpr_workgroup_info 0
		.amdhsa_system_vgpr_workitem_id 0
		.amdhsa_next_free_vgpr 73
		.amdhsa_next_free_sgpr 97
		.amdhsa_accum_offset 76
		.amdhsa_reserve_vcc 1
		.amdhsa_reserve_flat_scratch 1
		.amdhsa_float_round_mode_32 0
		.amdhsa_float_round_mode_16_64 0
		.amdhsa_float_denorm_mode_32 3
		.amdhsa_float_denorm_mode_16_64 3
		.amdhsa_dx10_clamp 1
		.amdhsa_ieee_mode 1
		.amdhsa_fp16_overflow 0
		.amdhsa_tg_split 0
		.amdhsa_exception_fp_ieee_invalid_op 0
		.amdhsa_exception_fp_denorm_src 0
		.amdhsa_exception_fp_ieee_div_zero 0
		.amdhsa_exception_fp_ieee_overflow 0
		.amdhsa_exception_fp_ieee_underflow 0
		.amdhsa_exception_fp_ieee_inexact 0
		.amdhsa_exception_int_div_zero 0
	.end_amdhsa_kernel
	.section	.text._ZN9rocsparseL38bsrgemm_block_per_row_atomic_multipassILj256ELj32ELj4Eli21rocsparse_complex_numIdEEEv20rocsparse_direction_T3_S4_PKS4_S6_NS_24const_host_device_scalarIT4_EEPKT2_S6_PKS8_SC_S6_SE_S9_SC_S6_SE_SC_PS4_PS8_PSA_21rocsparse_index_base_SI_SI_SI_bbb,"axG",@progbits,_ZN9rocsparseL38bsrgemm_block_per_row_atomic_multipassILj256ELj32ELj4Eli21rocsparse_complex_numIdEEEv20rocsparse_direction_T3_S4_PKS4_S6_NS_24const_host_device_scalarIT4_EEPKT2_S6_PKS8_SC_S6_SE_S9_SC_S6_SE_SC_PS4_PS8_PSA_21rocsparse_index_base_SI_SI_SI_bbb,comdat
.Lfunc_end236:
	.size	_ZN9rocsparseL38bsrgemm_block_per_row_atomic_multipassILj256ELj32ELj4Eli21rocsparse_complex_numIdEEEv20rocsparse_direction_T3_S4_PKS4_S6_NS_24const_host_device_scalarIT4_EEPKT2_S6_PKS8_SC_S6_SE_S9_SC_S6_SE_SC_PS4_PS8_PSA_21rocsparse_index_base_SI_SI_SI_bbb, .Lfunc_end236-_ZN9rocsparseL38bsrgemm_block_per_row_atomic_multipassILj256ELj32ELj4Eli21rocsparse_complex_numIdEEEv20rocsparse_direction_T3_S4_PKS4_S6_NS_24const_host_device_scalarIT4_EEPKT2_S6_PKS8_SC_S6_SE_S9_SC_S6_SE_SC_PS4_PS8_PSA_21rocsparse_index_base_SI_SI_SI_bbb
                                        ; -- End function
	.section	.AMDGPU.csdata,"",@progbits
; Kernel info:
; codeLenInByte = 3668
; NumSgprs: 103
; NumVgprs: 73
; NumAgprs: 0
; TotalNumVgprs: 73
; ScratchSize: 24
; MemoryBound: 0
; FloatMode: 240
; IeeeMode: 1
; LDSByteSize: 12424 bytes/workgroup (compile time only)
; SGPRBlocks: 12
; VGPRBlocks: 9
; NumSGPRsForWavesPerEU: 103
; NumVGPRsForWavesPerEU: 73
; AccumOffset: 76
; Occupancy: 5
; WaveLimiterHint : 1
; COMPUTE_PGM_RSRC2:SCRATCH_EN: 1
; COMPUTE_PGM_RSRC2:USER_SGPR: 8
; COMPUTE_PGM_RSRC2:TRAP_HANDLER: 0
; COMPUTE_PGM_RSRC2:TGID_X_EN: 1
; COMPUTE_PGM_RSRC2:TGID_Y_EN: 0
; COMPUTE_PGM_RSRC2:TGID_Z_EN: 0
; COMPUTE_PGM_RSRC2:TIDIG_COMP_CNT: 0
; COMPUTE_PGM_RSRC3_GFX90A:ACCUM_OFFSET: 18
; COMPUTE_PGM_RSRC3_GFX90A:TG_SPLIT: 0
	.section	.text._ZN9rocsparseL38bsrgemm_block_per_row_atomic_multipassILj256ELj64ELj4Eli21rocsparse_complex_numIdEEEv20rocsparse_direction_T3_S4_PKS4_S6_NS_24const_host_device_scalarIT4_EEPKT2_S6_PKS8_SC_S6_SE_S9_SC_S6_SE_SC_PS4_PS8_PSA_21rocsparse_index_base_SI_SI_SI_bbb,"axG",@progbits,_ZN9rocsparseL38bsrgemm_block_per_row_atomic_multipassILj256ELj64ELj4Eli21rocsparse_complex_numIdEEEv20rocsparse_direction_T3_S4_PKS4_S6_NS_24const_host_device_scalarIT4_EEPKT2_S6_PKS8_SC_S6_SE_S9_SC_S6_SE_SC_PS4_PS8_PSA_21rocsparse_index_base_SI_SI_SI_bbb,comdat
	.globl	_ZN9rocsparseL38bsrgemm_block_per_row_atomic_multipassILj256ELj64ELj4Eli21rocsparse_complex_numIdEEEv20rocsparse_direction_T3_S4_PKS4_S6_NS_24const_host_device_scalarIT4_EEPKT2_S6_PKS8_SC_S6_SE_S9_SC_S6_SE_SC_PS4_PS8_PSA_21rocsparse_index_base_SI_SI_SI_bbb ; -- Begin function _ZN9rocsparseL38bsrgemm_block_per_row_atomic_multipassILj256ELj64ELj4Eli21rocsparse_complex_numIdEEEv20rocsparse_direction_T3_S4_PKS4_S6_NS_24const_host_device_scalarIT4_EEPKT2_S6_PKS8_SC_S6_SE_S9_SC_S6_SE_SC_PS4_PS8_PSA_21rocsparse_index_base_SI_SI_SI_bbb
	.p2align	8
	.type	_ZN9rocsparseL38bsrgemm_block_per_row_atomic_multipassILj256ELj64ELj4Eli21rocsparse_complex_numIdEEEv20rocsparse_direction_T3_S4_PKS4_S6_NS_24const_host_device_scalarIT4_EEPKT2_S6_PKS8_SC_S6_SE_S9_SC_S6_SE_SC_PS4_PS8_PSA_21rocsparse_index_base_SI_SI_SI_bbb,@function
_ZN9rocsparseL38bsrgemm_block_per_row_atomic_multipassILj256ELj64ELj4Eli21rocsparse_complex_numIdEEEv20rocsparse_direction_T3_S4_PKS4_S6_NS_24const_host_device_scalarIT4_EEPKT2_S6_PKS8_SC_S6_SE_S9_SC_S6_SE_SC_PS4_PS8_PSA_21rocsparse_index_base_SI_SI_SI_bbb: ; @_ZN9rocsparseL38bsrgemm_block_per_row_atomic_multipassILj256ELj64ELj4Eli21rocsparse_complex_numIdEEEv20rocsparse_direction_T3_S4_PKS4_S6_NS_24const_host_device_scalarIT4_EEPKT2_S6_PKS8_SC_S6_SE_S9_SC_S6_SE_SC_PS4_PS8_PSA_21rocsparse_index_base_SI_SI_SI_bbb
; %bb.0:
	s_add_u32 flat_scratch_lo, s6, s9
	s_addc_u32 flat_scratch_hi, s7, 0
	s_load_dwordx4 s[16:19], s[4:5], 0x20
	s_load_dwordx4 s[12:15], s[4:5], 0x60
	s_add_u32 s0, s0, s9
	s_load_dword s9, s[4:5], 0xb8
	s_load_dwordx4 s[52:55], s[4:5], 0xa8
	s_addc_u32 s1, s1, 0
	s_waitcnt lgkmcnt(0)
	v_mov_b32_e32 v1, s17
	buffer_store_dword v1, off, s[0:3], 0 offset:4
	s_bitcmp1_b32 s9, 0
	s_cselect_b64 s[20:21], -1, 0
	s_bitcmp1_b32 s9, 16
	v_mov_b32_e32 v1, s16
	s_cselect_b64 s[6:7], -1, 0
	buffer_store_dword v1, off, s[0:3], 0
	v_mov_b32_e32 v1, s13
	buffer_store_dword v1, off, s[0:3], 0 offset:12
	v_mov_b32_e32 v1, s12
	s_xor_b64 s[10:11], s[6:7], -1
	buffer_store_dword v1, off, s[0:3], 0 offset:8
	v_pk_mov_b32 v[8:9], 0, 0
	v_cndmask_b32_e64 v1, 0, 1, s[10:11]
	s_bitcmp0_b32 s9, 0
	v_cmp_ne_u32_e64 s[10:11], 1, v1
	v_pk_mov_b32 v[6:7], v[8:9], v[8:9] op_sel:[0,1]
	v_pk_mov_b32 v[10:11], v[8:9], v[8:9] op_sel:[0,1]
	s_cbranch_scc1 .LBB237_3
; %bb.1:
	s_mov_b64 s[22:23], src_private_base
	s_and_b64 s[24:25], s[6:7], exec
	s_cselect_b32 s22, s23, s17
	v_mov_b32_e32 v1, 0
	v_mov_b32_e32 v2, s16
	v_cndmask_b32_e64 v2, v2, v1, s[6:7]
	v_mov_b32_e32 v3, s22
	flat_load_dwordx2 v[6:7], v[2:3]
	s_and_b64 vcc, exec, s[10:11]
	v_pk_mov_b32 v[10:11], s[18:19], s[18:19] op_sel:[0,1]
	s_cbranch_vccnz .LBB237_3
; %bb.2:
	v_pk_mov_b32 v[2:3], s[16:17], s[16:17] op_sel:[0,1]
	flat_load_dwordx2 v[10:11], v[2:3] offset:8
.LBB237_3:
	s_load_dwordx2 s[16:17], s[4:5], 0x18
	s_bitcmp1_b32 s9, 8
	s_cselect_b64 s[34:35], -1, 0
	s_bfe_u32 s9, s9, 0x10008
	s_cmp_eq_u32 s9, 0
	v_pk_mov_b32 v[12:13], v[8:9], v[8:9] op_sel:[0,1]
	s_cbranch_scc1 .LBB237_6
; %bb.4:
	s_mov_b64 s[18:19], src_private_base
	s_and_b64 s[22:23], s[6:7], exec
	s_cselect_b32 s9, s19, s13
	v_mov_b32_e32 v1, 8
	v_mov_b32_e32 v2, s12
	v_cndmask_b32_e64 v2, v2, v1, s[6:7]
	v_mov_b32_e32 v3, s9
	flat_load_dwordx2 v[12:13], v[2:3]
	s_and_b64 vcc, exec, s[10:11]
	v_pk_mov_b32 v[8:9], s[14:15], s[14:15] op_sel:[0,1]
	s_cbranch_vccnz .LBB237_6
; %bb.5:
	v_pk_mov_b32 v[2:3], s[12:13], s[12:13] op_sel:[0,1]
	flat_load_dwordx2 v[8:9], v[2:3] offset:8
.LBB237_6:
	s_load_dwordx2 s[10:11], s[4:5], 0x30
	s_waitcnt lgkmcnt(0)
	s_cmp_eq_u64 s[16:17], 0
	s_cbranch_scc1 .LBB237_8
; %bb.7:
	s_load_dwordx2 s[6:7], s[4:5], 0x10
	s_waitcnt lgkmcnt(0)
	s_load_dword s6, s[6:7], 0x0
	s_mov_b32 s7, 0
	s_waitcnt lgkmcnt(0)
	s_add_i32 s6, s6, s8
	s_lshl_b64 s[6:7], s[6:7], 2
	s_add_u32 s6, s16, s6
	s_addc_u32 s7, s17, s7
	s_load_dword s8, s[6:7], 0x0
.LBB237_8:
	v_cndmask_b32_e64 v1, 0, 1, s[20:21]
	s_mov_b64 s[64:65], 0
	v_cmp_ne_u32_e64 s[6:7], 1, v1
	s_andn2_b64 vcc, exec, s[20:21]
	s_mov_b64 s[66:67], 0
	s_cbranch_vccz .LBB237_11
; %bb.9:
	s_and_b64 vcc, exec, s[6:7]
	s_cbranch_vccz .LBB237_12
.LBB237_10:
	s_load_dwordx4 s[56:59], s[4:5], 0x0
	s_waitcnt lgkmcnt(0)
	s_cmp_lt_i32 s57, 1
	s_cbranch_scc0 .LBB237_13
	s_branch .LBB237_96
.LBB237_11:
	s_waitcnt lgkmcnt(0)
	s_ashr_i32 s9, s8, 31
	s_lshl_b64 s[12:13], s[8:9], 3
	s_add_u32 s12, s10, s12
	s_addc_u32 s13, s11, s13
	s_load_dwordx2 s[12:13], s[12:13], 0x0
	s_waitcnt lgkmcnt(0)
	s_sub_u32 s66, s12, s52
	s_subb_u32 s67, s13, 0
	s_and_b64 vcc, exec, s[6:7]
	s_cbranch_vccnz .LBB237_10
.LBB237_12:
	s_waitcnt lgkmcnt(0)
	s_ashr_i32 s9, s8, 31
	s_lshl_b64 s[6:7], s[8:9], 3
	s_add_u32 s6, s10, s6
	s_addc_u32 s7, s11, s7
	s_load_dwordx2 s[6:7], s[6:7], 0x8
	s_waitcnt lgkmcnt(0)
	s_sub_u32 s64, s6, s52
	s_subb_u32 s65, s7, 0
	s_load_dwordx4 s[56:59], s[4:5], 0x0
	s_waitcnt lgkmcnt(0)
	s_cmp_lt_i32 s57, 1
	s_cbranch_scc1 .LBB237_96
.LBB237_13:
	s_load_dwordx2 s[68:69], s[4:5], 0xa0
	s_load_dwordx4 s[60:63], s[4:5], 0x90
	s_load_dwordx8 s[36:43], s[4:5], 0x70
	s_load_dwordx2 s[30:31], s[4:5], 0x58
	s_load_dwordx8 s[44:51], s[4:5], 0x38
	v_pk_mov_b32 v[2:3], s[64:65], s[64:65] op_sel:[0,1]
	v_bfe_u32 v15, v0, 2, 2
	v_cmp_lt_i64_e32 vcc, s[66:67], v[2:3]
	v_mov_b32_e32 v2, 0
	v_and_b32_e32 v17, 3, v0
	v_mul_lo_u32 v4, v15, s58
	v_mov_b32_e32 v5, v2
	s_ashr_i32 s9, s8, 31
	v_max_i32_e32 v3, v17, v15
	v_lshlrev_b64 v[4:5], 4, v[4:5]
	s_lshl_b64 s[14:15], s[8:9], 3
	v_cmp_gt_i32_e64 s[8:9], s58, v3
	v_cmp_le_i32_e64 s[10:11], s58, v3
	s_waitcnt lgkmcnt(0)
	v_mov_b32_e32 v3, s47
	v_add_co_u32_e64 v16, s[12:13], s46, v4
	v_addc_co_u32_e64 v3, s[12:13], v3, v5, s[12:13]
	v_lshlrev_b32_e32 v20, 4, v17
	v_add_co_u32_e64 v46, s[12:13], v16, v20
	v_mul_lo_u32 v18, v17, s58
	v_mov_b32_e32 v19, v2
	v_addc_co_u32_e64 v47, s[12:13], 0, v3, s[12:13]
	v_lshlrev_b64 v[18:19], 4, v[18:19]
	v_lshlrev_b32_e32 v3, 4, v15
	v_mov_b32_e32 v15, s63
	v_add_co_u32_e64 v16, s[12:13], s62, v18
	v_addc_co_u32_e64 v21, s[12:13], v15, v19, s[12:13]
	v_add_co_u32_e64 v16, s[12:13], v16, v3
	v_addc_co_u32_e64 v21, s[12:13], 0, v21, s[12:13]
	;; [unrolled: 2-line block ×3, first 2 shown]
	s_add_u32 s4, s42, s14
	v_add_co_u32_e64 v22, s[12:13], v22, v20
	s_addc_u32 s5, s43, s15
	v_lshrrev_b32_e32 v14, 4, v0
	v_addc_co_u32_e64 v15, s[12:13], 0, v15, s[12:13]
	s_load_dwordx2 s[4:5], s[4:5], 0x0
	v_subrev_co_u32_e64 v49, s[12:13], s55, v14
	v_subb_co_u32_e64 v50, s[12:13], 0, 0, s[12:13]
	v_mov_b32_e32 v23, s41
	v_add_co_u32_e64 v24, s[12:13], s40, v18
	v_addc_co_u32_e64 v25, s[12:13], v23, v19, s[12:13]
	v_add_co_u32_e64 v24, s[12:13], v24, v3
	s_waitcnt lgkmcnt(0)
	s_sub_u32 s72, s4, s54
	v_addc_co_u32_e64 v25, s[12:13], 0, v25, s[12:13]
	s_subb_u32 s73, s5, 0
	v_add_co_u32_e64 v4, s[12:13], s40, v4
	s_cmp_eq_u32 s56, 0
	v_addc_co_u32_e64 v5, s[12:13], v23, v5, s[12:13]
	s_cselect_b64 s[28:29], -1, 0
	s_cmp_lg_u32 s56, 0
	v_add_co_u32_e64 v4, s[12:13], v4, v20
	v_and_b32_e32 v1, 15, v0
	s_cselect_b64 s[46:47], -1, 0
	s_cmp_gt_i32 s58, 0
	v_addc_co_u32_e64 v5, s[12:13], 0, v5, s[12:13]
	v_mov_b32_e32 v27, 0x5000
	v_cmp_gt_u32_e64 s[4:5], 64, v0
	v_cmp_eq_u32_e64 s[6:7], 0, v0
	v_lshlrev_b32_e32 v44, 4, v0
	s_movk_i32 s59, 0x4000
	s_cselect_b64 s[74:75], -1, 0
	v_and_b32_e32 v48, 12, v0
	s_add_u32 s36, s36, s14
	v_cmp_eq_u32_e64 s[12:13], 15, v1
	v_and_b32_e32 v1, 63, v0
	v_lshl_or_b32 v53, v0, 2, v27
	v_or_b32_e32 v59, 0xffffff00, v0
	v_lshlrev_b32_e32 v0, 8, v14
	s_addc_u32 s37, s37, s15
	s_and_b64 s[40:41], s[20:21], vcc
	v_or3_b32 v60, v0, v3, s59
	v_mov_b32_e32 v0, s31
	v_add_co_u32_e32 v3, vcc, s30, v18
	v_lshlrev_b32_e32 v23, 2, v1
	v_add_co_u32_e64 v26, s[14:15], -1, v1
	v_cmp_ne_u32_e64 s[16:17], 0, v1
	v_cmp_lt_u32_e64 s[18:19], 1, v1
	v_cmp_lt_u32_e64 s[20:21], 3, v1
	;; [unrolled: 1-line block ×5, first 2 shown]
	v_cndmask_b32_e64 v1, v21, v15, s[28:29]
	v_addc_co_u32_e32 v15, vcc, v19, v0, vcc
	v_add_co_u32_e32 v18, vcc, 8, v3
	v_addc_co_u32_e32 v19, vcc, 0, v15, vcc
	v_add_co_u32_e32 v3, vcc, s30, v20
	;; [unrolled: 2-line block ×3, first 2 shown]
	v_cndmask_b32_e64 v4, v24, v4, s[28:29]
	v_addc_co_u32_e32 v21, vcc, 0, v0, vcc
	v_cndmask_b32_e64 v16, v16, v22, s[28:29]
	v_cndmask_b32_e64 v5, v25, v5, s[28:29]
	s_add_u32 s91, s48, 8
	v_add_co_u32_e32 v22, vcc, 8, v4
	s_mov_b32 s43, 0
	v_or_b32_e32 v51, 0x5000, v23
	v_add_u32_e32 v54, 0x4ff8, v23
	v_add_u32_e32 v55, 0x4ff0, v23
	;; [unrolled: 1-line block ×5, first 2 shown]
	s_addc_u32 s92, s49, 0
	v_addc_co_u32_e32 v23, vcc, 0, v5, vcc
	s_mul_i32 s42, s58, s58
	s_add_u32 s93, s60, -4
	s_mov_b32 s59, s43
	v_and_b32_e32 v0, 0xfc0, v44
	v_add_co_u32_e32 v62, vcc, 16, v49
	v_or_b32_e32 v45, 0x4000, v44
	s_mov_b32 s33, s53
	s_mov_b32 s90, s43
	;; [unrolled: 1-line block ×3, first 2 shown]
	v_lshl_add_u32 v52, v26, 2, v27
	s_addc_u32 s94, s61, -1
	s_lshl_b64 s[60:61], s[42:43], 4
	s_lshl_b64 s[62:63], s[58:59], 4
	v_or_b32_e32 v61, 0x4000, v0
	s_lshl_b64 s[70:71], s[42:43], 8
	v_addc_co_u32_e32 v63, vcc, 0, v50, vcc
	v_lshl_or_b32 v64, v14, 2, v27
	v_mov_b32_e32 v0, 64
	v_pk_mov_b32 v[24:25], s[72:73], s[72:73] op_sel:[0,1]
	v_mov_b32_e32 v3, v2
	v_mov_b32_e32 v4, v2
	;; [unrolled: 1-line block ×3, first 2 shown]
	s_movk_i32 s59, 0x2ff
	v_mov_b32_e32 v65, 1
	v_cndmask_b32_e64 v66, 0, 1, s[74:75]
	s_branch .LBB237_15
.LBB237_14:                             ;   in Loop: Header=BB237_15 Depth=1
	s_or_b64 exec, exec, s[28:29]
	s_barrier
	ds_read_b32 v15, v2 offset:20736
	v_ashrrev_i32_e32 v0, 31, v26
	v_add_co_u32_e32 v24, vcc, v24, v26
	v_addc_co_u32_e32 v25, vcc, v25, v0, vcc
	s_waitcnt lgkmcnt(0)
	v_cmp_le_i32_e32 vcc, s57, v15
	v_readfirstlane_b32 s43, v15
	v_add_u32_e32 v0, 64, v15
	s_barrier
	s_cbranch_vccnz .LBB237_96
.LBB237_15:                             ; =>This Loop Header: Depth=1
                                        ;     Child Loop BB237_18 Depth 2
                                        ;     Child Loop BB237_24 Depth 2
                                        ;       Child Loop BB237_38 Depth 3
                                        ;         Child Loop BB237_47 Depth 4
                                        ;         Child Loop BB237_52 Depth 4
                                        ;     Child Loop BB237_63 Depth 2
                                        ;     Child Loop BB237_72 Depth 2
	;; [unrolled: 1-line block ×3, first 2 shown]
	s_and_saveexec_b64 s[28:29], s[4:5]
	s_cbranch_execz .LBB237_17
; %bb.16:                               ;   in Loop: Header=BB237_15 Depth=1
	ds_write_b32 v53, v2
.LBB237_17:                             ;   in Loop: Header=BB237_15 Depth=1
	s_or_b64 exec, exec, s[28:29]
	s_mov_b64 s[28:29], 0
	v_mov_b32_e32 v15, v44
	v_mov_b32_e32 v26, v59
.LBB237_18:                             ;   Parent Loop BB237_15 Depth=1
                                        ; =>  This Inner Loop Header: Depth=2
	v_add_u32_e32 v26, 0x100, v26
	v_cmp_lt_u32_e32 vcc, s59, v26
	ds_write_b128 v15, v[2:5]
	s_or_b64 s[28:29], vcc, s[28:29]
	v_add_u32_e32 v15, 0x1000, v15
	s_andn2_b64 exec, exec, s[28:29]
	s_cbranch_execnz .LBB237_18
; %bb.19:                               ;   in Loop: Header=BB237_15 Depth=1
	s_or_b64 exec, exec, s[28:29]
	s_and_saveexec_b64 s[28:29], s[6:7]
	s_cbranch_execz .LBB237_21
; %bb.20:                               ;   in Loop: Header=BB237_15 Depth=1
	v_mov_b32_e32 v15, s57
	ds_write_b32 v2, v15 offset:20736
.LBB237_21:                             ;   in Loop: Header=BB237_15 Depth=1
	s_or_b64 exec, exec, s[28:29]
	s_andn2_b64 vcc, exec, s[40:41]
	v_mov_b32_e32 v15, s57
	s_waitcnt lgkmcnt(0)
	s_barrier
	s_cbranch_vccnz .LBB237_58
; %bb.22:                               ;   in Loop: Header=BB237_15 Depth=1
	s_cmp_lg_u32 s43, 0
	s_cselect_b64 s[72:73], -1, 0
	v_mov_b32_e32 v15, s57
	s_mov_b64 s[74:75], s[66:67]
	s_branch .LBB237_24
.LBB237_23:                             ;   in Loop: Header=BB237_24 Depth=2
	s_or_b64 exec, exec, s[30:31]
	s_add_u32 s74, s74, 16
	s_addc_u32 s75, s75, 0
	v_pk_mov_b32 v[26:27], s[64:65], s[64:65] op_sel:[0,1]
	v_cmp_lt_i64_e32 vcc, s[74:75], v[26:27]
	s_cbranch_vccz .LBB237_58
.LBB237_24:                             ;   Parent Loop BB237_15 Depth=1
                                        ; =>  This Loop Header: Depth=2
                                        ;       Child Loop BB237_38 Depth 3
                                        ;         Child Loop BB237_47 Depth 4
                                        ;         Child Loop BB237_52 Depth 4
	v_mov_b32_e32 v27, s75
	v_add_co_u32_e32 v26, vcc, s74, v14
	v_addc_co_u32_e32 v27, vcc, 0, v27, vcc
	v_cmp_gt_i64_e64 s[28:29], s[64:65], v[26:27]
	s_barrier
	s_and_saveexec_b64 s[30:31], s[28:29]
	s_cbranch_execz .LBB237_29
; %bb.25:                               ;   in Loop: Header=BB237_24 Depth=2
	s_and_saveexec_b64 s[76:77], s[10:11]
	s_xor_b64 s[76:77], exec, s[76:77]
	s_cbranch_execz .LBB237_27
; %bb.26:                               ;   in Loop: Header=BB237_24 Depth=2
	ds_write_b128 v45, v[2:5]
.LBB237_27:                             ;   in Loop: Header=BB237_24 Depth=2
	s_andn2_saveexec_b64 s[76:77], s[76:77]
	s_cbranch_execz .LBB237_29
; %bb.28:                               ;   in Loop: Header=BB237_24 Depth=2
	v_mad_u64_u32 v[28:29], s[76:77], v26, s42, 0
	v_mov_b32_e32 v30, v29
	v_mad_u64_u32 v[30:31], s[76:77], v27, s42, v[30:31]
	v_mov_b32_e32 v29, v30
	v_lshlrev_b64 v[28:29], 4, v[28:29]
	v_add_co_u32_e32 v28, vcc, v46, v28
	v_addc_co_u32_e32 v29, vcc, v47, v29, vcc
	global_load_dwordx4 v[28:31], v[28:29], off
	s_waitcnt vmcnt(0)
	ds_write2_b64 v45, v[28:29], v[30:31] offset1:1
.LBB237_29:                             ;   in Loop: Header=BB237_24 Depth=2
	s_or_b64 exec, exec, s[30:31]
	v_pk_mov_b32 v[28:29], 0, 0
	s_waitcnt lgkmcnt(0)
	s_barrier
	s_and_saveexec_b64 s[76:77], s[28:29]
	s_cbranch_execz .LBB237_55
; %bb.30:                               ;   in Loop: Header=BB237_24 Depth=2
	v_lshlrev_b64 v[28:29], 2, v[26:27]
	v_mov_b32_e32 v30, s45
	v_add_co_u32_e32 v28, vcc, s44, v28
	v_addc_co_u32_e32 v29, vcc, v30, v29, vcc
	global_load_dword v28, v[28:29], off
	s_and_b64 vcc, exec, s[72:73]
	s_waitcnt vmcnt(0)
	v_subrev_u32_e32 v30, s52, v28
	v_ashrrev_i32_e32 v31, 31, v30
	s_cbranch_vccz .LBB237_57
; %bb.31:                               ;   in Loop: Header=BB237_24 Depth=2
	v_lshlrev_b64 v[28:29], 3, v[26:27]
	v_mov_b32_e32 v32, s69
	v_add_co_u32_e32 v28, vcc, s68, v28
	v_addc_co_u32_e32 v29, vcc, v32, v29, vcc
	global_load_dwordx2 v[28:29], v[28:29], off
	s_cbranch_execnz .LBB237_33
.LBB237_32:                             ;   in Loop: Header=BB237_24 Depth=2
	s_waitcnt vmcnt(0)
	v_lshlrev_b64 v[28:29], 3, v[30:31]
	v_mov_b32_e32 v32, s49
	v_add_co_u32_e32 v28, vcc, s48, v28
	v_addc_co_u32_e32 v29, vcc, v32, v29, vcc
	global_load_dwordx2 v[28:29], v[28:29], off
	v_mov_b32_e32 v32, s90
	s_waitcnt vmcnt(0)
	v_subrev_co_u32_e32 v28, vcc, s33, v28
	v_subb_co_u32_e32 v29, vcc, v29, v32, vcc
.LBB237_33:                             ;   in Loop: Header=BB237_24 Depth=2
	v_lshlrev_b64 v[30:31], 3, v[30:31]
	v_mov_b32_e32 v32, s92
	v_add_co_u32_e32 v30, vcc, s91, v30
	v_addc_co_u32_e32 v31, vcc, v32, v31, vcc
	global_load_dwordx2 v[30:31], v[30:31], off
	v_mov_b32_e32 v32, s90
	s_waitcnt vmcnt(0)
	v_subrev_co_u32_e32 v30, vcc, s33, v30
	v_subb_co_u32_e32 v31, vcc, v31, v32, vcc
	v_cmp_lt_i64_e32 vcc, v[28:29], v[30:31]
	s_and_saveexec_b64 s[78:79], vcc
	s_cbranch_execz .LBB237_54
; %bb.34:                               ;   in Loop: Header=BB237_24 Depth=2
	v_mad_u64_u32 v[32:33], s[30:31], s60, v28, v[18:19]
	v_mul_lo_u32 v36, s60, v29
	v_mul_lo_u32 v37, s61, v28
	v_mad_u64_u32 v[34:35], s[30:31], s60, v28, v[20:21]
	v_add3_u32 v33, v37, v33, v36
	v_add3_u32 v35, v37, v35, v36
	s_mov_b64 s[80:81], 0
	v_pk_mov_b32 v[36:37], v[28:29], v[28:29] op_sel:[0,1]
	s_branch .LBB237_38
.LBB237_35:                             ;   in Loop: Header=BB237_38 Depth=3
	v_lshlrev_b32_e32 v42, 4, v67
	v_or3_b32 v42, v42, v48, v17
	v_lshlrev_b32_e32 v67, 4, v42
	v_mul_f64 v[42:43], v[40:41], -v[10:11]
	v_fmac_f64_e32 v[42:43], v[6:7], v[38:39]
	v_mul_f64 v[40:41], v[6:7], v[40:41]
	v_fmac_f64_e32 v[40:41], v[10:11], v[38:39]
	ds_add_f64 v67, v[42:43]
	ds_add_f64 v67, v[40:41] offset:8
.LBB237_36:                             ;   in Loop: Header=BB237_38 Depth=3
	s_or_b64 exec, exec, s[86:87]
	s_or_b64 s[82:83], s[82:83], exec
.LBB237_37:                             ;   in Loop: Header=BB237_38 Depth=3
	s_or_b64 exec, exec, s[84:85]
	v_add_co_u32_e32 v36, vcc, 1, v36
	v_addc_co_u32_e32 v37, vcc, 0, v37, vcc
	v_cmp_ge_i64_e32 vcc, v[36:37], v[30:31]
	s_xor_b64 s[30:31], s[82:83], -1
	s_or_b64 s[30:31], s[30:31], vcc
	v_mov_b32_e32 v38, s61
	v_add_co_u32_e32 v32, vcc, s60, v32
	v_addc_co_u32_e32 v33, vcc, v33, v38, vcc
	s_and_b64 s[30:31], exec, s[30:31]
	v_add_co_u32_e32 v34, vcc, s60, v34
	s_or_b64 s[80:81], s[30:31], s[80:81]
	v_addc_co_u32_e32 v35, vcc, v35, v38, vcc
	s_andn2_b64 exec, exec, s[80:81]
	s_cbranch_execz .LBB237_53
.LBB237_38:                             ;   Parent Loop BB237_15 Depth=1
                                        ;     Parent Loop BB237_24 Depth=2
                                        ; =>    This Loop Header: Depth=3
                                        ;         Child Loop BB237_47 Depth 4
                                        ;         Child Loop BB237_52 Depth 4
	v_lshlrev_b64 v[38:39], 2, v[36:37]
	v_mov_b32_e32 v40, s51
	v_add_co_u32_e32 v38, vcc, s50, v38
	v_addc_co_u32_e32 v39, vcc, v40, v39, vcc
	global_load_dword v38, v[38:39], off
                                        ; implicit-def: $sgpr82_sgpr83
	s_waitcnt vmcnt(0)
	v_subrev_u32_e32 v38, s53, v38
	v_cmp_gt_i32_e64 s[30:31], s43, v38
	v_cmp_ge_i32_e32 vcc, v38, v0
	s_or_b64 s[30:31], s[30:31], vcc
	s_and_saveexec_b64 s[84:85], s[30:31]
	s_xor_b64 s[30:31], exec, s[84:85]
	s_cbranch_execz .LBB237_42
; %bb.39:                               ;   in Loop: Header=BB237_38 Depth=3
	s_mov_b64 s[82:83], -1
	s_and_saveexec_b64 s[84:85], vcc
; %bb.40:                               ;   in Loop: Header=BB237_38 Depth=3
	v_min_i32_e32 v15, v38, v15
	s_xor_b64 s[82:83], exec, -1
	v_pk_mov_b32 v[28:29], v[36:37], v[36:37] op_sel:[0,1]
; %bb.41:                               ;   in Loop: Header=BB237_38 Depth=3
	s_or_b64 exec, exec, s[84:85]
	s_and_b64 s[82:83], s[82:83], exec
                                        ; implicit-def: $vgpr38
.LBB237_42:                             ;   in Loop: Header=BB237_38 Depth=3
	s_andn2_saveexec_b64 s[84:85], s[30:31]
	s_cbranch_execz .LBB237_37
; %bb.43:                               ;   in Loop: Header=BB237_38 Depth=3
	v_subrev_u32_e32 v67, s43, v38
	v_lshlrev_b32_e32 v38, 2, v67
	ds_write_b32 v38, v65 offset:20480
	s_and_saveexec_b64 s[86:87], s[8:9]
	s_cbranch_execz .LBB237_36
; %bb.44:                               ;   in Loop: Header=BB237_38 Depth=3
	s_andn2_b64 vcc, exec, s[46:47]
	v_cmp_ne_u32_e64 s[30:31], 1, v66
	s_cbranch_vccnz .LBB237_49
; %bb.45:                               ;   in Loop: Header=BB237_38 Depth=3
	v_pk_mov_b32 v[38:39], 0, 0
	s_mov_b64 s[88:89], 0
	s_and_b64 vcc, exec, s[30:31]
	v_pk_mov_b32 v[40:41], v[38:39], v[38:39] op_sel:[0,1]
	s_cbranch_vccnz .LBB237_48
; %bb.46:                               ;   in Loop: Header=BB237_38 Depth=3
	v_pk_mov_b32 v[38:39], 0, 0
	v_pk_mov_b32 v[42:43], v[32:33], v[32:33] op_sel:[0,1]
	s_mov_b32 s95, s58
	v_mov_b32_e32 v68, v60
	v_pk_mov_b32 v[40:41], v[38:39], v[38:39] op_sel:[0,1]
.LBB237_47:                             ;   Parent Loop BB237_15 Depth=1
                                        ;     Parent Loop BB237_24 Depth=2
                                        ;       Parent Loop BB237_38 Depth=3
                                        ; =>      This Inner Loop Header: Depth=4
	global_load_dwordx4 v[70:73], v[42:43], off offset:-8
	ds_read_b128 v[74:77], v68
	s_add_i32 s95, s95, -1
	v_add_co_u32_e32 v42, vcc, 16, v42
	v_add_u32_e32 v68, 64, v68
	v_addc_co_u32_e32 v43, vcc, 0, v43, vcc
	s_cmp_lg_u32 s95, 0
	s_waitcnt vmcnt(0) lgkmcnt(0)
	v_fmac_f64_e32 v[38:39], v[74:75], v[70:71]
	v_fmac_f64_e32 v[40:41], v[76:77], v[70:71]
	v_fma_f64 v[38:39], -v[76:77], v[72:73], v[38:39]
	v_fmac_f64_e32 v[40:41], v[74:75], v[72:73]
	s_cbranch_scc1 .LBB237_47
.LBB237_48:                             ;   in Loop: Header=BB237_38 Depth=3
	s_andn2_b64 vcc, exec, s[88:89]
	s_cbranch_vccnz .LBB237_35
	s_branch .LBB237_50
.LBB237_49:                             ;   in Loop: Header=BB237_38 Depth=3
                                        ; implicit-def: $vgpr38_vgpr39
                                        ; implicit-def: $vgpr40_vgpr41
.LBB237_50:                             ;   in Loop: Header=BB237_38 Depth=3
	v_pk_mov_b32 v[38:39], 0, 0
	s_and_b64 vcc, exec, s[30:31]
	v_pk_mov_b32 v[40:41], v[38:39], v[38:39] op_sel:[0,1]
	s_cbranch_vccnz .LBB237_35
; %bb.51:                               ;   in Loop: Header=BB237_38 Depth=3
	v_pk_mov_b32 v[38:39], 0, 0
	v_mov_b32_e32 v68, v61
	v_pk_mov_b32 v[42:43], v[34:35], v[34:35] op_sel:[0,1]
	s_mov_b32 s30, s58
	v_pk_mov_b32 v[40:41], v[38:39], v[38:39] op_sel:[0,1]
.LBB237_52:                             ;   Parent Loop BB237_15 Depth=1
                                        ;     Parent Loop BB237_24 Depth=2
                                        ;       Parent Loop BB237_38 Depth=3
                                        ; =>      This Inner Loop Header: Depth=4
	global_load_dwordx4 v[70:73], v[42:43], off offset:-8
	ds_read_b128 v[74:77], v68
	s_add_i32 s30, s30, -1
	v_mov_b32_e32 v69, s63
	v_add_co_u32_e32 v42, vcc, s62, v42
	v_add_u32_e32 v68, 16, v68
	v_addc_co_u32_e32 v43, vcc, v43, v69, vcc
	s_cmp_eq_u32 s30, 0
	s_waitcnt vmcnt(0) lgkmcnt(0)
	v_fmac_f64_e32 v[38:39], v[74:75], v[70:71]
	v_fmac_f64_e32 v[40:41], v[76:77], v[70:71]
	v_fma_f64 v[38:39], -v[76:77], v[72:73], v[38:39]
	v_fmac_f64_e32 v[40:41], v[74:75], v[72:73]
	s_cbranch_scc0 .LBB237_52
	s_branch .LBB237_35
.LBB237_53:                             ;   in Loop: Header=BB237_24 Depth=2
	s_or_b64 exec, exec, s[80:81]
.LBB237_54:                             ;   in Loop: Header=BB237_24 Depth=2
	s_or_b64 exec, exec, s[78:79]
.LBB237_55:                             ;   in Loop: Header=BB237_24 Depth=2
	s_or_b64 exec, exec, s[76:77]
	s_waitcnt lgkmcnt(0)
	s_barrier
	s_and_saveexec_b64 s[30:31], s[28:29]
	s_cbranch_execz .LBB237_23
; %bb.56:                               ;   in Loop: Header=BB237_24 Depth=2
	v_lshlrev_b64 v[26:27], 3, v[26:27]
	v_mov_b32_e32 v30, s69
	v_add_co_u32_e32 v26, vcc, s68, v26
	v_addc_co_u32_e32 v27, vcc, v30, v27, vcc
	global_store_dwordx2 v[26:27], v[28:29], off
	s_branch .LBB237_23
.LBB237_57:                             ;   in Loop: Header=BB237_24 Depth=2
                                        ; implicit-def: $vgpr28_vgpr29
	s_branch .LBB237_32
.LBB237_58:                             ;   in Loop: Header=BB237_15 Depth=1
	s_andn2_b64 vcc, exec, s[34:35]
	s_cbranch_vccnz .LBB237_70
; %bb.59:                               ;   in Loop: Header=BB237_15 Depth=1
	s_load_dwordx4 s[28:31], s[36:37], 0x0
	s_waitcnt lgkmcnt(0)
	s_sub_u32 s72, s30, s56
	v_mov_b32_e32 v26, s29
	v_add_co_u32_e32 v30, vcc, s28, v49
	s_subb_u32 s73, s31, 0
	v_addc_co_u32_e32 v31, vcc, v26, v50, vcc
	v_cmp_gt_i64_e32 vcc, s[72:73], v[30:31]
	s_and_saveexec_b64 s[74:75], vcc
	s_cbranch_execz .LBB237_69
; %bb.60:                               ;   in Loop: Header=BB237_15 Depth=1
	v_lshlrev_b64 v[26:27], 2, v[30:31]
	v_mov_b32_e32 v28, s39
	v_add_co_u32_e32 v26, vcc, s38, v26
	v_addc_co_u32_e32 v27, vcc, v28, v27, vcc
	v_mad_u64_u32 v[28:29], s[30:31], s60, v30, v[22:23]
	v_mul_lo_u32 v31, s60, v31
	v_mul_lo_u32 v30, s61, v30
	v_add3_u32 v29, v30, v29, v31
	v_mov_b32_e32 v31, s29
	v_add_co_u32_e32 v30, vcc, s28, v62
	v_addc_co_u32_e32 v31, vcc, v63, v31, vcc
	s_mov_b64 s[76:77], 0
	s_branch .LBB237_63
.LBB237_61:                             ;   in Loop: Header=BB237_63 Depth=2
	s_or_b64 exec, exec, s[78:79]
	s_or_b64 s[28:29], s[28:29], exec
.LBB237_62:                             ;   in Loop: Header=BB237_63 Depth=2
	s_or_b64 exec, exec, s[30:31]
	v_cmp_le_i64_e32 vcc, s[72:73], v[30:31]
	s_xor_b64 s[28:29], s[28:29], -1
	s_or_b64 s[28:29], s[28:29], vcc
	v_add_co_u32_e32 v26, vcc, 64, v26
	v_addc_co_u32_e32 v27, vcc, 0, v27, vcc
	v_mov_b32_e32 v32, s71
	v_add_co_u32_e32 v28, vcc, s70, v28
	v_addc_co_u32_e32 v29, vcc, v29, v32, vcc
	s_and_b64 s[28:29], exec, s[28:29]
	v_add_co_u32_e32 v30, vcc, 16, v30
	s_or_b64 s[76:77], s[28:29], s[76:77]
	v_addc_co_u32_e32 v31, vcc, 0, v31, vcc
	s_andn2_b64 exec, exec, s[76:77]
	s_cbranch_execz .LBB237_68
.LBB237_63:                             ;   Parent Loop BB237_15 Depth=1
                                        ; =>  This Inner Loop Header: Depth=2
	global_load_dword v32, v[26:27], off
	s_waitcnt vmcnt(0)
	v_subrev_u32_e32 v32, s55, v32
	v_cmp_gt_i32_e64 s[28:29], s43, v32
	v_cmp_ge_i32_e64 s[30:31], v32, v0
	v_cmp_lt_i32_e32 vcc, v32, v0
	s_or_b64 s[30:31], s[28:29], s[30:31]
                                        ; implicit-def: $sgpr28_sgpr29
	s_and_saveexec_b64 s[78:79], s[30:31]
	s_xor_b64 s[30:31], exec, s[78:79]
; %bb.64:                               ;   in Loop: Header=BB237_63 Depth=2
	v_min_i32_e32 v32, v32, v15
	v_cndmask_b32_e32 v15, v32, v15, vcc
	s_and_b64 s[28:29], vcc, exec
                                        ; implicit-def: $vgpr32
; %bb.65:                               ;   in Loop: Header=BB237_63 Depth=2
	s_andn2_saveexec_b64 s[30:31], s[30:31]
	s_cbranch_execz .LBB237_62
; %bb.66:                               ;   in Loop: Header=BB237_63 Depth=2
	v_subrev_u32_e32 v32, s43, v32
	v_lshlrev_b32_e32 v33, 2, v32
	ds_write_b32 v33, v65 offset:20480
	s_and_saveexec_b64 s[78:79], s[8:9]
	s_cbranch_execz .LBB237_61
; %bb.67:                               ;   in Loop: Header=BB237_63 Depth=2
	global_load_dwordx4 v[34:37], v[28:29], off offset:-8
	v_lshlrev_b32_e32 v32, 4, v32
	v_or3_b32 v38, v32, v48, v17
	s_waitcnt vmcnt(0)
	v_mul_f64 v[32:33], v[36:37], -v[8:9]
	v_mul_f64 v[36:37], v[12:13], v[36:37]
	v_fmac_f64_e32 v[32:33], v[12:13], v[34:35]
	v_fmac_f64_e32 v[36:37], v[8:9], v[34:35]
	v_lshlrev_b32_e32 v34, 4, v38
	ds_add_f64 v34, v[32:33]
	ds_add_f64 v34, v[36:37] offset:8
	s_branch .LBB237_61
.LBB237_68:                             ;   in Loop: Header=BB237_15 Depth=1
	s_or_b64 exec, exec, s[76:77]
.LBB237_69:                             ;   in Loop: Header=BB237_15 Depth=1
	s_or_b64 exec, exec, s[74:75]
.LBB237_70:                             ;   in Loop: Header=BB237_15 Depth=1
	s_and_saveexec_b64 s[28:29], s[12:13]
	s_cbranch_execz .LBB237_75
; %bb.71:                               ;   in Loop: Header=BB237_15 Depth=1
	s_mov_b64 s[30:31], exec
	s_brev_b32 s72, -2
.LBB237_72:                             ;   Parent Loop BB237_15 Depth=1
                                        ; =>  This Inner Loop Header: Depth=2
	s_ff1_i32_b64 s73, s[30:31]
	v_readlane_b32 s76, v15, s73
	s_lshl_b64 s[74:75], 1, s73
	s_min_i32 s72, s72, s76
	s_andn2_b64 s[30:31], s[30:31], s[74:75]
	s_cmp_lg_u64 s[30:31], 0
	s_cbranch_scc1 .LBB237_72
; %bb.73:                               ;   in Loop: Header=BB237_15 Depth=1
	v_mbcnt_lo_u32_b32 v0, exec_lo, 0
	v_mbcnt_hi_u32_b32 v0, exec_hi, v0
	v_cmp_eq_u32_e32 vcc, 0, v0
	s_and_saveexec_b64 s[30:31], vcc
	s_xor_b64 s[30:31], exec, s[30:31]
	s_cbranch_execz .LBB237_75
; %bb.74:                               ;   in Loop: Header=BB237_15 Depth=1
	v_mov_b32_e32 v0, s72
	ds_min_i32 v2, v0 offset:20736
.LBB237_75:                             ;   in Loop: Header=BB237_15 Depth=1
	s_or_b64 exec, exec, s[28:29]
	s_waitcnt lgkmcnt(0)
	s_barrier
	ds_read_b32 v0, v51
	s_waitcnt lgkmcnt(0)
	s_barrier
	s_and_saveexec_b64 s[28:29], s[16:17]
	s_cbranch_execz .LBB237_77
; %bb.76:                               ;   in Loop: Header=BB237_15 Depth=1
	ds_read_b32 v15, v52
	s_waitcnt lgkmcnt(0)
	v_add_u32_e32 v0, v15, v0
.LBB237_77:                             ;   in Loop: Header=BB237_15 Depth=1
	s_or_b64 exec, exec, s[28:29]
	s_barrier
	ds_write_b32 v51, v0
	s_waitcnt lgkmcnt(0)
	s_barrier
	s_and_saveexec_b64 s[28:29], s[18:19]
	s_cbranch_execz .LBB237_79
; %bb.78:                               ;   in Loop: Header=BB237_15 Depth=1
	ds_read_b32 v15, v54
	s_waitcnt lgkmcnt(0)
	v_add_u32_e32 v0, v15, v0
.LBB237_79:                             ;   in Loop: Header=BB237_15 Depth=1
	s_or_b64 exec, exec, s[28:29]
	s_barrier
	ds_write_b32 v51, v0
	s_waitcnt lgkmcnt(0)
	s_barrier
	s_and_saveexec_b64 s[28:29], s[20:21]
	s_cbranch_execz .LBB237_81
; %bb.80:                               ;   in Loop: Header=BB237_15 Depth=1
	ds_read_b32 v15, v55
	s_waitcnt lgkmcnt(0)
	v_add_u32_e32 v0, v15, v0
.LBB237_81:                             ;   in Loop: Header=BB237_15 Depth=1
	s_or_b64 exec, exec, s[28:29]
	s_barrier
	ds_write_b32 v51, v0
	s_waitcnt lgkmcnt(0)
	s_barrier
	s_and_saveexec_b64 s[28:29], s[22:23]
	s_cbranch_execz .LBB237_83
; %bb.82:                               ;   in Loop: Header=BB237_15 Depth=1
	ds_read_b32 v15, v56
	s_waitcnt lgkmcnt(0)
	v_add_u32_e32 v0, v15, v0
.LBB237_83:                             ;   in Loop: Header=BB237_15 Depth=1
	s_or_b64 exec, exec, s[28:29]
	s_barrier
	ds_write_b32 v51, v0
	s_waitcnt lgkmcnt(0)
	s_barrier
	s_and_saveexec_b64 s[28:29], s[24:25]
	s_cbranch_execz .LBB237_85
; %bb.84:                               ;   in Loop: Header=BB237_15 Depth=1
	ds_read_b32 v15, v57
	s_waitcnt lgkmcnt(0)
	v_add_u32_e32 v0, v15, v0
.LBB237_85:                             ;   in Loop: Header=BB237_15 Depth=1
	s_or_b64 exec, exec, s[28:29]
	s_barrier
	ds_write_b32 v51, v0
	s_waitcnt lgkmcnt(0)
	s_barrier
	s_and_saveexec_b64 s[28:29], s[26:27]
	s_cbranch_execz .LBB237_87
; %bb.86:                               ;   in Loop: Header=BB237_15 Depth=1
	ds_read_b32 v15, v58
	s_waitcnt lgkmcnt(0)
	v_add_u32_e32 v0, v15, v0
.LBB237_87:                             ;   in Loop: Header=BB237_15 Depth=1
	s_or_b64 exec, exec, s[28:29]
	s_barrier
	ds_write_b32 v51, v0
	s_waitcnt lgkmcnt(0)
	s_barrier
	ds_read_b32 v26, v2 offset:20732
	v_mov_b32_e32 v15, 0
	s_and_saveexec_b64 s[28:29], s[14:15]
	s_cbranch_execz .LBB237_89
; %bb.88:                               ;   in Loop: Header=BB237_15 Depth=1
	ds_read_b32 v15, v52
.LBB237_89:                             ;   in Loop: Header=BB237_15 Depth=1
	s_or_b64 exec, exec, s[28:29]
	s_waitcnt lgkmcnt(0)
	v_cmp_eq_u32_e32 vcc, v0, v15
	s_and_b64 s[30:31], s[14:15], vcc
	s_barrier
	s_and_saveexec_b64 s[28:29], s[30:31]
	s_cbranch_execz .LBB237_91
; %bb.90:                               ;   in Loop: Header=BB237_15 Depth=1
	ds_write_b32 v51, v2
.LBB237_91:                             ;   in Loop: Header=BB237_15 Depth=1
	s_or_b64 exec, exec, s[28:29]
	v_add_co_u32_e32 v27, vcc, -1, v24
	v_addc_co_u32_e32 v28, vcc, -1, v25, vcc
	s_add_i32 s43, s54, s43
	s_mov_b64 s[28:29], 0
	v_mov_b32_e32 v29, v64
	v_mov_b32_e32 v30, v44
	v_mov_b32_e32 v31, v14
	s_waitcnt lgkmcnt(0)
	s_barrier
	s_branch .LBB237_93
.LBB237_92:                             ;   in Loop: Header=BB237_93 Depth=2
	s_or_b64 exec, exec, s[30:31]
	v_add_u32_e32 v0, 16, v31
	v_cmp_lt_u32_e32 vcc, 47, v31
	v_add_u32_e32 v30, 0x1000, v30
	v_add_u32_e32 v29, 64, v29
	s_or_b64 s[28:29], vcc, s[28:29]
	v_mov_b32_e32 v31, v0
	s_andn2_b64 exec, exec, s[28:29]
	s_cbranch_execz .LBB237_14
.LBB237_93:                             ;   Parent Loop BB237_15 Depth=1
                                        ; =>  This Inner Loop Header: Depth=2
	ds_read_b32 v0, v29
	s_waitcnt lgkmcnt(0)
	v_cmp_ne_u32_e32 vcc, 0, v0
	s_and_saveexec_b64 s[30:31], vcc
	s_cbranch_execz .LBB237_92
; %bb.94:                               ;   in Loop: Header=BB237_93 Depth=2
	v_ashrrev_i32_e32 v15, 31, v0
	v_add_co_u32_e32 v32, vcc, v24, v0
	v_addc_co_u32_e32 v33, vcc, v25, v15, vcc
	v_lshlrev_b64 v[32:33], 2, v[32:33]
	v_mov_b32_e32 v35, s94
	v_add_co_u32_e32 v32, vcc, s93, v32
	v_add_u32_e32 v34, s43, v31
	v_addc_co_u32_e32 v33, vcc, v35, v33, vcc
	global_store_dword v[32:33], v34, off
	s_and_b64 exec, exec, s[8:9]
	s_cbranch_execz .LBB237_92
; %bb.95:                               ;   in Loop: Header=BB237_93 Depth=2
	v_add_co_u32_e32 v0, vcc, v27, v0
	v_mad_u64_u32 v[32:33], s[72:73], v0, s42, 0
	v_addc_co_u32_e32 v15, vcc, v28, v15, vcc
	v_mov_b32_e32 v0, v33
	v_mad_u64_u32 v[34:35], s[72:73], v15, s42, v[0:1]
	v_mov_b32_e32 v33, v34
	v_lshlrev_b64 v[36:37], 4, v[32:33]
	ds_read2_b64 v[32:35], v30 offset1:1
	v_add_co_u32_e32 v36, vcc, v16, v36
	v_addc_co_u32_e32 v37, vcc, v1, v37, vcc
	s_waitcnt lgkmcnt(0)
	global_store_dwordx4 v[36:37], v[32:35], off
	s_branch .LBB237_92
.LBB237_96:
	s_endpgm
	.section	.rodata,"a",@progbits
	.p2align	6, 0x0
	.amdhsa_kernel _ZN9rocsparseL38bsrgemm_block_per_row_atomic_multipassILj256ELj64ELj4Eli21rocsparse_complex_numIdEEEv20rocsparse_direction_T3_S4_PKS4_S6_NS_24const_host_device_scalarIT4_EEPKT2_S6_PKS8_SC_S6_SE_S9_SC_S6_SE_SC_PS4_PS8_PSA_21rocsparse_index_base_SI_SI_SI_bbb
		.amdhsa_group_segment_fixed_size 20744
		.amdhsa_private_segment_fixed_size 24
		.amdhsa_kernarg_size 188
		.amdhsa_user_sgpr_count 8
		.amdhsa_user_sgpr_private_segment_buffer 1
		.amdhsa_user_sgpr_dispatch_ptr 0
		.amdhsa_user_sgpr_queue_ptr 0
		.amdhsa_user_sgpr_kernarg_segment_ptr 1
		.amdhsa_user_sgpr_dispatch_id 0
		.amdhsa_user_sgpr_flat_scratch_init 1
		.amdhsa_user_sgpr_kernarg_preload_length 0
		.amdhsa_user_sgpr_kernarg_preload_offset 0
		.amdhsa_user_sgpr_private_segment_size 0
		.amdhsa_uses_dynamic_stack 0
		.amdhsa_system_sgpr_private_segment_wavefront_offset 1
		.amdhsa_system_sgpr_workgroup_id_x 1
		.amdhsa_system_sgpr_workgroup_id_y 0
		.amdhsa_system_sgpr_workgroup_id_z 0
		.amdhsa_system_sgpr_workgroup_info 0
		.amdhsa_system_vgpr_workitem_id 0
		.amdhsa_next_free_vgpr 78
		.amdhsa_next_free_sgpr 96
		.amdhsa_accum_offset 80
		.amdhsa_reserve_vcc 1
		.amdhsa_reserve_flat_scratch 1
		.amdhsa_float_round_mode_32 0
		.amdhsa_float_round_mode_16_64 0
		.amdhsa_float_denorm_mode_32 3
		.amdhsa_float_denorm_mode_16_64 3
		.amdhsa_dx10_clamp 1
		.amdhsa_ieee_mode 1
		.amdhsa_fp16_overflow 0
		.amdhsa_tg_split 0
		.amdhsa_exception_fp_ieee_invalid_op 0
		.amdhsa_exception_fp_denorm_src 0
		.amdhsa_exception_fp_ieee_div_zero 0
		.amdhsa_exception_fp_ieee_overflow 0
		.amdhsa_exception_fp_ieee_underflow 0
		.amdhsa_exception_fp_ieee_inexact 0
		.amdhsa_exception_int_div_zero 0
	.end_amdhsa_kernel
	.section	.text._ZN9rocsparseL38bsrgemm_block_per_row_atomic_multipassILj256ELj64ELj4Eli21rocsparse_complex_numIdEEEv20rocsparse_direction_T3_S4_PKS4_S6_NS_24const_host_device_scalarIT4_EEPKT2_S6_PKS8_SC_S6_SE_S9_SC_S6_SE_SC_PS4_PS8_PSA_21rocsparse_index_base_SI_SI_SI_bbb,"axG",@progbits,_ZN9rocsparseL38bsrgemm_block_per_row_atomic_multipassILj256ELj64ELj4Eli21rocsparse_complex_numIdEEEv20rocsparse_direction_T3_S4_PKS4_S6_NS_24const_host_device_scalarIT4_EEPKT2_S6_PKS8_SC_S6_SE_S9_SC_S6_SE_SC_PS4_PS8_PSA_21rocsparse_index_base_SI_SI_SI_bbb,comdat
.Lfunc_end237:
	.size	_ZN9rocsparseL38bsrgemm_block_per_row_atomic_multipassILj256ELj64ELj4Eli21rocsparse_complex_numIdEEEv20rocsparse_direction_T3_S4_PKS4_S6_NS_24const_host_device_scalarIT4_EEPKT2_S6_PKS8_SC_S6_SE_S9_SC_S6_SE_SC_PS4_PS8_PSA_21rocsparse_index_base_SI_SI_SI_bbb, .Lfunc_end237-_ZN9rocsparseL38bsrgemm_block_per_row_atomic_multipassILj256ELj64ELj4Eli21rocsparse_complex_numIdEEEv20rocsparse_direction_T3_S4_PKS4_S6_NS_24const_host_device_scalarIT4_EEPKT2_S6_PKS8_SC_S6_SE_S9_SC_S6_SE_SC_PS4_PS8_PSA_21rocsparse_index_base_SI_SI_SI_bbb
                                        ; -- End function
	.section	.AMDGPU.csdata,"",@progbits
; Kernel info:
; codeLenInByte = 3692
; NumSgprs: 102
; NumVgprs: 78
; NumAgprs: 0
; TotalNumVgprs: 78
; ScratchSize: 24
; MemoryBound: 0
; FloatMode: 240
; IeeeMode: 1
; LDSByteSize: 20744 bytes/workgroup (compile time only)
; SGPRBlocks: 12
; VGPRBlocks: 9
; NumSGPRsForWavesPerEU: 102
; NumVGPRsForWavesPerEU: 78
; AccumOffset: 80
; Occupancy: 3
; WaveLimiterHint : 1
; COMPUTE_PGM_RSRC2:SCRATCH_EN: 1
; COMPUTE_PGM_RSRC2:USER_SGPR: 8
; COMPUTE_PGM_RSRC2:TRAP_HANDLER: 0
; COMPUTE_PGM_RSRC2:TGID_X_EN: 1
; COMPUTE_PGM_RSRC2:TGID_Y_EN: 0
; COMPUTE_PGM_RSRC2:TGID_Z_EN: 0
; COMPUTE_PGM_RSRC2:TIDIG_COMP_CNT: 0
; COMPUTE_PGM_RSRC3_GFX90A:ACCUM_OFFSET: 19
; COMPUTE_PGM_RSRC3_GFX90A:TG_SPLIT: 0
	.section	.text._ZN9rocsparseL38bsrgemm_block_per_row_atomic_multipassILj256ELj128ELj4Eli21rocsparse_complex_numIdEEEv20rocsparse_direction_T3_S4_PKS4_S6_NS_24const_host_device_scalarIT4_EEPKT2_S6_PKS8_SC_S6_SE_S9_SC_S6_SE_SC_PS4_PS8_PSA_21rocsparse_index_base_SI_SI_SI_bbb,"axG",@progbits,_ZN9rocsparseL38bsrgemm_block_per_row_atomic_multipassILj256ELj128ELj4Eli21rocsparse_complex_numIdEEEv20rocsparse_direction_T3_S4_PKS4_S6_NS_24const_host_device_scalarIT4_EEPKT2_S6_PKS8_SC_S6_SE_S9_SC_S6_SE_SC_PS4_PS8_PSA_21rocsparse_index_base_SI_SI_SI_bbb,comdat
	.globl	_ZN9rocsparseL38bsrgemm_block_per_row_atomic_multipassILj256ELj128ELj4Eli21rocsparse_complex_numIdEEEv20rocsparse_direction_T3_S4_PKS4_S6_NS_24const_host_device_scalarIT4_EEPKT2_S6_PKS8_SC_S6_SE_S9_SC_S6_SE_SC_PS4_PS8_PSA_21rocsparse_index_base_SI_SI_SI_bbb ; -- Begin function _ZN9rocsparseL38bsrgemm_block_per_row_atomic_multipassILj256ELj128ELj4Eli21rocsparse_complex_numIdEEEv20rocsparse_direction_T3_S4_PKS4_S6_NS_24const_host_device_scalarIT4_EEPKT2_S6_PKS8_SC_S6_SE_S9_SC_S6_SE_SC_PS4_PS8_PSA_21rocsparse_index_base_SI_SI_SI_bbb
	.p2align	8
	.type	_ZN9rocsparseL38bsrgemm_block_per_row_atomic_multipassILj256ELj128ELj4Eli21rocsparse_complex_numIdEEEv20rocsparse_direction_T3_S4_PKS4_S6_NS_24const_host_device_scalarIT4_EEPKT2_S6_PKS8_SC_S6_SE_S9_SC_S6_SE_SC_PS4_PS8_PSA_21rocsparse_index_base_SI_SI_SI_bbb,@function
_ZN9rocsparseL38bsrgemm_block_per_row_atomic_multipassILj256ELj128ELj4Eli21rocsparse_complex_numIdEEEv20rocsparse_direction_T3_S4_PKS4_S6_NS_24const_host_device_scalarIT4_EEPKT2_S6_PKS8_SC_S6_SE_S9_SC_S6_SE_SC_PS4_PS8_PSA_21rocsparse_index_base_SI_SI_SI_bbb: ; @_ZN9rocsparseL38bsrgemm_block_per_row_atomic_multipassILj256ELj128ELj4Eli21rocsparse_complex_numIdEEEv20rocsparse_direction_T3_S4_PKS4_S6_NS_24const_host_device_scalarIT4_EEPKT2_S6_PKS8_SC_S6_SE_S9_SC_S6_SE_SC_PS4_PS8_PSA_21rocsparse_index_base_SI_SI_SI_bbb
; %bb.0:
	s_load_dword s9, s[6:7], 0xb8
	s_load_dwordx4 s[52:55], s[6:7], 0xa8
	s_load_dwordx2 s[2:3], s[4:5], 0x4
	s_load_dwordx4 s[16:19], s[6:7], 0x20
	s_load_dwordx4 s[12:15], s[6:7], 0x60
	v_and_b32_e32 v1, 0x3ff, v0
	s_waitcnt lgkmcnt(0)
	s_bitcmp1_b32 s9, 0
	s_cselect_b64 s[20:21], -1, 0
	s_bitcmp1_b32 s9, 16
	s_cselect_b64 s[0:1], -1, 0
	s_lshr_b32 s2, s2, 16
	s_mul_i32 s2, s2, s3
	v_mul_lo_u32 v2, s2, v1
	v_bfe_u32 v3, v0, 10, 10
	v_mad_u32_u24 v2, v3, s3, v2
	v_bfe_u32 v0, v0, 20, 10
	v_add_lshl_u32 v0, v2, v0, 3
	v_pk_mov_b32 v[2:3], s[16:17], s[16:17] op_sel:[0,1]
	v_pk_mov_b32 v[4:5], s[12:13], s[12:13] op_sel:[0,1]
	v_add_u32_e32 v6, 8, v0
	s_xor_b64 s[2:3], s[0:1], -1
	ds_write2st64_b64 v6, v[4:5], v[2:3] offset0:73 offset1:77
	v_pk_mov_b32 v[10:11], 0, 0
	v_cndmask_b32_e64 v2, 0, 1, s[2:3]
	s_bitcmp0_b32 s9, 0
	v_cmp_ne_u32_e64 s[2:3], 1, v2
	v_pk_mov_b32 v[8:9], v[10:11], v[10:11] op_sel:[0,1]
	v_pk_mov_b32 v[12:13], v[10:11], v[10:11] op_sel:[0,1]
	s_cbranch_scc1 .LBB238_3
; %bb.1:
	s_mov_b64 s[4:5], src_shared_base
	s_and_b64 s[10:11], s[0:1], exec
	v_add_u32_e32 v2, 0x9a08, v0
	s_cselect_b32 s4, s5, s17
	v_mov_b32_e32 v3, s16
	v_cndmask_b32_e64 v2, v3, v2, s[0:1]
	v_mov_b32_e32 v3, s4
	flat_load_dwordx2 v[8:9], v[2:3]
	s_and_b64 vcc, exec, s[2:3]
	v_pk_mov_b32 v[12:13], s[18:19], s[18:19] op_sel:[0,1]
	s_cbranch_vccnz .LBB238_3
; %bb.2:
	v_pk_mov_b32 v[2:3], s[16:17], s[16:17] op_sel:[0,1]
	flat_load_dwordx2 v[12:13], v[2:3] offset:8
.LBB238_3:
	s_load_dwordx2 s[4:5], s[6:7], 0x18
	s_bitcmp1_b32 s9, 8
	s_cselect_b64 s[34:35], -1, 0
	s_bfe_u32 s9, s9, 0x10008
	s_cmp_eq_u32 s9, 0
	v_pk_mov_b32 v[14:15], v[10:11], v[10:11] op_sel:[0,1]
	s_cbranch_scc1 .LBB238_6
; %bb.4:
	s_mov_b64 s[10:11], src_shared_base
	s_and_b64 s[16:17], s[0:1], exec
	v_add_u32_e32 v0, 0x9208, v0
	s_cselect_b32 s9, s11, s13
	v_mov_b32_e32 v2, s12
	v_cndmask_b32_e64 v2, v2, v0, s[0:1]
	v_mov_b32_e32 v3, s9
	flat_load_dwordx2 v[14:15], v[2:3]
	s_and_b64 vcc, exec, s[2:3]
	v_pk_mov_b32 v[10:11], s[14:15], s[14:15] op_sel:[0,1]
	s_cbranch_vccnz .LBB238_6
; %bb.5:
	v_pk_mov_b32 v[2:3], s[12:13], s[12:13] op_sel:[0,1]
	flat_load_dwordx2 v[10:11], v[2:3] offset:8
.LBB238_6:
	s_load_dwordx2 s[2:3], s[6:7], 0x30
	s_waitcnt lgkmcnt(0)
	s_cmp_eq_u64 s[4:5], 0
	s_cbranch_scc1 .LBB238_8
; %bb.7:
	s_load_dwordx2 s[0:1], s[6:7], 0x10
	s_waitcnt lgkmcnt(0)
	s_load_dword s0, s[0:1], 0x0
	s_mov_b32 s1, 0
	s_waitcnt lgkmcnt(0)
	s_add_i32 s0, s0, s8
	s_lshl_b64 s[0:1], s[0:1], 2
	s_add_u32 s0, s4, s0
	s_addc_u32 s1, s5, s1
	s_load_dword s8, s[0:1], 0x0
.LBB238_8:
	v_cndmask_b32_e64 v0, 0, 1, s[20:21]
	s_mov_b64 s[60:61], 0
	v_cmp_ne_u32_e64 s[0:1], 1, v0
	s_andn2_b64 vcc, exec, s[20:21]
	s_mov_b64 s[62:63], 0
	s_cbranch_vccz .LBB238_11
; %bb.9:
	s_and_b64 vcc, exec, s[0:1]
	s_cbranch_vccz .LBB238_12
.LBB238_10:
	s_load_dwordx4 s[56:59], s[6:7], 0x0
	s_waitcnt lgkmcnt(0)
	s_cmp_lt_i32 s57, 1
	s_cbranch_scc0 .LBB238_13
	s_branch .LBB238_98
.LBB238_11:
	s_waitcnt lgkmcnt(0)
	s_ashr_i32 s9, s8, 31
	s_lshl_b64 s[4:5], s[8:9], 3
	s_add_u32 s4, s2, s4
	s_addc_u32 s5, s3, s5
	s_load_dwordx2 s[4:5], s[4:5], 0x0
	s_waitcnt lgkmcnt(0)
	s_sub_u32 s62, s4, s52
	s_subb_u32 s63, s5, 0
	s_and_b64 vcc, exec, s[0:1]
	s_cbranch_vccnz .LBB238_10
.LBB238_12:
	s_waitcnt lgkmcnt(0)
	s_ashr_i32 s9, s8, 31
	s_lshl_b64 s[0:1], s[8:9], 3
	s_add_u32 s0, s2, s0
	s_addc_u32 s1, s3, s1
	s_load_dwordx2 s[0:1], s[0:1], 0x8
	s_waitcnt lgkmcnt(0)
	s_sub_u32 s60, s0, s52
	s_subb_u32 s61, s1, 0
	s_load_dwordx4 s[56:59], s[6:7], 0x0
	s_waitcnt lgkmcnt(0)
	s_cmp_lt_i32 s57, 1
	s_cbranch_scc1 .LBB238_98
.LBB238_13:
	s_load_dwordx2 s[64:65], s[6:7], 0xa0
	s_load_dwordx4 s[28:31], s[6:7], 0x90
	s_load_dwordx8 s[36:43], s[6:7], 0x70
	s_load_dwordx2 s[68:69], s[6:7], 0x58
	s_load_dwordx8 s[44:51], s[6:7], 0x38
	v_and_b32_e32 v21, 3, v1
	v_bfe_u32 v7, v1, 2, 2
	v_mov_b32_e32 v0, 0
	v_max_i32_e32 v2, v21, v7
	v_cmp_gt_i32_e64 s[4:5], s58, v2
	v_cmp_le_i32_e64 s[6:7], s58, v2
	v_mul_lo_u32 v2, v7, s58
	v_mov_b32_e32 v3, v0
	s_ashr_i32 s9, s8, 31
	v_lshlrev_b64 v[2:3], 4, v[2:3]
	s_lshl_b64 s[10:11], s[8:9], 3
	s_waitcnt lgkmcnt(0)
	v_mov_b32_e32 v4, s47
	v_add_co_u32_e64 v5, s[8:9], s46, v2
	v_addc_co_u32_e64 v4, s[8:9], v4, v3, s[8:9]
	v_lshlrev_b32_e32 v24, 4, v21
	v_add_co_u32_e64 v48, s[8:9], v5, v24
	v_addc_co_u32_e64 v49, s[8:9], 0, v4, s[8:9]
	v_mul_lo_u32 v4, v21, s58
	v_mov_b32_e32 v5, v0
	v_lshlrev_b64 v[4:5], 4, v[4:5]
	v_mov_b32_e32 v17, s31
	v_add_co_u32_e64 v20, s[8:9], s30, v4
	v_lshlrev_b32_e32 v7, 4, v7
	v_addc_co_u32_e64 v22, s[8:9], v17, v5, s[8:9]
	v_add_co_u32_e64 v20, s[8:9], v20, v7
	v_addc_co_u32_e64 v22, s[8:9], 0, v22, s[8:9]
	v_add_co_u32_e64 v23, s[8:9], s30, v2
	;; [unrolled: 2-line block ×3, first 2 shown]
	s_add_u32 s0, s42, s10
	v_lshrrev_b32_e32 v16, 4, v1
	v_addc_co_u32_e64 v17, s[8:9], 0, v17, s[8:9]
	s_addc_u32 s1, s43, s11
	v_subrev_co_u32_e64 v51, s[8:9], s55, v16
	s_load_dwordx2 s[0:1], s[0:1], 0x0
	v_subb_co_u32_e64 v52, s[8:9], 0, 0, s[8:9]
	v_mov_b32_e32 v25, s41
	v_add_co_u32_e64 v26, s[8:9], s40, v4
	v_addc_co_u32_e64 v27, s[8:9], v25, v5, s[8:9]
	v_add_co_u32_e64 v26, s[8:9], v26, v7
	v_addc_co_u32_e64 v27, s[8:9], 0, v27, s[8:9]
	s_waitcnt lgkmcnt(0)
	s_sub_u32 s72, s0, s54
	v_add_co_u32_e64 v2, s[8:9], s40, v2
	s_subb_u32 s73, s1, 0
	v_addc_co_u32_e64 v3, s[8:9], v25, v3, s[8:9]
	s_cmp_eq_u32 s56, 0
	v_add_co_u32_e64 v2, s[8:9], v2, v24
	v_and_b32_e32 v6, 15, v1
	s_movk_i32 s0, 0x80
	s_cselect_b64 s[26:27], -1, 0
	s_cmp_lg_u32 s56, 0
	v_addc_co_u32_e64 v3, s[8:9], 0, v3, s[8:9]
	v_mov_b32_e32 v29, 0x9000
	v_cmp_gt_u32_e64 s[0:1], s0, v1
	v_cmp_eq_u32_e64 s[2:3], 0, v1
	v_pk_mov_b32 v[18:19], s[60:61], s[60:61] op_sel:[0,1]
	v_lshlrev_b32_e32 v46, 4, v1
	s_cselect_b64 s[46:47], -1, 0
	s_cmp_gt_i32 s58, 0
	v_and_b32_e32 v50, 12, v1
	v_cmp_eq_u32_e64 s[8:9], 15, v6
	v_and_b32_e32 v6, 0x7f, v1
	v_lshl_or_b32 v55, v1, 2, v29
	v_cndmask_b32_e64 v17, v22, v17, s[26:27]
	v_cndmask_b32_e64 v20, v20, v23, s[26:27]
	;; [unrolled: 1-line block ×4, first 2 shown]
	v_or_b32_e32 v1, 0x400, v1
	s_movk_i32 s26, 0x700
	v_cmp_lt_i64_e32 vcc, s[62:63], v[18:19]
	s_mov_b32 s59, 0x8000
	s_cselect_b64 s[74:75], -1, 0
	s_add_u32 s36, s36, s10
	v_cmp_gt_u32_e64 s[26:27], s26, v1
	v_lshlrev_b32_e32 v1, 8, v16
	s_addc_u32 s37, s37, s11
	s_and_b64 s[40:41], s[20:21], vcc
	v_or3_b32 v62, v1, v7, s59
	v_mov_b32_e32 v1, s69
	v_add_co_u32_e32 v4, vcc, s68, v4
	v_addc_co_u32_e32 v5, vcc, v5, v1, vcc
	v_add_co_u32_e32 v22, vcc, 8, v4
	v_addc_co_u32_e32 v23, vcc, 0, v5, vcc
	;; [unrolled: 2-line block ×3, first 2 shown]
	v_lshlrev_b32_e32 v25, 2, v6
	s_add_u32 s91, s48, 8
	v_add_co_u32_e32 v24, vcc, 8, v4
	v_or_b32_e32 v53, 0x9000, v25
	v_add_u32_e32 v56, 0x8ff8, v25
	v_add_u32_e32 v57, 0x8ff0, v25
	;; [unrolled: 1-line block ×6, first 2 shown]
	s_addc_u32 s92, s49, 0
	v_addc_co_u32_e32 v25, vcc, 0, v1, vcc
	s_mov_b32 s43, 0
	s_add_u32 s93, s28, -4
	v_add_co_u32_e32 v26, vcc, 8, v2
	s_addc_u32 s94, s29, -1
	s_mov_b32 s59, s43
	v_addc_co_u32_e32 v27, vcc, 0, v3, vcc
	s_mov_b32 s28, s43
	s_mov_b32 s29, s43
	s_mul_i32 s42, s58, s58
	v_add_co_u32_e64 v28, s[10:11], -1, v6
	v_cmp_ne_u32_e64 s[12:13], 0, v6
	v_cmp_lt_u32_e64 s[14:15], 1, v6
	v_cmp_lt_u32_e64 s[16:17], 3, v6
	;; [unrolled: 1-line block ×6, first 2 shown]
	s_lshl_b64 s[68:69], s[58:59], 4
	v_and_b32_e32 v1, 0xfc0, v46
	v_add_co_u32_e32 v64, vcc, 16, v51
	s_mov_b32 s30, s43
	s_mov_b32 s31, s43
	v_pk_mov_b32 v[4:5], s[28:29], s[28:29] op_sel:[0,1]
	v_or_b32_e32 v47, 0x8000, v46
	s_mov_b32 s33, s53
	s_mov_b32 s90, s43
	;; [unrolled: 1-line block ×3, first 2 shown]
	v_lshl_add_u32 v54, v28, 2, v29
	s_lshl_b64 s[66:67], s[42:43], 4
	v_or_b32_e32 v63, 0x8000, v1
	s_lshl_b64 s[70:71], s[42:43], 8
	v_addc_co_u32_e32 v65, vcc, 0, v52, vcc
	v_lshl_or_b32 v66, v16, 2, v29
	v_mov_b32_e32 v70, 0x80
	v_pk_mov_b32 v[28:29], s[72:73], s[72:73] op_sel:[0,1]
	v_pk_mov_b32 v[6:7], s[30:31], s[30:31] op_sel:[0,1]
	v_mov_b32_e32 v67, 1
	v_cndmask_b32_e64 v68, 0, 1, s[74:75]
	v_mov_b32_e32 v69, s69
	s_movk_i32 s59, 0x6f
	s_branch .LBB238_15
.LBB238_14:                             ;   in Loop: Header=BB238_15 Depth=1
	s_or_b64 exec, exec, s[28:29]
	s_barrier
	ds_read_b32 v2, v0 offset:37376
	v_ashrrev_i32_e32 v1, 31, v3
	v_add_co_u32_e32 v28, vcc, v28, v3
	v_addc_co_u32_e32 v29, vcc, v29, v1, vcc
	s_waitcnt lgkmcnt(0)
	v_cmp_le_i32_e32 vcc, s57, v2
	v_readfirstlane_b32 s43, v2
	v_add_u32_e32 v70, 0x80, v2
	s_barrier
	s_cbranch_vccnz .LBB238_98
.LBB238_15:                             ; =>This Loop Header: Depth=1
                                        ;     Child Loop BB238_24 Depth 2
                                        ;       Child Loop BB238_38 Depth 3
                                        ;         Child Loop BB238_47 Depth 4
                                        ;         Child Loop BB238_52 Depth 4
                                        ;     Child Loop BB238_63 Depth 2
                                        ;     Child Loop BB238_72 Depth 2
	;; [unrolled: 1-line block ×3, first 2 shown]
	s_and_saveexec_b64 s[28:29], s[0:1]
	s_cbranch_execz .LBB238_17
; %bb.16:                               ;   in Loop: Header=BB238_15 Depth=1
	ds_write_b32 v55, v0
.LBB238_17:                             ;   in Loop: Header=BB238_15 Depth=1
	s_or_b64 exec, exec, s[28:29]
	ds_write_b128 v46, v[4:7]
	ds_write_b128 v46, v[4:7] offset:4096
	ds_write_b128 v46, v[4:7] offset:8192
	;; [unrolled: 1-line block ×4, first 2 shown]
	s_and_saveexec_b64 s[28:29], s[26:27]
	s_xor_b64 s[28:29], exec, s[28:29]
	s_cbranch_execz .LBB238_19
; %bb.18:                               ;   in Loop: Header=BB238_15 Depth=1
	ds_write_b128 v46, v[4:7] offset:20480
	ds_write_b128 v46, v[4:7] offset:24576
	;; [unrolled: 1-line block ×3, first 2 shown]
.LBB238_19:                             ;   in Loop: Header=BB238_15 Depth=1
	s_or_b64 exec, exec, s[28:29]
	s_and_saveexec_b64 s[28:29], s[2:3]
	s_cbranch_execz .LBB238_21
; %bb.20:                               ;   in Loop: Header=BB238_15 Depth=1
	v_mov_b32_e32 v1, s57
	ds_write_b32 v0, v1 offset:37376
.LBB238_21:                             ;   in Loop: Header=BB238_15 Depth=1
	s_or_b64 exec, exec, s[28:29]
	s_andn2_b64 vcc, exec, s[40:41]
	v_mov_b32_e32 v71, s57
	s_waitcnt lgkmcnt(0)
	s_barrier
	s_cbranch_vccnz .LBB238_58
; %bb.22:                               ;   in Loop: Header=BB238_15 Depth=1
	s_cmp_lg_u32 s43, 0
	s_cselect_b64 s[72:73], -1, 0
	v_mov_b32_e32 v71, s57
	s_mov_b64 s[74:75], s[62:63]
	s_branch .LBB238_24
.LBB238_23:                             ;   in Loop: Header=BB238_24 Depth=2
	s_or_b64 exec, exec, s[30:31]
	s_add_u32 s74, s74, 16
	s_addc_u32 s75, s75, 0
	v_cmp_lt_i64_e32 vcc, s[74:75], v[18:19]
	s_cbranch_vccz .LBB238_58
.LBB238_24:                             ;   Parent Loop BB238_15 Depth=1
                                        ; =>  This Loop Header: Depth=2
                                        ;       Child Loop BB238_38 Depth 3
                                        ;         Child Loop BB238_47 Depth 4
                                        ;         Child Loop BB238_52 Depth 4
	v_mov_b32_e32 v1, s75
	v_add_co_u32_e32 v30, vcc, s74, v16
	v_addc_co_u32_e32 v31, vcc, 0, v1, vcc
	v_cmp_gt_i64_e64 s[28:29], s[60:61], v[30:31]
	s_barrier
	s_and_saveexec_b64 s[30:31], s[28:29]
	s_cbranch_execz .LBB238_29
; %bb.25:                               ;   in Loop: Header=BB238_24 Depth=2
	s_and_saveexec_b64 s[76:77], s[6:7]
	s_xor_b64 s[76:77], exec, s[76:77]
	s_cbranch_execz .LBB238_27
; %bb.26:                               ;   in Loop: Header=BB238_24 Depth=2
	v_mov_b32_e32 v1, v0
	v_mov_b32_e32 v2, v0
	;; [unrolled: 1-line block ×3, first 2 shown]
	ds_write_b128 v47, v[0:3]
.LBB238_27:                             ;   in Loop: Header=BB238_24 Depth=2
	s_andn2_saveexec_b64 s[76:77], s[76:77]
	s_cbranch_execz .LBB238_29
; %bb.28:                               ;   in Loop: Header=BB238_24 Depth=2
	v_mad_u64_u32 v[2:3], s[76:77], v30, s42, 0
	v_mov_b32_e32 v32, v3
	v_mad_u64_u32 v[32:33], s[76:77], v31, s42, v[32:33]
	v_mov_b32_e32 v3, v32
	v_lshlrev_b64 v[2:3], 4, v[2:3]
	v_add_co_u32_e32 v2, vcc, v48, v2
	v_addc_co_u32_e32 v3, vcc, v49, v3, vcc
	global_load_dwordx4 v[32:35], v[2:3], off
	s_waitcnt vmcnt(0)
	ds_write2_b64 v47, v[32:33], v[34:35] offset1:1
.LBB238_29:                             ;   in Loop: Header=BB238_24 Depth=2
	s_or_b64 exec, exec, s[30:31]
	v_pk_mov_b32 v[2:3], 0, 0
	s_waitcnt lgkmcnt(0)
	s_barrier
	s_and_saveexec_b64 s[76:77], s[28:29]
	s_cbranch_execz .LBB238_55
; %bb.30:                               ;   in Loop: Header=BB238_24 Depth=2
	v_lshlrev_b64 v[2:3], 2, v[30:31]
	v_mov_b32_e32 v1, s45
	v_add_co_u32_e32 v2, vcc, s44, v2
	v_addc_co_u32_e32 v3, vcc, v1, v3, vcc
	global_load_dword v1, v[2:3], off
	s_and_b64 vcc, exec, s[72:73]
	s_waitcnt vmcnt(0)
	v_subrev_u32_e32 v32, s52, v1
	v_ashrrev_i32_e32 v33, 31, v32
	s_cbranch_vccz .LBB238_57
; %bb.31:                               ;   in Loop: Header=BB238_24 Depth=2
	v_lshlrev_b64 v[2:3], 3, v[30:31]
	v_mov_b32_e32 v1, s65
	v_add_co_u32_e32 v2, vcc, s64, v2
	v_addc_co_u32_e32 v3, vcc, v1, v3, vcc
	global_load_dwordx2 v[2:3], v[2:3], off
	s_cbranch_execnz .LBB238_33
.LBB238_32:                             ;   in Loop: Header=BB238_24 Depth=2
	s_waitcnt vmcnt(0)
	v_lshlrev_b64 v[2:3], 3, v[32:33]
	v_mov_b32_e32 v1, s49
	v_add_co_u32_e32 v2, vcc, s48, v2
	v_addc_co_u32_e32 v3, vcc, v1, v3, vcc
	global_load_dwordx2 v[2:3], v[2:3], off
	v_mov_b32_e32 v1, s90
	s_waitcnt vmcnt(0)
	v_subrev_co_u32_e32 v2, vcc, s33, v2
	v_subb_co_u32_e32 v3, vcc, v3, v1, vcc
.LBB238_33:                             ;   in Loop: Header=BB238_24 Depth=2
	v_lshlrev_b64 v[32:33], 3, v[32:33]
	v_mov_b32_e32 v1, s92
	v_add_co_u32_e32 v32, vcc, s91, v32
	v_addc_co_u32_e32 v33, vcc, v1, v33, vcc
	global_load_dwordx2 v[32:33], v[32:33], off
	v_mov_b32_e32 v1, s90
	s_waitcnt vmcnt(0)
	v_subrev_co_u32_e32 v32, vcc, s33, v32
	v_subb_co_u32_e32 v33, vcc, v33, v1, vcc
	v_cmp_lt_i64_e32 vcc, v[2:3], v[32:33]
	s_and_saveexec_b64 s[78:79], vcc
	s_cbranch_execz .LBB238_54
; %bb.34:                               ;   in Loop: Header=BB238_24 Depth=2
	v_mad_u64_u32 v[34:35], s[30:31], s66, v2, v[22:23]
	v_mul_lo_u32 v1, s66, v3
	v_mul_lo_u32 v38, s67, v2
	v_mad_u64_u32 v[36:37], s[30:31], s66, v2, v[24:25]
	v_add3_u32 v35, v38, v35, v1
	v_add3_u32 v37, v38, v37, v1
	s_mov_b64 s[80:81], 0
	v_pk_mov_b32 v[38:39], v[2:3], v[2:3] op_sel:[0,1]
	s_branch .LBB238_38
.LBB238_35:                             ;   in Loop: Header=BB238_38 Depth=3
	v_lshlrev_b32_e32 v1, 4, v1
	v_or3_b32 v1, v1, v50, v21
	v_mul_f64 v[44:45], v[42:43], -v[12:13]
	v_lshlrev_b32_e32 v1, 4, v1
	v_fmac_f64_e32 v[44:45], v[8:9], v[40:41]
	v_mul_f64 v[42:43], v[8:9], v[42:43]
	v_fmac_f64_e32 v[42:43], v[12:13], v[40:41]
	ds_add_f64 v1, v[44:45]
	ds_add_f64 v1, v[42:43] offset:8
.LBB238_36:                             ;   in Loop: Header=BB238_38 Depth=3
	s_or_b64 exec, exec, s[86:87]
	s_or_b64 s[82:83], s[82:83], exec
.LBB238_37:                             ;   in Loop: Header=BB238_38 Depth=3
	s_or_b64 exec, exec, s[84:85]
	v_add_co_u32_e32 v38, vcc, 1, v38
	v_addc_co_u32_e32 v39, vcc, 0, v39, vcc
	v_cmp_ge_i64_e32 vcc, v[38:39], v[32:33]
	s_xor_b64 s[30:31], s[82:83], -1
	s_or_b64 s[30:31], s[30:31], vcc
	v_mov_b32_e32 v1, s67
	v_add_co_u32_e32 v34, vcc, s66, v34
	v_addc_co_u32_e32 v35, vcc, v35, v1, vcc
	s_and_b64 s[30:31], exec, s[30:31]
	v_add_co_u32_e32 v36, vcc, s66, v36
	s_or_b64 s[80:81], s[30:31], s[80:81]
	v_addc_co_u32_e32 v37, vcc, v37, v1, vcc
	s_andn2_b64 exec, exec, s[80:81]
	s_cbranch_execz .LBB238_53
.LBB238_38:                             ;   Parent Loop BB238_15 Depth=1
                                        ;     Parent Loop BB238_24 Depth=2
                                        ; =>    This Loop Header: Depth=3
                                        ;         Child Loop BB238_47 Depth 4
                                        ;         Child Loop BB238_52 Depth 4
	v_lshlrev_b64 v[40:41], 2, v[38:39]
	v_mov_b32_e32 v1, s51
	v_add_co_u32_e32 v40, vcc, s50, v40
	v_addc_co_u32_e32 v41, vcc, v1, v41, vcc
	global_load_dword v1, v[40:41], off
                                        ; implicit-def: $sgpr82_sgpr83
	s_waitcnt vmcnt(0)
	v_subrev_u32_e32 v1, s53, v1
	v_cmp_gt_i32_e64 s[30:31], s43, v1
	v_cmp_ge_i32_e32 vcc, v1, v70
	s_or_b64 s[30:31], s[30:31], vcc
	s_and_saveexec_b64 s[84:85], s[30:31]
	s_xor_b64 s[30:31], exec, s[84:85]
	s_cbranch_execz .LBB238_42
; %bb.39:                               ;   in Loop: Header=BB238_38 Depth=3
	s_mov_b64 s[82:83], -1
	s_and_saveexec_b64 s[84:85], vcc
; %bb.40:                               ;   in Loop: Header=BB238_38 Depth=3
	v_min_i32_e32 v71, v1, v71
	s_xor_b64 s[82:83], exec, -1
	v_pk_mov_b32 v[2:3], v[38:39], v[38:39] op_sel:[0,1]
; %bb.41:                               ;   in Loop: Header=BB238_38 Depth=3
	s_or_b64 exec, exec, s[84:85]
	s_and_b64 s[82:83], s[82:83], exec
                                        ; implicit-def: $vgpr1
.LBB238_42:                             ;   in Loop: Header=BB238_38 Depth=3
	s_andn2_saveexec_b64 s[84:85], s[30:31]
	s_cbranch_execz .LBB238_37
; %bb.43:                               ;   in Loop: Header=BB238_38 Depth=3
	v_subrev_u32_e32 v1, s43, v1
	v_lshlrev_b32_e32 v40, 2, v1
	ds_write_b32 v40, v67 offset:36864
	s_and_saveexec_b64 s[86:87], s[4:5]
	s_cbranch_execz .LBB238_36
; %bb.44:                               ;   in Loop: Header=BB238_38 Depth=3
	s_andn2_b64 vcc, exec, s[46:47]
	v_cmp_ne_u32_e64 s[30:31], 1, v68
	s_cbranch_vccnz .LBB238_49
; %bb.45:                               ;   in Loop: Header=BB238_38 Depth=3
	v_pk_mov_b32 v[40:41], 0, 0
	s_mov_b64 s[88:89], 0
	s_and_b64 vcc, exec, s[30:31]
	v_pk_mov_b32 v[42:43], v[40:41], v[40:41] op_sel:[0,1]
	s_cbranch_vccnz .LBB238_48
; %bb.46:                               ;   in Loop: Header=BB238_38 Depth=3
	v_pk_mov_b32 v[40:41], 0, 0
	v_pk_mov_b32 v[44:45], v[34:35], v[34:35] op_sel:[0,1]
	s_mov_b32 s69, s58
	v_mov_b32_e32 v72, v62
	v_pk_mov_b32 v[42:43], v[40:41], v[40:41] op_sel:[0,1]
.LBB238_47:                             ;   Parent Loop BB238_15 Depth=1
                                        ;     Parent Loop BB238_24 Depth=2
                                        ;       Parent Loop BB238_38 Depth=3
                                        ; =>      This Inner Loop Header: Depth=4
	global_load_dwordx4 v[74:77], v[44:45], off offset:-8
	ds_read_b128 v[78:81], v72
	s_add_i32 s69, s69, -1
	v_add_co_u32_e32 v44, vcc, 16, v44
	v_add_u32_e32 v72, 64, v72
	v_addc_co_u32_e32 v45, vcc, 0, v45, vcc
	s_cmp_lg_u32 s69, 0
	s_waitcnt vmcnt(0) lgkmcnt(0)
	v_fmac_f64_e32 v[40:41], v[78:79], v[74:75]
	v_fmac_f64_e32 v[42:43], v[80:81], v[74:75]
	v_fma_f64 v[40:41], -v[80:81], v[76:77], v[40:41]
	v_fmac_f64_e32 v[42:43], v[78:79], v[76:77]
	s_cbranch_scc1 .LBB238_47
.LBB238_48:                             ;   in Loop: Header=BB238_38 Depth=3
	s_andn2_b64 vcc, exec, s[88:89]
	s_cbranch_vccnz .LBB238_35
	s_branch .LBB238_50
.LBB238_49:                             ;   in Loop: Header=BB238_38 Depth=3
                                        ; implicit-def: $vgpr40_vgpr41
                                        ; implicit-def: $vgpr42_vgpr43
.LBB238_50:                             ;   in Loop: Header=BB238_38 Depth=3
	v_pk_mov_b32 v[40:41], 0, 0
	s_and_b64 vcc, exec, s[30:31]
	v_pk_mov_b32 v[42:43], v[40:41], v[40:41] op_sel:[0,1]
	s_cbranch_vccnz .LBB238_35
; %bb.51:                               ;   in Loop: Header=BB238_38 Depth=3
	v_pk_mov_b32 v[40:41], 0, 0
	v_mov_b32_e32 v72, v63
	v_pk_mov_b32 v[44:45], v[36:37], v[36:37] op_sel:[0,1]
	s_mov_b32 s30, s58
	v_pk_mov_b32 v[42:43], v[40:41], v[40:41] op_sel:[0,1]
.LBB238_52:                             ;   Parent Loop BB238_15 Depth=1
                                        ;     Parent Loop BB238_24 Depth=2
                                        ;       Parent Loop BB238_38 Depth=3
                                        ; =>      This Inner Loop Header: Depth=4
	global_load_dwordx4 v[74:77], v[44:45], off offset:-8
	ds_read_b128 v[78:81], v72
	s_add_i32 s30, s30, -1
	v_add_co_u32_e32 v44, vcc, s68, v44
	v_addc_co_u32_e32 v45, vcc, v45, v69, vcc
	v_add_u32_e32 v72, 16, v72
	s_cmp_eq_u32 s30, 0
	s_waitcnt vmcnt(0) lgkmcnt(0)
	v_fmac_f64_e32 v[40:41], v[78:79], v[74:75]
	v_fmac_f64_e32 v[42:43], v[80:81], v[74:75]
	v_fma_f64 v[40:41], -v[80:81], v[76:77], v[40:41]
	v_fmac_f64_e32 v[42:43], v[78:79], v[76:77]
	s_cbranch_scc0 .LBB238_52
	s_branch .LBB238_35
.LBB238_53:                             ;   in Loop: Header=BB238_24 Depth=2
	s_or_b64 exec, exec, s[80:81]
.LBB238_54:                             ;   in Loop: Header=BB238_24 Depth=2
	s_or_b64 exec, exec, s[78:79]
.LBB238_55:                             ;   in Loop: Header=BB238_24 Depth=2
	s_or_b64 exec, exec, s[76:77]
	s_waitcnt lgkmcnt(0)
	s_barrier
	s_and_saveexec_b64 s[30:31], s[28:29]
	s_cbranch_execz .LBB238_23
; %bb.56:                               ;   in Loop: Header=BB238_24 Depth=2
	v_lshlrev_b64 v[30:31], 3, v[30:31]
	v_mov_b32_e32 v1, s65
	v_add_co_u32_e32 v30, vcc, s64, v30
	v_addc_co_u32_e32 v31, vcc, v1, v31, vcc
	global_store_dwordx2 v[30:31], v[2:3], off
	s_branch .LBB238_23
.LBB238_57:                             ;   in Loop: Header=BB238_24 Depth=2
                                        ; implicit-def: $vgpr2_vgpr3
	s_branch .LBB238_32
.LBB238_58:                             ;   in Loop: Header=BB238_15 Depth=1
	s_andn2_b64 vcc, exec, s[34:35]
	s_cbranch_vccnz .LBB238_70
; %bb.59:                               ;   in Loop: Header=BB238_15 Depth=1
	s_load_dwordx4 s[28:31], s[36:37], 0x0
	s_waitcnt lgkmcnt(0)
	s_sub_u32 s72, s30, s56
	v_mov_b32_e32 v1, s29
	v_add_co_u32_e32 v32, vcc, s28, v51
	s_subb_u32 s73, s31, 0
	v_addc_co_u32_e32 v33, vcc, v1, v52, vcc
	v_cmp_gt_i64_e32 vcc, s[72:73], v[32:33]
	s_and_saveexec_b64 s[74:75], vcc
	s_cbranch_execz .LBB238_69
; %bb.60:                               ;   in Loop: Header=BB238_15 Depth=1
	v_lshlrev_b64 v[2:3], 2, v[32:33]
	v_mov_b32_e32 v1, s39
	v_add_co_u32_e32 v2, vcc, s38, v2
	v_addc_co_u32_e32 v3, vcc, v1, v3, vcc
	v_mad_u64_u32 v[30:31], s[30:31], s66, v32, v[26:27]
	v_mul_lo_u32 v1, s66, v33
	v_mul_lo_u32 v32, s67, v32
	v_add3_u32 v31, v32, v31, v1
	v_mov_b32_e32 v1, s29
	v_add_co_u32_e32 v32, vcc, s28, v64
	v_addc_co_u32_e32 v33, vcc, v65, v1, vcc
	s_mov_b64 s[76:77], 0
	s_branch .LBB238_63
.LBB238_61:                             ;   in Loop: Header=BB238_63 Depth=2
	s_or_b64 exec, exec, s[78:79]
	s_or_b64 s[28:29], s[28:29], exec
.LBB238_62:                             ;   in Loop: Header=BB238_63 Depth=2
	s_or_b64 exec, exec, s[30:31]
	v_cmp_le_i64_e32 vcc, s[72:73], v[32:33]
	s_xor_b64 s[28:29], s[28:29], -1
	s_or_b64 s[28:29], s[28:29], vcc
	v_add_co_u32_e32 v2, vcc, 64, v2
	v_addc_co_u32_e32 v3, vcc, 0, v3, vcc
	v_mov_b32_e32 v1, s71
	v_add_co_u32_e32 v30, vcc, s70, v30
	v_addc_co_u32_e32 v31, vcc, v31, v1, vcc
	s_and_b64 s[28:29], exec, s[28:29]
	v_add_co_u32_e32 v32, vcc, 16, v32
	s_or_b64 s[76:77], s[28:29], s[76:77]
	v_addc_co_u32_e32 v33, vcc, 0, v33, vcc
	s_andn2_b64 exec, exec, s[76:77]
	s_cbranch_execz .LBB238_68
.LBB238_63:                             ;   Parent Loop BB238_15 Depth=1
                                        ; =>  This Inner Loop Header: Depth=2
	global_load_dword v1, v[2:3], off
	s_waitcnt vmcnt(0)
	v_subrev_u32_e32 v1, s55, v1
	v_cmp_gt_i32_e64 s[28:29], s43, v1
	v_cmp_ge_i32_e64 s[30:31], v1, v70
	v_cmp_lt_i32_e32 vcc, v1, v70
	s_or_b64 s[30:31], s[28:29], s[30:31]
                                        ; implicit-def: $sgpr28_sgpr29
	s_and_saveexec_b64 s[78:79], s[30:31]
	s_xor_b64 s[30:31], exec, s[78:79]
; %bb.64:                               ;   in Loop: Header=BB238_63 Depth=2
	v_min_i32_e32 v1, v1, v71
	v_cndmask_b32_e32 v71, v1, v71, vcc
	s_and_b64 s[28:29], vcc, exec
                                        ; implicit-def: $vgpr1
; %bb.65:                               ;   in Loop: Header=BB238_63 Depth=2
	s_andn2_saveexec_b64 s[30:31], s[30:31]
	s_cbranch_execz .LBB238_62
; %bb.66:                               ;   in Loop: Header=BB238_63 Depth=2
	v_subrev_u32_e32 v1, s43, v1
	v_lshlrev_b32_e32 v34, 2, v1
	ds_write_b32 v34, v67 offset:36864
	s_and_saveexec_b64 s[78:79], s[4:5]
	s_cbranch_execz .LBB238_61
; %bb.67:                               ;   in Loop: Header=BB238_63 Depth=2
	global_load_dwordx4 v[34:37], v[30:31], off offset:-8
	v_lshlrev_b32_e32 v1, 4, v1
	v_or3_b32 v1, v1, v50, v21
	v_lshlrev_b32_e32 v1, 4, v1
	s_waitcnt vmcnt(0)
	v_mul_f64 v[38:39], v[36:37], -v[10:11]
	v_mul_f64 v[36:37], v[14:15], v[36:37]
	v_fmac_f64_e32 v[38:39], v[14:15], v[34:35]
	v_fmac_f64_e32 v[36:37], v[10:11], v[34:35]
	ds_add_f64 v1, v[38:39]
	ds_add_f64 v1, v[36:37] offset:8
	s_branch .LBB238_61
.LBB238_68:                             ;   in Loop: Header=BB238_15 Depth=1
	s_or_b64 exec, exec, s[76:77]
.LBB238_69:                             ;   in Loop: Header=BB238_15 Depth=1
	s_or_b64 exec, exec, s[74:75]
.LBB238_70:                             ;   in Loop: Header=BB238_15 Depth=1
	s_and_saveexec_b64 s[28:29], s[8:9]
	s_cbranch_execz .LBB238_75
; %bb.71:                               ;   in Loop: Header=BB238_15 Depth=1
	s_mov_b64 s[30:31], exec
	s_brev_b32 s69, -2
.LBB238_72:                             ;   Parent Loop BB238_15 Depth=1
                                        ; =>  This Inner Loop Header: Depth=2
	s_ff1_i32_b64 s72, s[30:31]
	v_readlane_b32 s74, v71, s72
	s_lshl_b64 s[72:73], 1, s72
	s_min_i32 s69, s69, s74
	s_andn2_b64 s[30:31], s[30:31], s[72:73]
	s_cmp_lg_u64 s[30:31], 0
	s_cbranch_scc1 .LBB238_72
; %bb.73:                               ;   in Loop: Header=BB238_15 Depth=1
	v_mbcnt_lo_u32_b32 v1, exec_lo, 0
	v_mbcnt_hi_u32_b32 v1, exec_hi, v1
	v_cmp_eq_u32_e32 vcc, 0, v1
	s_and_saveexec_b64 s[30:31], vcc
	s_xor_b64 s[30:31], exec, s[30:31]
	s_cbranch_execz .LBB238_75
; %bb.74:                               ;   in Loop: Header=BB238_15 Depth=1
	v_mov_b32_e32 v1, s69
	ds_min_i32 v0, v1 offset:37376
.LBB238_75:                             ;   in Loop: Header=BB238_15 Depth=1
	s_or_b64 exec, exec, s[28:29]
	s_waitcnt lgkmcnt(0)
	s_barrier
	ds_read_b32 v1, v53
	s_waitcnt lgkmcnt(0)
	s_barrier
	s_and_saveexec_b64 s[28:29], s[12:13]
	s_cbranch_execz .LBB238_77
; %bb.76:                               ;   in Loop: Header=BB238_15 Depth=1
	ds_read_b32 v2, v54
	s_waitcnt lgkmcnt(0)
	v_add_u32_e32 v1, v2, v1
.LBB238_77:                             ;   in Loop: Header=BB238_15 Depth=1
	s_or_b64 exec, exec, s[28:29]
	s_barrier
	ds_write_b32 v53, v1
	s_waitcnt lgkmcnt(0)
	s_barrier
	s_and_saveexec_b64 s[28:29], s[14:15]
	s_cbranch_execz .LBB238_79
; %bb.78:                               ;   in Loop: Header=BB238_15 Depth=1
	ds_read_b32 v2, v56
	s_waitcnt lgkmcnt(0)
	v_add_u32_e32 v1, v2, v1
.LBB238_79:                             ;   in Loop: Header=BB238_15 Depth=1
	s_or_b64 exec, exec, s[28:29]
	s_barrier
	ds_write_b32 v53, v1
	s_waitcnt lgkmcnt(0)
	s_barrier
	s_and_saveexec_b64 s[28:29], s[16:17]
	s_cbranch_execz .LBB238_81
; %bb.80:                               ;   in Loop: Header=BB238_15 Depth=1
	ds_read_b32 v2, v57
	s_waitcnt lgkmcnt(0)
	v_add_u32_e32 v1, v2, v1
.LBB238_81:                             ;   in Loop: Header=BB238_15 Depth=1
	s_or_b64 exec, exec, s[28:29]
	s_barrier
	ds_write_b32 v53, v1
	s_waitcnt lgkmcnt(0)
	s_barrier
	s_and_saveexec_b64 s[28:29], s[18:19]
	s_cbranch_execz .LBB238_83
; %bb.82:                               ;   in Loop: Header=BB238_15 Depth=1
	ds_read_b32 v2, v58
	s_waitcnt lgkmcnt(0)
	v_add_u32_e32 v1, v2, v1
.LBB238_83:                             ;   in Loop: Header=BB238_15 Depth=1
	s_or_b64 exec, exec, s[28:29]
	s_barrier
	ds_write_b32 v53, v1
	s_waitcnt lgkmcnt(0)
	s_barrier
	s_and_saveexec_b64 s[28:29], s[20:21]
	s_cbranch_execz .LBB238_85
; %bb.84:                               ;   in Loop: Header=BB238_15 Depth=1
	ds_read_b32 v2, v59
	s_waitcnt lgkmcnt(0)
	v_add_u32_e32 v1, v2, v1
.LBB238_85:                             ;   in Loop: Header=BB238_15 Depth=1
	s_or_b64 exec, exec, s[28:29]
	s_barrier
	ds_write_b32 v53, v1
	s_waitcnt lgkmcnt(0)
	s_barrier
	s_and_saveexec_b64 s[28:29], s[22:23]
	s_cbranch_execz .LBB238_87
; %bb.86:                               ;   in Loop: Header=BB238_15 Depth=1
	ds_read_b32 v2, v60
	s_waitcnt lgkmcnt(0)
	v_add_u32_e32 v1, v2, v1
.LBB238_87:                             ;   in Loop: Header=BB238_15 Depth=1
	s_or_b64 exec, exec, s[28:29]
	s_barrier
	ds_write_b32 v53, v1
	s_waitcnt lgkmcnt(0)
	s_barrier
	s_and_saveexec_b64 s[28:29], s[24:25]
	s_cbranch_execz .LBB238_89
; %bb.88:                               ;   in Loop: Header=BB238_15 Depth=1
	ds_read_b32 v2, v61
	s_waitcnt lgkmcnt(0)
	v_add_u32_e32 v1, v2, v1
.LBB238_89:                             ;   in Loop: Header=BB238_15 Depth=1
	s_or_b64 exec, exec, s[28:29]
	s_barrier
	ds_write_b32 v53, v1
	s_waitcnt lgkmcnt(0)
	s_barrier
	ds_read_b32 v3, v0 offset:37372
	v_mov_b32_e32 v2, 0
	s_and_saveexec_b64 s[28:29], s[10:11]
	s_cbranch_execz .LBB238_91
; %bb.90:                               ;   in Loop: Header=BB238_15 Depth=1
	ds_read_b32 v2, v54
.LBB238_91:                             ;   in Loop: Header=BB238_15 Depth=1
	s_or_b64 exec, exec, s[28:29]
	s_waitcnt lgkmcnt(0)
	v_cmp_eq_u32_e32 vcc, v1, v2
	s_and_b64 s[30:31], s[10:11], vcc
	s_barrier
	s_and_saveexec_b64 s[28:29], s[30:31]
	s_cbranch_execz .LBB238_93
; %bb.92:                               ;   in Loop: Header=BB238_15 Depth=1
	ds_write_b32 v53, v0
.LBB238_93:                             ;   in Loop: Header=BB238_15 Depth=1
	s_or_b64 exec, exec, s[28:29]
	v_add_co_u32_e32 v30, vcc, -1, v28
	v_addc_co_u32_e32 v31, vcc, -1, v29, vcc
	s_add_i32 s43, s54, s43
	s_mov_b64 s[28:29], 0
	v_mov_b32_e32 v32, v66
	v_mov_b32_e32 v33, v46
	;; [unrolled: 1-line block ×3, first 2 shown]
	s_waitcnt lgkmcnt(0)
	s_barrier
	s_branch .LBB238_95
.LBB238_94:                             ;   in Loop: Header=BB238_95 Depth=2
	s_or_b64 exec, exec, s[30:31]
	v_add_u32_e32 v1, 16, v34
	v_cmp_lt_u32_e32 vcc, s59, v34
	v_add_u32_e32 v33, 0x1000, v33
	v_add_u32_e32 v32, 64, v32
	s_or_b64 s[28:29], vcc, s[28:29]
	v_mov_b32_e32 v34, v1
	s_andn2_b64 exec, exec, s[28:29]
	s_cbranch_execz .LBB238_14
.LBB238_95:                             ;   Parent Loop BB238_15 Depth=1
                                        ; =>  This Inner Loop Header: Depth=2
	ds_read_b32 v2, v32
	s_waitcnt lgkmcnt(0)
	v_cmp_ne_u32_e32 vcc, 0, v2
	s_and_saveexec_b64 s[30:31], vcc
	s_cbranch_execz .LBB238_94
; %bb.96:                               ;   in Loop: Header=BB238_95 Depth=2
	v_ashrrev_i32_e32 v1, 31, v2
	v_add_co_u32_e32 v36, vcc, v28, v2
	v_addc_co_u32_e32 v37, vcc, v29, v1, vcc
	v_lshlrev_b64 v[36:37], 2, v[36:37]
	v_mov_b32_e32 v38, s94
	v_add_co_u32_e32 v36, vcc, s93, v36
	v_add_u32_e32 v35, s43, v34
	v_addc_co_u32_e32 v37, vcc, v38, v37, vcc
	global_store_dword v[36:37], v35, off
	s_and_b64 exec, exec, s[4:5]
	s_cbranch_execz .LBB238_94
; %bb.97:                               ;   in Loop: Header=BB238_95 Depth=2
	v_add_co_u32_e32 v2, vcc, v30, v2
	v_mad_u64_u32 v[36:37], s[72:73], v2, s42, 0
	v_addc_co_u32_e32 v1, vcc, v31, v1, vcc
	v_mov_b32_e32 v2, v37
	v_mad_u64_u32 v[38:39], s[72:73], v1, s42, v[2:3]
	v_mov_b32_e32 v37, v38
	v_lshlrev_b64 v[40:41], 4, v[36:37]
	ds_read2_b64 v[36:39], v33 offset1:1
	v_add_co_u32_e32 v40, vcc, v20, v40
	v_addc_co_u32_e32 v41, vcc, v17, v41, vcc
	s_waitcnt lgkmcnt(0)
	global_store_dwordx4 v[40:41], v[36:39], off
	s_branch .LBB238_94
.LBB238_98:
	s_endpgm
	.section	.rodata,"a",@progbits
	.p2align	6, 0x0
	.amdhsa_kernel _ZN9rocsparseL38bsrgemm_block_per_row_atomic_multipassILj256ELj128ELj4Eli21rocsparse_complex_numIdEEEv20rocsparse_direction_T3_S4_PKS4_S6_NS_24const_host_device_scalarIT4_EEPKT2_S6_PKS8_SC_S6_SE_S9_SC_S6_SE_SC_PS4_PS8_PSA_21rocsparse_index_base_SI_SI_SI_bbb
		.amdhsa_group_segment_fixed_size 41480
		.amdhsa_private_segment_fixed_size 0
		.amdhsa_kernarg_size 188
		.amdhsa_user_sgpr_count 8
		.amdhsa_user_sgpr_private_segment_buffer 1
		.amdhsa_user_sgpr_dispatch_ptr 1
		.amdhsa_user_sgpr_queue_ptr 0
		.amdhsa_user_sgpr_kernarg_segment_ptr 1
		.amdhsa_user_sgpr_dispatch_id 0
		.amdhsa_user_sgpr_flat_scratch_init 0
		.amdhsa_user_sgpr_kernarg_preload_length 0
		.amdhsa_user_sgpr_kernarg_preload_offset 0
		.amdhsa_user_sgpr_private_segment_size 0
		.amdhsa_uses_dynamic_stack 0
		.amdhsa_system_sgpr_private_segment_wavefront_offset 0
		.amdhsa_system_sgpr_workgroup_id_x 1
		.amdhsa_system_sgpr_workgroup_id_y 0
		.amdhsa_system_sgpr_workgroup_id_z 0
		.amdhsa_system_sgpr_workgroup_info 0
		.amdhsa_system_vgpr_workitem_id 2
		.amdhsa_next_free_vgpr 82
		.amdhsa_next_free_sgpr 95
		.amdhsa_accum_offset 84
		.amdhsa_reserve_vcc 1
		.amdhsa_reserve_flat_scratch 0
		.amdhsa_float_round_mode_32 0
		.amdhsa_float_round_mode_16_64 0
		.amdhsa_float_denorm_mode_32 3
		.amdhsa_float_denorm_mode_16_64 3
		.amdhsa_dx10_clamp 1
		.amdhsa_ieee_mode 1
		.amdhsa_fp16_overflow 0
		.amdhsa_tg_split 0
		.amdhsa_exception_fp_ieee_invalid_op 0
		.amdhsa_exception_fp_denorm_src 0
		.amdhsa_exception_fp_ieee_div_zero 0
		.amdhsa_exception_fp_ieee_overflow 0
		.amdhsa_exception_fp_ieee_underflow 0
		.amdhsa_exception_fp_ieee_inexact 0
		.amdhsa_exception_int_div_zero 0
	.end_amdhsa_kernel
	.section	.text._ZN9rocsparseL38bsrgemm_block_per_row_atomic_multipassILj256ELj128ELj4Eli21rocsparse_complex_numIdEEEv20rocsparse_direction_T3_S4_PKS4_S6_NS_24const_host_device_scalarIT4_EEPKT2_S6_PKS8_SC_S6_SE_S9_SC_S6_SE_SC_PS4_PS8_PSA_21rocsparse_index_base_SI_SI_SI_bbb,"axG",@progbits,_ZN9rocsparseL38bsrgemm_block_per_row_atomic_multipassILj256ELj128ELj4Eli21rocsparse_complex_numIdEEEv20rocsparse_direction_T3_S4_PKS4_S6_NS_24const_host_device_scalarIT4_EEPKT2_S6_PKS8_SC_S6_SE_S9_SC_S6_SE_SC_PS4_PS8_PSA_21rocsparse_index_base_SI_SI_SI_bbb,comdat
.Lfunc_end238:
	.size	_ZN9rocsparseL38bsrgemm_block_per_row_atomic_multipassILj256ELj128ELj4Eli21rocsparse_complex_numIdEEEv20rocsparse_direction_T3_S4_PKS4_S6_NS_24const_host_device_scalarIT4_EEPKT2_S6_PKS8_SC_S6_SE_S9_SC_S6_SE_SC_PS4_PS8_PSA_21rocsparse_index_base_SI_SI_SI_bbb, .Lfunc_end238-_ZN9rocsparseL38bsrgemm_block_per_row_atomic_multipassILj256ELj128ELj4Eli21rocsparse_complex_numIdEEEv20rocsparse_direction_T3_S4_PKS4_S6_NS_24const_host_device_scalarIT4_EEPKT2_S6_PKS8_SC_S6_SE_S9_SC_S6_SE_SC_PS4_PS8_PSA_21rocsparse_index_base_SI_SI_SI_bbb
                                        ; -- End function
	.section	.AMDGPU.csdata,"",@progbits
; Kernel info:
; codeLenInByte = 3872
; NumSgprs: 99
; NumVgprs: 82
; NumAgprs: 0
; TotalNumVgprs: 82
; ScratchSize: 0
; MemoryBound: 0
; FloatMode: 240
; IeeeMode: 1
; LDSByteSize: 41480 bytes/workgroup (compile time only)
; SGPRBlocks: 12
; VGPRBlocks: 10
; NumSGPRsForWavesPerEU: 99
; NumVGPRsForWavesPerEU: 82
; AccumOffset: 84
; Occupancy: 1
; WaveLimiterHint : 1
; COMPUTE_PGM_RSRC2:SCRATCH_EN: 0
; COMPUTE_PGM_RSRC2:USER_SGPR: 8
; COMPUTE_PGM_RSRC2:TRAP_HANDLER: 0
; COMPUTE_PGM_RSRC2:TGID_X_EN: 1
; COMPUTE_PGM_RSRC2:TGID_Y_EN: 0
; COMPUTE_PGM_RSRC2:TGID_Z_EN: 0
; COMPUTE_PGM_RSRC2:TIDIG_COMP_CNT: 2
; COMPUTE_PGM_RSRC3_GFX90A:ACCUM_OFFSET: 20
; COMPUTE_PGM_RSRC3_GFX90A:TG_SPLIT: 0
	.section	.text._ZN9rocsparseL23bsrgemm_fill_wf_per_rowILj256ELj64ELj8ELj137ELj8Eli21rocsparse_complex_numIdEEEv20rocsparse_direction_T5_S4_S4_PKS4_S6_NS_24const_host_device_scalarIT6_EEPKT4_S6_PKS8_SC_S6_SE_S9_SC_S6_SE_SC_PS4_PS8_21rocsparse_index_base_SH_SH_SH_bbb,"axG",@progbits,_ZN9rocsparseL23bsrgemm_fill_wf_per_rowILj256ELj64ELj8ELj137ELj8Eli21rocsparse_complex_numIdEEEv20rocsparse_direction_T5_S4_S4_PKS4_S6_NS_24const_host_device_scalarIT6_EEPKT4_S6_PKS8_SC_S6_SE_S9_SC_S6_SE_SC_PS4_PS8_21rocsparse_index_base_SH_SH_SH_bbb,comdat
	.globl	_ZN9rocsparseL23bsrgemm_fill_wf_per_rowILj256ELj64ELj8ELj137ELj8Eli21rocsparse_complex_numIdEEEv20rocsparse_direction_T5_S4_S4_PKS4_S6_NS_24const_host_device_scalarIT6_EEPKT4_S6_PKS8_SC_S6_SE_S9_SC_S6_SE_SC_PS4_PS8_21rocsparse_index_base_SH_SH_SH_bbb ; -- Begin function _ZN9rocsparseL23bsrgemm_fill_wf_per_rowILj256ELj64ELj8ELj137ELj8Eli21rocsparse_complex_numIdEEEv20rocsparse_direction_T5_S4_S4_PKS4_S6_NS_24const_host_device_scalarIT6_EEPKT4_S6_PKS8_SC_S6_SE_S9_SC_S6_SE_SC_PS4_PS8_21rocsparse_index_base_SH_SH_SH_bbb
	.p2align	8
	.type	_ZN9rocsparseL23bsrgemm_fill_wf_per_rowILj256ELj64ELj8ELj137ELj8Eli21rocsparse_complex_numIdEEEv20rocsparse_direction_T5_S4_S4_PKS4_S6_NS_24const_host_device_scalarIT6_EEPKT4_S6_PKS8_SC_S6_SE_S9_SC_S6_SE_SC_PS4_PS8_21rocsparse_index_base_SH_SH_SH_bbb,@function
_ZN9rocsparseL23bsrgemm_fill_wf_per_rowILj256ELj64ELj8ELj137ELj8Eli21rocsparse_complex_numIdEEEv20rocsparse_direction_T5_S4_S4_PKS4_S6_NS_24const_host_device_scalarIT6_EEPKT4_S6_PKS8_SC_S6_SE_S9_SC_S6_SE_SC_PS4_PS8_21rocsparse_index_base_SH_SH_SH_bbb: ; @_ZN9rocsparseL23bsrgemm_fill_wf_per_rowILj256ELj64ELj8ELj137ELj8Eli21rocsparse_complex_numIdEEEv20rocsparse_direction_T5_S4_S4_PKS4_S6_NS_24const_host_device_scalarIT6_EEPKT4_S6_PKS8_SC_S6_SE_S9_SC_S6_SE_SC_PS4_PS8_21rocsparse_index_base_SH_SH_SH_bbb
; %bb.0:
	s_load_dword s9, s[6:7], 0xb0
	s_load_dwordx2 s[2:3], s[4:5], 0x4
	s_load_dwordx4 s[16:19], s[6:7], 0x20
	s_load_dwordx4 s[12:15], s[6:7], 0x60
	v_and_b32_e32 v38, 0x3ff, v0
	v_bfe_u32 v2, v0, 10, 10
	s_waitcnt lgkmcnt(0)
	s_bitcmp1_b32 s9, 0
	s_cselect_b64 s[4:5], -1, 0
	s_bitcmp1_b32 s9, 16
	s_cselect_b64 s[0:1], -1, 0
	s_lshr_b32 s2, s2, 16
	s_mul_i32 s2, s2, s3
	v_mul_lo_u32 v1, s2, v38
	v_mad_u32_u24 v1, v2, s3, v1
	v_bfe_u32 v0, v0, 20, 10
	v_add_lshl_u32 v0, v1, v0, 3
	v_pk_mov_b32 v[2:3], s[16:17], s[16:17] op_sel:[0,1]
	v_pk_mov_b32 v[4:5], s[12:13], s[12:13] op_sel:[0,1]
	v_add_u32_e32 v1, 0x80, v0
	s_xor_b64 s[2:3], s[0:1], -1
	ds_write2st64_b64 v1, v[4:5], v[2:3] offset0:64 offset1:68
	v_pk_mov_b32 v[4:5], 0, 0
	v_cndmask_b32_e64 v1, 0, 1, s[2:3]
	s_bitcmp0_b32 s9, 0
	v_cmp_ne_u32_e64 s[2:3], 1, v1
	v_pk_mov_b32 v[10:11], v[4:5], v[4:5] op_sel:[0,1]
	v_pk_mov_b32 v[12:13], v[4:5], v[4:5] op_sel:[0,1]
	s_cbranch_scc1 .LBB239_3
; %bb.1:
	s_mov_b64 s[10:11], src_shared_base
	s_and_b64 s[20:21], s[0:1], exec
	v_add_u32_e32 v1, 0x8880, v0
	s_cselect_b32 s10, s11, s17
	v_mov_b32_e32 v2, s16
	v_cndmask_b32_e64 v2, v2, v1, s[0:1]
	v_mov_b32_e32 v3, s10
	flat_load_dwordx2 v[10:11], v[2:3]
	s_and_b64 vcc, exec, s[2:3]
	v_pk_mov_b32 v[12:13], s[18:19], s[18:19] op_sel:[0,1]
	s_cbranch_vccnz .LBB239_3
; %bb.2:
	v_pk_mov_b32 v[2:3], s[16:17], s[16:17] op_sel:[0,1]
	flat_load_dwordx2 v[12:13], v[2:3] offset:8
.LBB239_3:
	s_load_dwordx4 s[28:31], s[6:7], 0xa0
	s_bitcmp1_b32 s9, 8
	s_cselect_b64 s[10:11], -1, 0
	s_bfe_u32 s9, s9, 0x10008
	s_cmp_eq_u32 s9, 0
	v_pk_mov_b32 v[6:7], v[4:5], v[4:5] op_sel:[0,1]
	s_cbranch_scc1 .LBB239_6
; %bb.4:
	s_mov_b64 s[16:17], src_shared_base
	s_and_b64 s[18:19], s[0:1], exec
	v_add_u32_e32 v0, 0x8080, v0
	s_cselect_b32 s9, s17, s13
	v_mov_b32_e32 v1, s12
	v_cndmask_b32_e64 v0, v1, v0, s[0:1]
	v_mov_b32_e32 v1, s9
	flat_load_dwordx2 v[6:7], v[0:1]
	s_and_b64 vcc, exec, s[2:3]
	v_pk_mov_b32 v[4:5], s[14:15], s[14:15] op_sel:[0,1]
	s_cbranch_vccnz .LBB239_6
; %bb.5:
	v_pk_mov_b32 v[0:1], s[12:13], s[12:13] op_sel:[0,1]
	flat_load_dwordx2 v[4:5], v[0:1] offset:8
.LBB239_6:
	s_load_dwordx4 s[44:47], s[6:7], 0x90
	s_load_dwordx8 s[20:27], s[6:7], 0x70
	s_load_dwordx4 s[48:51], s[6:7], 0x50
	s_load_dwordx8 s[12:19], s[6:7], 0x0
	s_load_dwordx8 s[36:43], s[6:7], 0x30
	v_and_b32_e32 v45, 63, v38
	v_lshrrev_b32_e32 v40, 6, v38
	v_mov_b32_e32 v0, 0x8000
	v_lshl_or_b32 v39, v40, 5, v0
	v_cmp_gt_u32_e32 vcc, 8, v45
	s_and_saveexec_b64 s[0:1], vcc
	s_cbranch_execz .LBB239_8
; %bb.7:
	v_lshl_add_u32 v0, v45, 2, v39
	s_waitcnt lgkmcnt(0)
	v_mov_b32_e32 v1, s14
	ds_write_b32 v0, v1
.LBB239_8:
	s_or_b64 exec, exec, s[0:1]
	v_lshlrev_b32_e32 v41, 13, v40
	v_mov_b32_e32 v0, 0
	v_or_b32_e32 v8, 0xffffffc0, v45
	v_lshl_or_b32 v9, v45, 4, v41
	s_mov_b64 s[0:1], 0
	v_mov_b32_e32 v1, v0
	v_mov_b32_e32 v2, v0
	;; [unrolled: 1-line block ×3, first 2 shown]
	s_movk_i32 s2, 0x1bf
.LBB239_9:                              ; =>This Inner Loop Header: Depth=1
	v_add_u32_e32 v8, 64, v8
	v_cmp_lt_u32_e32 vcc, s2, v8
	ds_write_b128 v9, v[0:3]
	s_or_b64 s[0:1], vcc, s[0:1]
	v_add_u32_e32 v9, 0x400, v9
	s_andn2_b64 exec, exec, s[0:1]
	s_cbranch_execnz .LBB239_9
; %bb.10:
	s_or_b64 exec, exec, s[0:1]
	v_lshl_or_b32 v0, s8, 2, v40
	s_waitcnt lgkmcnt(0)
	v_cmp_gt_i32_e32 vcc, s13, v0
	s_barrier
	s_and_saveexec_b64 s[0:1], vcc
	s_cbranch_execz .LBB239_66
; %bb.11:
	s_cmp_eq_u64 s[18:19], 0
	s_cbranch_scc1 .LBB239_13
; %bb.12:
	s_load_dword s0, s[16:17], 0x0
	v_mov_b32_e32 v2, s19
	s_waitcnt lgkmcnt(0)
	v_add_u32_e32 v0, s0, v0
	v_ashrrev_i32_e32 v1, 31, v0
	v_lshlrev_b64 v[0:1], 2, v[0:1]
	v_add_co_u32_e32 v0, vcc, s18, v0
	v_addc_co_u32_e32 v1, vcc, v2, v1, vcc
	global_load_dword v0, v[0:1], off
.LBB239_13:
	v_lshlrev_b32_e32 v1, 7, v38
	v_and_b32_e32 v44, 0x6000, v1
	s_waitcnt vmcnt(0)
	v_ashrrev_i32_e32 v1, 31, v0
	v_and_b32_e32 v42, 7, v38
	v_lshrrev_b32_e32 v43, 3, v45
	s_andn2_b64 vcc, exec, s[4:5]
	s_mul_i32 s6, s15, s15
	v_lshlrev_b64 v[8:9], 3, v[0:1]
	s_cbranch_vccnz .LBB239_43
; %bb.14:
	v_mov_b32_e32 v1, s37
	v_add_co_u32_e32 v0, vcc, s36, v8
	v_addc_co_u32_e32 v1, vcc, v1, v9, vcc
	global_load_dwordx4 v[0:3], v[0:1], off
	s_waitcnt vmcnt(0)
	v_cmp_lt_i64_e32 vcc, v[0:1], v[2:3]
	s_and_saveexec_b64 s[8:9], vcc
	s_cbranch_execz .LBB239_42
; %bb.15:
	v_subrev_co_u32_e32 v14, vcc, s28, v2
	v_subbrev_co_u32_e32 v15, vcc, 0, v3, vcc
	v_subrev_co_u32_e32 v16, vcc, s28, v0
	v_mad_u64_u32 v[18:19], s[16:17], v16, s6, 0
	v_subbrev_co_u32_e32 v17, vcc, 0, v1, vcc
	v_mov_b32_e32 v20, v19
	v_mad_u64_u32 v[20:21], s[16:17], v17, s6, v[20:21]
	v_mov_b32_e32 v19, v20
	v_lshlrev_b64 v[22:23], 4, v[18:19]
	v_lshlrev_b32_e32 v18, 4, v43
	v_add_co_u32_e32 v18, vcc, v22, v18
	v_addc_co_u32_e32 v19, vcc, 0, v23, vcc
	v_mov_b32_e32 v24, s41
	v_add_co_u32_e32 v18, vcc, s40, v18
	v_max_i32_e32 v0, v42, v43
	v_addc_co_u32_e32 v19, vcc, v19, v24, vcc
	v_cmp_gt_i32_e64 s[0:1], s15, v0
	v_mul_lo_u32 v0, v42, s15
	v_mov_b32_e32 v1, 0
	v_add_co_u32_e32 v18, vcc, 8, v18
	v_mov_b32_e32 v3, v1
	v_addc_co_u32_e32 v19, vcc, 0, v19, vcc
	v_lshlrev_b64 v[0:1], 4, v[0:1]
	v_mov_b32_e32 v25, s51
	v_add_co_u32_e32 v0, vcc, s50, v0
	v_addc_co_u32_e32 v1, vcc, v1, v25, vcc
	v_mul_lo_u32 v2, v43, s15
	v_add_co_u32_e32 v20, vcc, 8, v0
	v_addc_co_u32_e32 v21, vcc, 0, v1, vcc
	v_lshlrev_b64 v[0:1], 4, v[2:3]
	v_add_co_u32_e32 v0, vcc, v22, v0
	v_addc_co_u32_e32 v1, vcc, v23, v1, vcc
	v_add_co_u32_e32 v0, vcc, s40, v0
	v_addc_co_u32_e32 v1, vcc, v1, v24, vcc
	;; [unrolled: 2-line block ×3, first 2 shown]
	v_lshlrev_b32_e32 v0, 4, v42
	s_cmp_lg_u32 s12, 0
	v_add_co_u32_e32 v0, vcc, s50, v0
	s_mov_b32 s13, 0
	s_cselect_b64 s[2:3], -1, 0
	s_cmp_gt_i32 s15, 0
	v_addc_co_u32_e32 v1, vcc, 0, v25, vcc
	s_cselect_b64 s[4:5], -1, 0
	s_mov_b32 s7, s13
	s_mov_b32 s18, s15
	s_mov_b32 s19, s13
	v_add_co_u32_e32 v24, vcc, 8, v0
	v_cndmask_b32_e64 v0, 0, 1, s[2:3]
	s_lshl_b64 s[16:17], s[6:7], 4
	s_lshl_b64 s[18:19], s[18:19], 4
	v_cmp_ne_u32_e64 s[2:3], 1, v0
	v_cndmask_b32_e64 v0, 0, 1, s[4:5]
	s_mov_b32 s33, s29
	v_addc_co_u32_e32 v25, vcc, 0, v1, vcc
	s_mov_b64 s[34:35], 0
	v_mov_b32_e32 v46, s39
	v_mov_b32_e32 v47, s43
	v_cmp_ne_u32_e64 s[4:5], 1, v0
	v_mov_b32_e32 v48, s19
	v_lshlrev_b32_e32 v49, 4, v45
	v_mov_b32_e32 v50, s17
	s_branch .LBB239_17
.LBB239_16:                             ;   in Loop: Header=BB239_17 Depth=1
	s_or_b64 exec, exec, s[36:37]
	v_add_co_u32_e32 v16, vcc, 1, v16
	v_addc_co_u32_e32 v17, vcc, 0, v17, vcc
	v_add_co_u32_e32 v18, vcc, s16, v18
	v_addc_co_u32_e32 v19, vcc, v19, v50, vcc
	v_cmp_ge_i64_e32 vcc, v[16:17], v[14:15]
	s_or_b64 s[34:35], vcc, s[34:35]
	v_add_co_u32_e32 v22, vcc, s16, v22
	v_addc_co_u32_e32 v23, vcc, v23, v50, vcc
	s_andn2_b64 exec, exec, s[34:35]
	s_cbranch_execz .LBB239_42
.LBB239_17:                             ; =>This Loop Header: Depth=1
                                        ;     Child Loop BB239_20 Depth 2
                                        ;       Child Loop BB239_24 Depth 3
                                        ;       Child Loop BB239_29 Depth 3
	;; [unrolled: 1-line block ×3, first 2 shown]
	v_lshlrev_b64 v[0:1], 2, v[16:17]
	v_add_co_u32_e32 v0, vcc, s38, v0
	v_addc_co_u32_e32 v1, vcc, v46, v1, vcc
	global_load_dword v0, v[0:1], off
	s_waitcnt vmcnt(0)
	v_subrev_u32_e32 v0, s28, v0
	v_ashrrev_i32_e32 v1, 31, v0
	v_lshlrev_b64 v[0:1], 3, v[0:1]
	v_add_co_u32_e32 v0, vcc, s42, v0
	v_addc_co_u32_e32 v1, vcc, v47, v1, vcc
	global_load_dwordx4 v[0:3], v[0:1], off
	s_waitcnt vmcnt(0)
	v_cmp_lt_i64_e32 vcc, v[0:1], v[2:3]
	s_and_saveexec_b64 s[36:37], vcc
	s_cbranch_execz .LBB239_16
; %bb.18:                               ;   in Loop: Header=BB239_17 Depth=1
	v_mov_b32_e32 v26, s13
	v_subrev_co_u32_e32 v2, vcc, s33, v2
	v_subb_co_u32_e32 v3, vcc, v3, v26, vcc
	v_subrev_co_u32_e32 v0, vcc, s33, v0
	v_subb_co_u32_e32 v1, vcc, v1, v26, vcc
	v_mad_u64_u32 v[26:27], s[40:41], s16, v0, v[20:21]
	v_mul_lo_u32 v30, s16, v1
	v_mul_lo_u32 v31, s17, v0
	v_mad_u64_u32 v[28:29], s[40:41], s16, v0, v[24:25]
	v_add3_u32 v27, v31, v27, v30
	v_add3_u32 v29, v31, v29, v30
	s_mov_b64 s[40:41], 0
	s_branch .LBB239_20
.LBB239_19:                             ;   in Loop: Header=BB239_20 Depth=2
	s_or_b64 exec, exec, s[50:51]
	v_add_co_u32_e32 v0, vcc, 1, v0
	v_addc_co_u32_e32 v1, vcc, 0, v1, vcc
	v_mov_b32_e32 v30, s17
	v_add_co_u32_e32 v26, vcc, s16, v26
	v_addc_co_u32_e32 v27, vcc, v27, v30, vcc
	v_cmp_ge_i64_e32 vcc, v[0:1], v[2:3]
	s_or_b64 s[40:41], vcc, s[40:41]
	v_add_co_u32_e32 v28, vcc, s16, v28
	v_addc_co_u32_e32 v29, vcc, v29, v30, vcc
	s_andn2_b64 exec, exec, s[40:41]
	s_cbranch_execz .LBB239_16
.LBB239_20:                             ;   Parent Loop BB239_17 Depth=1
                                        ; =>  This Loop Header: Depth=2
                                        ;       Child Loop BB239_24 Depth 3
                                        ;       Child Loop BB239_29 Depth 3
	;; [unrolled: 1-line block ×3, first 2 shown]
	s_and_saveexec_b64 s[50:51], s[0:1]
	s_cbranch_execz .LBB239_19
; %bb.21:                               ;   in Loop: Header=BB239_20 Depth=2
	v_lshlrev_b64 v[30:31], 2, v[0:1]
	v_mov_b32_e32 v32, s49
	v_add_co_u32_e32 v30, vcc, s48, v30
	v_addc_co_u32_e32 v31, vcc, v32, v31, vcc
	global_load_dword v51, v[30:31], off
	s_and_b64 vcc, exec, s[2:3]
	s_cbranch_vccnz .LBB239_26
; %bb.22:                               ;   in Loop: Header=BB239_20 Depth=2
	v_pk_mov_b32 v[30:31], 0, 0
	s_mov_b64 s[52:53], 0
	s_and_b64 vcc, exec, s[4:5]
	v_pk_mov_b32 v[32:33], v[30:31], v[30:31] op_sel:[0,1]
	s_cbranch_vccnz .LBB239_25
; %bb.23:                               ;   in Loop: Header=BB239_20 Depth=2
	v_pk_mov_b32 v[30:31], 0, 0
	v_pk_mov_b32 v[34:35], v[26:27], v[26:27] op_sel:[0,1]
	v_pk_mov_b32 v[36:37], v[18:19], v[18:19] op_sel:[0,1]
	s_mov_b32 s7, s15
	v_pk_mov_b32 v[32:33], v[30:31], v[30:31] op_sel:[0,1]
.LBB239_24:                             ;   Parent Loop BB239_17 Depth=1
                                        ;     Parent Loop BB239_20 Depth=2
                                        ; =>    This Inner Loop Header: Depth=3
	global_load_dwordx4 v[52:55], v[36:37], off offset:-8
	global_load_dwordx4 v[56:59], v[34:35], off offset:-8
	v_add_co_u32_e32 v36, vcc, s18, v36
	v_addc_co_u32_e32 v37, vcc, v37, v48, vcc
	s_add_i32 s7, s7, -1
	v_add_co_u32_e32 v34, vcc, 16, v34
	v_addc_co_u32_e32 v35, vcc, 0, v35, vcc
	s_cmp_lg_u32 s7, 0
	s_waitcnt vmcnt(0)
	v_fmac_f64_e32 v[30:31], v[52:53], v[56:57]
	v_fmac_f64_e32 v[32:33], v[54:55], v[56:57]
	v_fma_f64 v[30:31], -v[54:55], v[58:59], v[30:31]
	v_fmac_f64_e32 v[32:33], v[52:53], v[58:59]
	s_cbranch_scc1 .LBB239_24
.LBB239_25:                             ;   in Loop: Header=BB239_20 Depth=2
	s_andn2_b64 vcc, exec, s[52:53]
	s_cbranch_vccz .LBB239_27
	s_branch .LBB239_30
.LBB239_26:                             ;   in Loop: Header=BB239_20 Depth=2
                                        ; implicit-def: $vgpr30_vgpr31
                                        ; implicit-def: $vgpr32_vgpr33
.LBB239_27:                             ;   in Loop: Header=BB239_20 Depth=2
	v_pk_mov_b32 v[30:31], 0, 0
	s_and_b64 vcc, exec, s[4:5]
	v_pk_mov_b32 v[32:33], v[30:31], v[30:31] op_sel:[0,1]
	s_cbranch_vccnz .LBB239_30
; %bb.28:                               ;   in Loop: Header=BB239_20 Depth=2
	v_pk_mov_b32 v[30:31], 0, 0
	v_pk_mov_b32 v[34:35], v[28:29], v[28:29] op_sel:[0,1]
	v_pk_mov_b32 v[36:37], v[22:23], v[22:23] op_sel:[0,1]
	s_mov_b32 s7, s15
	v_pk_mov_b32 v[32:33], v[30:31], v[30:31] op_sel:[0,1]
.LBB239_29:                             ;   Parent Loop BB239_17 Depth=1
                                        ;     Parent Loop BB239_20 Depth=2
                                        ; =>    This Inner Loop Header: Depth=3
	global_load_dwordx4 v[52:55], v[36:37], off offset:-8
	global_load_dwordx4 v[56:59], v[34:35], off offset:-8
	v_add_co_u32_e32 v36, vcc, 16, v36
	v_addc_co_u32_e32 v37, vcc, 0, v37, vcc
	s_add_i32 s7, s7, -1
	v_add_co_u32_e32 v34, vcc, s18, v34
	v_addc_co_u32_e32 v35, vcc, v35, v48, vcc
	s_cmp_eq_u32 s7, 0
	s_waitcnt vmcnt(0)
	v_fmac_f64_e32 v[30:31], v[52:53], v[56:57]
	v_fmac_f64_e32 v[32:33], v[54:55], v[56:57]
	v_fma_f64 v[30:31], -v[54:55], v[58:59], v[30:31]
	v_fmac_f64_e32 v[32:33], v[52:53], v[58:59]
	s_cbranch_scc0 .LBB239_29
.LBB239_30:                             ;   in Loop: Header=BB239_20 Depth=2
	s_waitcnt vmcnt(0)
	v_subrev_u32_e32 v36, s29, v51
	v_mul_f64 v[34:35], v[32:33], -v[12:13]
	v_mul_f64 v[32:33], v[10:11], v[32:33]
	v_fmac_f64_e32 v[34:35], v[10:11], v[30:31]
	v_fmac_f64_e32 v[32:33], v[12:13], v[30:31]
	v_and_b32_e32 v30, 7, v36
	s_mov_b64 s[52:53], 0
	s_branch .LBB239_32
.LBB239_31:                             ;   in Loop: Header=BB239_32 Depth=3
	s_or_b64 exec, exec, s[54:55]
	s_xor_b64 s[54:55], s[56:57], -1
	s_and_b64 s[54:55], exec, s[54:55]
	s_or_b64 s[52:53], s[54:55], s[52:53]
	s_andn2_b64 exec, exec, s[52:53]
	s_cbranch_execz .LBB239_19
.LBB239_32:                             ;   Parent Loop BB239_17 Depth=1
                                        ;     Parent Loop BB239_20 Depth=2
                                        ; =>    This Inner Loop Header: Depth=3
	v_lshl_add_u32 v31, v30, 2, v39
	ds_read_b32 v37, v31
                                        ; implicit-def: $sgpr56_sgpr57
	s_waitcnt lgkmcnt(0)
	v_cmp_ne_u32_e32 vcc, v37, v36
	s_and_saveexec_b64 s[54:55], vcc
	s_xor_b64 s[54:55], exec, s[54:55]
	s_cbranch_execz .LBB239_40
; %bb.33:                               ;   in Loop: Header=BB239_32 Depth=3
	v_cmp_ne_u32_e32 vcc, s14, v37
                                        ; implicit-def: $sgpr56_sgpr57
	s_and_saveexec_b64 s[58:59], vcc
	s_xor_b64 s[58:59], exec, s[58:59]
; %bb.34:                               ;   in Loop: Header=BB239_32 Depth=3
	v_add_u32_e32 v30, 1, v30
	v_and_b32_e32 v30, 7, v30
	s_mov_b64 s[56:57], -1
                                        ; implicit-def: $vgpr31
; %bb.35:                               ;   in Loop: Header=BB239_32 Depth=3
	s_andn2_saveexec_b64 s[58:59], s[58:59]
	s_cbranch_execz .LBB239_39
; %bb.36:                               ;   in Loop: Header=BB239_32 Depth=3
	v_mov_b32_e32 v37, s14
	ds_cmpst_rtn_b32 v31, v31, v37, v36
	s_mov_b64 s[62:63], -1
	s_waitcnt lgkmcnt(0)
	v_cmp_eq_u32_e32 vcc, s14, v31
	s_and_saveexec_b64 s[60:61], vcc
	s_cbranch_execz .LBB239_38
; %bb.37:                               ;   in Loop: Header=BB239_32 Depth=3
	v_lshl_or_b32 v31, v30, 10, v49
	v_add_u32_e32 v31, v44, v31
	ds_add_f64 v31, v[34:35]
	ds_add_f64 v31, v[32:33] offset:8
	s_xor_b64 s[62:63], exec, -1
.LBB239_38:                             ;   in Loop: Header=BB239_32 Depth=3
	s_or_b64 exec, exec, s[60:61]
	s_andn2_b64 s[56:57], s[56:57], exec
	s_and_b64 s[60:61], s[62:63], exec
	s_or_b64 s[56:57], s[56:57], s[60:61]
.LBB239_39:                             ;   in Loop: Header=BB239_32 Depth=3
	s_or_b64 exec, exec, s[58:59]
	s_and_b64 s[56:57], s[56:57], exec
.LBB239_40:                             ;   in Loop: Header=BB239_32 Depth=3
	s_andn2_saveexec_b64 s[54:55], s[54:55]
	s_cbranch_execz .LBB239_31
; %bb.41:                               ;   in Loop: Header=BB239_32 Depth=3
	v_lshl_or_b32 v31, v30, 10, v49
	v_add_u32_e32 v31, v44, v31
	ds_add_f64 v31, v[34:35]
	ds_add_f64 v31, v[32:33] offset:8
	s_andn2_b64 s[56:57], s[56:57], exec
	s_branch .LBB239_31
.LBB239_42:
	s_or_b64 exec, exec, s[8:9]
.LBB239_43:
	s_andn2_b64 vcc, exec, s[10:11]
	s_waitcnt lgkmcnt(0)
	s_barrier
	s_cbranch_vccnz .LBB239_61
; %bb.44:
	v_mov_b32_e32 v1, s21
	v_add_co_u32_e32 v0, vcc, s20, v8
	v_addc_co_u32_e32 v1, vcc, v1, v9, vcc
	global_load_dwordx4 v[0:3], v[0:1], off
	s_waitcnt vmcnt(0)
	v_cmp_lt_i64_e32 vcc, v[0:1], v[2:3]
	s_and_saveexec_b64 s[2:3], vcc
	s_cbranch_execz .LBB239_60
; %bb.45:
	v_subrev_co_u32_e32 v2, vcc, s31, v2
	v_subbrev_co_u32_e32 v3, vcc, 0, v3, vcc
	v_subrev_co_u32_e32 v0, vcc, s31, v0
	v_subbrev_co_u32_e32 v1, vcc, 0, v1, vcc
	v_max_i32_e32 v10, v42, v43
	v_cmp_gt_i32_e32 vcc, s15, v10
	v_mul_lo_u32 v10, v42, s15
	v_mov_b32_e32 v11, 0
	v_lshlrev_b64 v[12:13], 4, v[10:11]
	v_mov_b32_e32 v14, s25
	v_add_co_u32_e64 v10, s[0:1], s24, v12
	v_addc_co_u32_e64 v12, s[0:1], v14, v13, s[0:1]
	v_lshlrev_b32_e32 v13, 4, v43
	v_add_co_u32_e64 v13, s[0:1], v10, v13
	v_mul_lo_u32 v10, v43, s15
	v_addc_co_u32_e64 v12, s[0:1], 0, v12, s[0:1]
	v_lshlrev_b64 v[10:11], 4, v[10:11]
	v_add_co_u32_e64 v10, s[0:1], s24, v10
	v_addc_co_u32_e64 v11, s[0:1], v14, v11, s[0:1]
	v_lshlrev_b32_e32 v14, 4, v42
	v_add_co_u32_e64 v10, s[0:1], v10, v14
	s_cmp_eq_u32 s12, 0
	v_addc_co_u32_e64 v11, s[0:1], 0, v11, s[0:1]
	s_cselect_b64 s[0:1], -1, 0
	v_cndmask_b32_e64 v11, v12, v11, s[0:1]
	v_cndmask_b32_e64 v10, v13, v10, s[0:1]
	s_mov_b64 s[4:5], 0
	v_lshlrev_b32_e32 v16, 4, v45
	s_branch .LBB239_47
.LBB239_46:                             ;   in Loop: Header=BB239_47 Depth=1
	s_or_b64 exec, exec, s[8:9]
	v_add_co_u32_e64 v0, s[0:1], 1, v0
	v_addc_co_u32_e64 v1, s[0:1], 0, v1, s[0:1]
	v_cmp_ge_i64_e64 s[0:1], v[0:1], v[2:3]
	s_or_b64 s[4:5], s[0:1], s[4:5]
	s_andn2_b64 exec, exec, s[4:5]
	s_cbranch_execz .LBB239_60
.LBB239_47:                             ; =>This Loop Header: Depth=1
                                        ;     Child Loop BB239_50 Depth 2
	s_and_saveexec_b64 s[8:9], vcc
	s_cbranch_execz .LBB239_46
; %bb.48:                               ;   in Loop: Header=BB239_47 Depth=1
	v_lshlrev_b64 v[12:13], 2, v[0:1]
	v_mov_b32_e32 v14, s23
	v_add_co_u32_e64 v12, s[0:1], s22, v12
	v_addc_co_u32_e64 v13, s[0:1], v14, v13, s[0:1]
	global_load_dword v17, v[12:13], off
	v_mad_u64_u32 v[12:13], s[0:1], v0, s6, 0
	v_mov_b32_e32 v14, v13
	v_mad_u64_u32 v[14:15], s[0:1], v1, s6, v[14:15]
	v_mov_b32_e32 v13, v14
	v_lshlrev_b64 v[12:13], 4, v[12:13]
	v_add_co_u32_e64 v12, s[0:1], v10, v12
	v_addc_co_u32_e64 v13, s[0:1], v11, v13, s[0:1]
	global_load_dwordx4 v[20:23], v[12:13], off
	s_mov_b64 s[10:11], 0
	s_waitcnt vmcnt(1)
	v_subrev_u32_e32 v17, s31, v17
	v_and_b32_e32 v18, 7, v17
	s_waitcnt vmcnt(0)
	v_mul_f64 v[12:13], v[22:23], -v[4:5]
	v_mul_f64 v[14:15], v[6:7], v[22:23]
	v_fmac_f64_e32 v[12:13], v[6:7], v[20:21]
	v_fmac_f64_e32 v[14:15], v[4:5], v[20:21]
	s_branch .LBB239_50
.LBB239_49:                             ;   in Loop: Header=BB239_50 Depth=2
	s_or_b64 exec, exec, s[0:1]
	s_xor_b64 s[0:1], s[18:19], -1
	s_and_b64 s[0:1], exec, s[0:1]
	s_or_b64 s[10:11], s[0:1], s[10:11]
	s_andn2_b64 exec, exec, s[10:11]
	s_cbranch_execz .LBB239_46
.LBB239_50:                             ;   Parent Loop BB239_47 Depth=1
                                        ; =>  This Inner Loop Header: Depth=2
	v_lshl_add_u32 v19, v18, 2, v39
	ds_read_b32 v20, v19
                                        ; implicit-def: $sgpr18_sgpr19
	s_waitcnt lgkmcnt(0)
	v_cmp_ne_u32_e64 s[0:1], v20, v17
	s_and_saveexec_b64 s[16:17], s[0:1]
	s_xor_b64 s[16:17], exec, s[16:17]
	s_cbranch_execz .LBB239_58
; %bb.51:                               ;   in Loop: Header=BB239_50 Depth=2
	v_cmp_ne_u32_e64 s[0:1], s14, v20
                                        ; implicit-def: $sgpr18_sgpr19
	s_and_saveexec_b64 s[20:21], s[0:1]
	s_xor_b64 s[0:1], exec, s[20:21]
; %bb.52:                               ;   in Loop: Header=BB239_50 Depth=2
	v_add_u32_e32 v18, 1, v18
	v_and_b32_e32 v18, 7, v18
	s_mov_b64 s[18:19], -1
                                        ; implicit-def: $vgpr19
; %bb.53:                               ;   in Loop: Header=BB239_50 Depth=2
	s_andn2_saveexec_b64 s[20:21], s[0:1]
	s_cbranch_execz .LBB239_57
; %bb.54:                               ;   in Loop: Header=BB239_50 Depth=2
	v_mov_b32_e32 v20, s14
	ds_cmpst_rtn_b32 v19, v19, v20, v17
	s_mov_b64 s[28:29], -1
	s_waitcnt lgkmcnt(0)
	v_cmp_eq_u32_e64 s[0:1], s14, v19
	s_and_saveexec_b64 s[24:25], s[0:1]
	s_cbranch_execz .LBB239_56
; %bb.55:                               ;   in Loop: Header=BB239_50 Depth=2
	v_lshl_or_b32 v19, v18, 10, v16
	v_add_u32_e32 v19, v44, v19
	ds_add_f64 v19, v[12:13]
	ds_add_f64 v19, v[14:15] offset:8
	s_xor_b64 s[28:29], exec, -1
.LBB239_56:                             ;   in Loop: Header=BB239_50 Depth=2
	s_or_b64 exec, exec, s[24:25]
	s_andn2_b64 s[0:1], s[18:19], exec
	s_and_b64 s[18:19], s[28:29], exec
	s_or_b64 s[18:19], s[0:1], s[18:19]
.LBB239_57:                             ;   in Loop: Header=BB239_50 Depth=2
	s_or_b64 exec, exec, s[20:21]
	s_and_b64 s[18:19], s[18:19], exec
.LBB239_58:                             ;   in Loop: Header=BB239_50 Depth=2
	s_andn2_saveexec_b64 s[0:1], s[16:17]
	s_cbranch_execz .LBB239_49
; %bb.59:                               ;   in Loop: Header=BB239_50 Depth=2
	v_lshl_or_b32 v19, v18, 10, v16
	v_add_u32_e32 v19, v44, v19
	ds_add_f64 v19, v[12:13]
	ds_add_f64 v19, v[14:15] offset:8
	s_andn2_b64 s[18:19], s[18:19], exec
	s_branch .LBB239_49
.LBB239_60:
	s_or_b64 exec, exec, s[2:3]
.LBB239_61:
	v_mov_b32_e32 v1, s27
	v_add_co_u32_e32 v0, vcc, s26, v8
	v_addc_co_u32_e32 v1, vcc, v1, v9, vcc
	s_waitcnt lgkmcnt(0)
	s_barrier
	global_load_dwordx2 v[0:1], v[0:1], off
	v_mul_lo_u32 v2, v43, s15
	v_mov_b32_e32 v3, 0
	s_cmp_eq_u32 s12, 0
	v_lshlrev_b64 v[2:3], 4, v[2:3]
	v_max_i32_e32 v4, v42, v43
	v_lshlrev_b32_e32 v5, 3, v42
	v_mov_b32_e32 v6, s47
	v_lshlrev_b32_e32 v7, 4, v42
	v_and_b32_e32 v8, 56, v38
	s_cselect_b64 s[0:1], -1, 0
	v_add_co_u32_e64 v2, s[2:3], s46, v2
	v_cmp_gt_i32_e32 vcc, s15, v4
	v_cndmask_b32_e64 v4, v5, v8, s[0:1]
	v_addc_co_u32_e64 v3, s[2:3], v6, v3, s[2:3]
	v_cndmask_b32_e64 v5, v43, v42, s[0:1]
	v_add_co_u32_e64 v2, s[0:1], v2, v7
	v_addc_co_u32_e64 v3, s[0:1], 0, v3, s[0:1]
	v_mov_b32_e32 v9, 0x8000
	v_or_b32_e32 v4, v5, v4
	s_mov_b32 s4, 0
	v_lshl_add_u32 v4, v4, 4, v41
	v_lshl_or_b32 v7, v40, 5, v9
	s_waitcnt vmcnt(0)
	v_subrev_co_u32_e64 v5, s[0:1], s30, v0
	v_subbrev_co_u32_e64 v6, s[0:1], 0, v1, s[0:1]
	s_branch .LBB239_63
.LBB239_62:                             ;   in Loop: Header=BB239_63 Depth=1
	s_or_b64 exec, exec, s[2:3]
	s_add_i32 s4, s4, 4
	s_cmp_lg_u32 s4, 32
	v_add_u32_e32 v4, 0x400, v4
	s_cbranch_scc0 .LBB239_66
.LBB239_63:                             ; =>This Inner Loop Header: Depth=1
	v_add_u32_e32 v0, s4, v7
	ds_read_b32 v8, v0
	s_waitcnt lgkmcnt(0)
	v_cmp_gt_i32_e64 s[0:1], s14, v8
	s_and_saveexec_b64 s[2:3], s[0:1]
	s_cbranch_execz .LBB239_62
; %bb.64:                               ;   in Loop: Header=BB239_63 Depth=1
	ds_read_b128 v[10:13], v39
	ds_read_b128 v[14:17], v39 offset:16
	s_waitcnt lgkmcnt(1)
	v_cmp_gt_i32_e64 s[0:1], v8, v10
	v_cndmask_b32_e64 v0, 0, 1, s[0:1]
	v_add_co_u32_e64 v0, s[0:1], v5, v0
	v_addc_co_u32_e64 v1, s[0:1], 0, v6, s[0:1]
	v_cmp_gt_i32_e64 s[0:1], v8, v11
	v_cndmask_b32_e64 v9, 0, 1, s[0:1]
	v_add_co_u32_e64 v0, s[0:1], v0, v9
	v_addc_co_u32_e64 v1, s[0:1], 0, v1, s[0:1]
	;; [unrolled: 4-line block ×4, first 2 shown]
	s_waitcnt lgkmcnt(0)
	v_cmp_gt_i32_e64 s[0:1], v8, v14
	v_cndmask_b32_e64 v9, 0, 1, s[0:1]
	v_add_co_u32_e64 v0, s[0:1], v0, v9
	v_addc_co_u32_e64 v1, s[0:1], 0, v1, s[0:1]
	v_cmp_gt_i32_e64 s[0:1], v8, v15
	v_cndmask_b32_e64 v9, 0, 1, s[0:1]
	v_add_co_u32_e64 v0, s[0:1], v0, v9
	v_addc_co_u32_e64 v1, s[0:1], 0, v1, s[0:1]
	;; [unrolled: 4-line block ×4, first 2 shown]
	v_add_u32_e32 v10, s30, v8
	v_lshlrev_b64 v[8:9], 2, v[0:1]
	v_mov_b32_e32 v11, s45
	v_add_co_u32_e64 v8, s[0:1], s44, v8
	v_addc_co_u32_e64 v9, s[0:1], v11, v9, s[0:1]
	global_store_dword v[8:9], v10, off
	s_and_b64 exec, exec, vcc
	s_cbranch_execz .LBB239_62
; %bb.65:                               ;   in Loop: Header=BB239_63 Depth=1
	v_mad_u64_u32 v[8:9], s[0:1], v0, s6, 0
	v_mov_b32_e32 v0, v9
	v_mad_u64_u32 v[0:1], s[0:1], v1, s6, v[0:1]
	v_mov_b32_e32 v9, v0
	v_lshlrev_b64 v[0:1], 4, v[8:9]
	ds_read2_b64 v[8:11], v4 offset1:1
	v_add_co_u32_e64 v0, s[0:1], v2, v0
	v_addc_co_u32_e64 v1, s[0:1], v3, v1, s[0:1]
	s_waitcnt lgkmcnt(0)
	global_store_dwordx4 v[0:1], v[8:11], off
	s_branch .LBB239_62
.LBB239_66:
	s_endpgm
	.section	.rodata,"a",@progbits
	.p2align	6, 0x0
	.amdhsa_kernel _ZN9rocsparseL23bsrgemm_fill_wf_per_rowILj256ELj64ELj8ELj137ELj8Eli21rocsparse_complex_numIdEEEv20rocsparse_direction_T5_S4_S4_PKS4_S6_NS_24const_host_device_scalarIT6_EEPKT4_S6_PKS8_SC_S6_SE_S9_SC_S6_SE_SC_PS4_PS8_21rocsparse_index_base_SH_SH_SH_bbb
		.amdhsa_group_segment_fixed_size 36992
		.amdhsa_private_segment_fixed_size 0
		.amdhsa_kernarg_size 180
		.amdhsa_user_sgpr_count 8
		.amdhsa_user_sgpr_private_segment_buffer 1
		.amdhsa_user_sgpr_dispatch_ptr 1
		.amdhsa_user_sgpr_queue_ptr 0
		.amdhsa_user_sgpr_kernarg_segment_ptr 1
		.amdhsa_user_sgpr_dispatch_id 0
		.amdhsa_user_sgpr_flat_scratch_init 0
		.amdhsa_user_sgpr_kernarg_preload_length 0
		.amdhsa_user_sgpr_kernarg_preload_offset 0
		.amdhsa_user_sgpr_private_segment_size 0
		.amdhsa_uses_dynamic_stack 0
		.amdhsa_system_sgpr_private_segment_wavefront_offset 0
		.amdhsa_system_sgpr_workgroup_id_x 1
		.amdhsa_system_sgpr_workgroup_id_y 0
		.amdhsa_system_sgpr_workgroup_id_z 0
		.amdhsa_system_sgpr_workgroup_info 0
		.amdhsa_system_vgpr_workitem_id 2
		.amdhsa_next_free_vgpr 60
		.amdhsa_next_free_sgpr 64
		.amdhsa_accum_offset 60
		.amdhsa_reserve_vcc 1
		.amdhsa_reserve_flat_scratch 0
		.amdhsa_float_round_mode_32 0
		.amdhsa_float_round_mode_16_64 0
		.amdhsa_float_denorm_mode_32 3
		.amdhsa_float_denorm_mode_16_64 3
		.amdhsa_dx10_clamp 1
		.amdhsa_ieee_mode 1
		.amdhsa_fp16_overflow 0
		.amdhsa_tg_split 0
		.amdhsa_exception_fp_ieee_invalid_op 0
		.amdhsa_exception_fp_denorm_src 0
		.amdhsa_exception_fp_ieee_div_zero 0
		.amdhsa_exception_fp_ieee_overflow 0
		.amdhsa_exception_fp_ieee_underflow 0
		.amdhsa_exception_fp_ieee_inexact 0
		.amdhsa_exception_int_div_zero 0
	.end_amdhsa_kernel
	.section	.text._ZN9rocsparseL23bsrgemm_fill_wf_per_rowILj256ELj64ELj8ELj137ELj8Eli21rocsparse_complex_numIdEEEv20rocsparse_direction_T5_S4_S4_PKS4_S6_NS_24const_host_device_scalarIT6_EEPKT4_S6_PKS8_SC_S6_SE_S9_SC_S6_SE_SC_PS4_PS8_21rocsparse_index_base_SH_SH_SH_bbb,"axG",@progbits,_ZN9rocsparseL23bsrgemm_fill_wf_per_rowILj256ELj64ELj8ELj137ELj8Eli21rocsparse_complex_numIdEEEv20rocsparse_direction_T5_S4_S4_PKS4_S6_NS_24const_host_device_scalarIT6_EEPKT4_S6_PKS8_SC_S6_SE_S9_SC_S6_SE_SC_PS4_PS8_21rocsparse_index_base_SH_SH_SH_bbb,comdat
.Lfunc_end239:
	.size	_ZN9rocsparseL23bsrgemm_fill_wf_per_rowILj256ELj64ELj8ELj137ELj8Eli21rocsparse_complex_numIdEEEv20rocsparse_direction_T5_S4_S4_PKS4_S6_NS_24const_host_device_scalarIT6_EEPKT4_S6_PKS8_SC_S6_SE_S9_SC_S6_SE_SC_PS4_PS8_21rocsparse_index_base_SH_SH_SH_bbb, .Lfunc_end239-_ZN9rocsparseL23bsrgemm_fill_wf_per_rowILj256ELj64ELj8ELj137ELj8Eli21rocsparse_complex_numIdEEEv20rocsparse_direction_T5_S4_S4_PKS4_S6_NS_24const_host_device_scalarIT6_EEPKT4_S6_PKS8_SC_S6_SE_S9_SC_S6_SE_SC_PS4_PS8_21rocsparse_index_base_SH_SH_SH_bbb
                                        ; -- End function
	.section	.AMDGPU.csdata,"",@progbits
; Kernel info:
; codeLenInByte = 3168
; NumSgprs: 68
; NumVgprs: 60
; NumAgprs: 0
; TotalNumVgprs: 60
; ScratchSize: 0
; MemoryBound: 0
; FloatMode: 240
; IeeeMode: 1
; LDSByteSize: 36992 bytes/workgroup (compile time only)
; SGPRBlocks: 8
; VGPRBlocks: 7
; NumSGPRsForWavesPerEU: 68
; NumVGPRsForWavesPerEU: 60
; AccumOffset: 60
; Occupancy: 1
; WaveLimiterHint : 1
; COMPUTE_PGM_RSRC2:SCRATCH_EN: 0
; COMPUTE_PGM_RSRC2:USER_SGPR: 8
; COMPUTE_PGM_RSRC2:TRAP_HANDLER: 0
; COMPUTE_PGM_RSRC2:TGID_X_EN: 1
; COMPUTE_PGM_RSRC2:TGID_Y_EN: 0
; COMPUTE_PGM_RSRC2:TGID_Z_EN: 0
; COMPUTE_PGM_RSRC2:TIDIG_COMP_CNT: 2
; COMPUTE_PGM_RSRC3_GFX90A:ACCUM_OFFSET: 14
; COMPUTE_PGM_RSRC3_GFX90A:TG_SPLIT: 0
	.section	.text._ZN9rocsparseL38bsrgemm_block_per_row_atomic_multipassILj256ELj16ELj8Eli21rocsparse_complex_numIdEEEv20rocsparse_direction_T3_S4_PKS4_S6_NS_24const_host_device_scalarIT4_EEPKT2_S6_PKS8_SC_S6_SE_S9_SC_S6_SE_SC_PS4_PS8_PSA_21rocsparse_index_base_SI_SI_SI_bbb,"axG",@progbits,_ZN9rocsparseL38bsrgemm_block_per_row_atomic_multipassILj256ELj16ELj8Eli21rocsparse_complex_numIdEEEv20rocsparse_direction_T3_S4_PKS4_S6_NS_24const_host_device_scalarIT4_EEPKT2_S6_PKS8_SC_S6_SE_S9_SC_S6_SE_SC_PS4_PS8_PSA_21rocsparse_index_base_SI_SI_SI_bbb,comdat
	.globl	_ZN9rocsparseL38bsrgemm_block_per_row_atomic_multipassILj256ELj16ELj8Eli21rocsparse_complex_numIdEEEv20rocsparse_direction_T3_S4_PKS4_S6_NS_24const_host_device_scalarIT4_EEPKT2_S6_PKS8_SC_S6_SE_S9_SC_S6_SE_SC_PS4_PS8_PSA_21rocsparse_index_base_SI_SI_SI_bbb ; -- Begin function _ZN9rocsparseL38bsrgemm_block_per_row_atomic_multipassILj256ELj16ELj8Eli21rocsparse_complex_numIdEEEv20rocsparse_direction_T3_S4_PKS4_S6_NS_24const_host_device_scalarIT4_EEPKT2_S6_PKS8_SC_S6_SE_S9_SC_S6_SE_SC_PS4_PS8_PSA_21rocsparse_index_base_SI_SI_SI_bbb
	.p2align	8
	.type	_ZN9rocsparseL38bsrgemm_block_per_row_atomic_multipassILj256ELj16ELj8Eli21rocsparse_complex_numIdEEEv20rocsparse_direction_T3_S4_PKS4_S6_NS_24const_host_device_scalarIT4_EEPKT2_S6_PKS8_SC_S6_SE_S9_SC_S6_SE_SC_PS4_PS8_PSA_21rocsparse_index_base_SI_SI_SI_bbb,@function
_ZN9rocsparseL38bsrgemm_block_per_row_atomic_multipassILj256ELj16ELj8Eli21rocsparse_complex_numIdEEEv20rocsparse_direction_T3_S4_PKS4_S6_NS_24const_host_device_scalarIT4_EEPKT2_S6_PKS8_SC_S6_SE_S9_SC_S6_SE_SC_PS4_PS8_PSA_21rocsparse_index_base_SI_SI_SI_bbb: ; @_ZN9rocsparseL38bsrgemm_block_per_row_atomic_multipassILj256ELj16ELj8Eli21rocsparse_complex_numIdEEEv20rocsparse_direction_T3_S4_PKS4_S6_NS_24const_host_device_scalarIT4_EEPKT2_S6_PKS8_SC_S6_SE_S9_SC_S6_SE_SC_PS4_PS8_PSA_21rocsparse_index_base_SI_SI_SI_bbb
; %bb.0:
	s_add_u32 flat_scratch_lo, s6, s9
	s_addc_u32 flat_scratch_hi, s7, 0
	s_load_dwordx4 s[16:19], s[4:5], 0x20
	s_load_dwordx4 s[12:15], s[4:5], 0x60
	s_add_u32 s0, s0, s9
	s_load_dword s9, s[4:5], 0xb8
	s_load_dwordx4 s[28:31], s[4:5], 0xa8
	s_addc_u32 s1, s1, 0
	s_waitcnt lgkmcnt(0)
	v_mov_b32_e32 v1, s17
	buffer_store_dword v1, off, s[0:3], 0 offset:4
	s_bitcmp1_b32 s9, 0
	s_cselect_b64 s[20:21], -1, 0
	s_bitcmp1_b32 s9, 16
	v_mov_b32_e32 v1, s16
	s_cselect_b64 s[6:7], -1, 0
	buffer_store_dword v1, off, s[0:3], 0
	v_mov_b32_e32 v1, s13
	buffer_store_dword v1, off, s[0:3], 0 offset:12
	v_mov_b32_e32 v1, s12
	s_xor_b64 s[10:11], s[6:7], -1
	buffer_store_dword v1, off, s[0:3], 0 offset:8
	v_pk_mov_b32 v[8:9], 0, 0
	v_cndmask_b32_e64 v1, 0, 1, s[10:11]
	s_bitcmp0_b32 s9, 0
	v_cmp_ne_u32_e64 s[10:11], 1, v1
	v_pk_mov_b32 v[6:7], v[8:9], v[8:9] op_sel:[0,1]
	v_pk_mov_b32 v[10:11], v[8:9], v[8:9] op_sel:[0,1]
	s_cbranch_scc1 .LBB240_3
; %bb.1:
	s_mov_b64 s[22:23], src_private_base
	s_and_b64 s[24:25], s[6:7], exec
	s_cselect_b32 s22, s23, s17
	v_mov_b32_e32 v1, 0
	v_mov_b32_e32 v2, s16
	v_cndmask_b32_e64 v2, v2, v1, s[6:7]
	v_mov_b32_e32 v3, s22
	flat_load_dwordx2 v[6:7], v[2:3]
	s_and_b64 vcc, exec, s[10:11]
	v_pk_mov_b32 v[10:11], s[18:19], s[18:19] op_sel:[0,1]
	s_cbranch_vccnz .LBB240_3
; %bb.2:
	v_pk_mov_b32 v[2:3], s[16:17], s[16:17] op_sel:[0,1]
	flat_load_dwordx2 v[10:11], v[2:3] offset:8
.LBB240_3:
	s_load_dwordx2 s[16:17], s[4:5], 0x18
	s_bitcmp1_b32 s9, 8
	s_cselect_b64 s[34:35], -1, 0
	s_bfe_u32 s9, s9, 0x10008
	s_cmp_eq_u32 s9, 0
	v_pk_mov_b32 v[12:13], v[8:9], v[8:9] op_sel:[0,1]
	s_cbranch_scc1 .LBB240_6
; %bb.4:
	s_mov_b64 s[18:19], src_private_base
	s_and_b64 s[22:23], s[6:7], exec
	s_cselect_b32 s9, s19, s13
	v_mov_b32_e32 v1, 8
	v_mov_b32_e32 v2, s12
	v_cndmask_b32_e64 v2, v2, v1, s[6:7]
	v_mov_b32_e32 v3, s9
	flat_load_dwordx2 v[12:13], v[2:3]
	s_and_b64 vcc, exec, s[10:11]
	v_pk_mov_b32 v[8:9], s[14:15], s[14:15] op_sel:[0,1]
	s_cbranch_vccnz .LBB240_6
; %bb.5:
	v_pk_mov_b32 v[2:3], s[12:13], s[12:13] op_sel:[0,1]
	flat_load_dwordx2 v[8:9], v[2:3] offset:8
.LBB240_6:
	s_load_dwordx2 s[10:11], s[4:5], 0x30
	s_waitcnt lgkmcnt(0)
	s_cmp_eq_u64 s[16:17], 0
	s_cbranch_scc1 .LBB240_8
; %bb.7:
	s_load_dwordx2 s[6:7], s[4:5], 0x10
	s_waitcnt lgkmcnt(0)
	s_load_dword s6, s[6:7], 0x0
	s_mov_b32 s7, 0
	s_waitcnt lgkmcnt(0)
	s_add_i32 s6, s6, s8
	s_lshl_b64 s[6:7], s[6:7], 2
	s_add_u32 s6, s16, s6
	s_addc_u32 s7, s17, s7
	s_load_dword s8, s[6:7], 0x0
.LBB240_8:
	v_cndmask_b32_e64 v1, 0, 1, s[20:21]
	s_mov_b64 s[60:61], 0
	v_cmp_ne_u32_e64 s[6:7], 1, v1
	s_andn2_b64 vcc, exec, s[20:21]
	s_mov_b64 s[62:63], 0
	s_cbranch_vccz .LBB240_11
; %bb.9:
	s_and_b64 vcc, exec, s[6:7]
	s_cbranch_vccz .LBB240_12
.LBB240_10:
	s_load_dwordx4 s[52:55], s[4:5], 0x0
	s_waitcnt lgkmcnt(0)
	s_cmp_lt_i32 s53, 1
	s_cbranch_scc0 .LBB240_13
	s_branch .LBB240_92
.LBB240_11:
	s_waitcnt lgkmcnt(0)
	s_ashr_i32 s9, s8, 31
	s_lshl_b64 s[12:13], s[8:9], 3
	s_add_u32 s12, s10, s12
	s_addc_u32 s13, s11, s13
	s_load_dwordx2 s[12:13], s[12:13], 0x0
	s_waitcnt lgkmcnt(0)
	s_sub_u32 s62, s12, s28
	s_subb_u32 s63, s13, 0
	s_and_b64 vcc, exec, s[6:7]
	s_cbranch_vccnz .LBB240_10
.LBB240_12:
	s_waitcnt lgkmcnt(0)
	s_ashr_i32 s9, s8, 31
	s_lshl_b64 s[6:7], s[8:9], 3
	s_add_u32 s6, s10, s6
	s_addc_u32 s7, s11, s7
	s_load_dwordx2 s[6:7], s[6:7], 0x8
	s_waitcnt lgkmcnt(0)
	s_sub_u32 s60, s6, s28
	s_subb_u32 s61, s7, 0
	s_load_dwordx4 s[52:55], s[4:5], 0x0
	s_waitcnt lgkmcnt(0)
	s_cmp_lt_i32 s53, 1
	s_cbranch_scc1 .LBB240_92
.LBB240_13:
	s_load_dwordx2 s[64:65], s[4:5], 0xa0
	s_load_dwordx4 s[56:59], s[4:5], 0x90
	s_load_dwordx8 s[36:43], s[4:5], 0x70
	s_load_dwordx2 s[26:27], s[4:5], 0x58
	s_load_dwordx8 s[44:51], s[4:5], 0x38
	v_pk_mov_b32 v[2:3], s[60:61], s[60:61] op_sel:[0,1]
	v_bfe_u32 v15, v0, 3, 3
	v_cmp_lt_i64_e32 vcc, s[62:63], v[2:3]
	v_mov_b32_e32 v2, 0
	v_and_b32_e32 v17, 7, v0
	v_mul_lo_u32 v4, v15, s54
	v_mov_b32_e32 v5, v2
	s_ashr_i32 s9, s8, 31
	v_max_i32_e32 v3, v17, v15
	v_lshlrev_b64 v[4:5], 4, v[4:5]
	s_lshl_b64 s[14:15], s[8:9], 3
	v_cmp_gt_i32_e64 s[8:9], s54, v3
	v_cmp_le_i32_e64 s[10:11], s54, v3
	s_waitcnt lgkmcnt(0)
	v_mov_b32_e32 v3, s47
	v_add_co_u32_e64 v16, s[12:13], s46, v4
	v_addc_co_u32_e64 v3, s[12:13], v3, v5, s[12:13]
	v_lshlrev_b32_e32 v20, 4, v17
	v_add_co_u32_e64 v46, s[12:13], v16, v20
	v_mul_lo_u32 v18, v17, s54
	v_mov_b32_e32 v19, v2
	v_addc_co_u32_e64 v47, s[12:13], 0, v3, s[12:13]
	v_lshlrev_b64 v[18:19], 4, v[18:19]
	v_lshlrev_b32_e32 v3, 4, v15
	v_mov_b32_e32 v15, s59
	v_add_co_u32_e64 v16, s[12:13], s58, v18
	v_addc_co_u32_e64 v21, s[12:13], v15, v19, s[12:13]
	v_add_co_u32_e64 v16, s[12:13], v16, v3
	v_addc_co_u32_e64 v21, s[12:13], 0, v21, s[12:13]
	;; [unrolled: 2-line block ×3, first 2 shown]
	s_add_u32 s4, s42, s14
	v_add_co_u32_e64 v22, s[12:13], v22, v20
	s_addc_u32 s5, s43, s15
	v_lshrrev_b32_e32 v14, 6, v0
	v_addc_co_u32_e64 v15, s[12:13], 0, v15, s[12:13]
	s_load_dwordx2 s[4:5], s[4:5], 0x0
	v_subrev_co_u32_e64 v49, s[12:13], s31, v14
	v_subb_co_u32_e64 v50, s[12:13], 0, 0, s[12:13]
	v_mov_b32_e32 v23, s41
	v_add_co_u32_e64 v24, s[12:13], s40, v18
	v_addc_co_u32_e64 v25, s[12:13], v23, v19, s[12:13]
	v_add_co_u32_e64 v24, s[12:13], v24, v3
	s_waitcnt lgkmcnt(0)
	s_sub_u32 s68, s4, s30
	v_addc_co_u32_e64 v25, s[12:13], 0, v25, s[12:13]
	s_subb_u32 s69, s5, 0
	v_add_co_u32_e64 v4, s[12:13], s40, v4
	s_cmp_eq_u32 s52, 0
	v_addc_co_u32_e64 v5, s[12:13], v23, v5, s[12:13]
	s_cselect_b64 s[24:25], -1, 0
	s_cmp_lg_u32 s52, 0
	v_add_co_u32_e64 v4, s[12:13], v4, v20
	v_and_b32_e32 v1, 63, v0
	s_cselect_b64 s[46:47], -1, 0
	s_cmp_gt_i32 s54, 0
	v_addc_co_u32_e64 v5, s[12:13], 0, v5, s[12:13]
	v_mov_b32_e32 v27, 0x5000
	v_cmp_gt_u32_e64 s[4:5], 16, v0
	v_cmp_eq_u32_e64 s[6:7], 0, v0
	v_lshlrev_b32_e32 v44, 4, v0
	s_movk_i32 s55, 0x4000
	s_cselect_b64 s[70:71], -1, 0
	v_and_b32_e32 v48, 56, v0
	s_add_u32 s36, s36, s14
	v_cmp_eq_u32_e64 s[12:13], 63, v1
	v_and_b32_e32 v1, 15, v0
	v_lshl_or_b32 v53, v0, 2, v27
	v_or_b32_e32 v57, 0xffffff00, v0
	v_lshlrev_b32_e32 v0, 10, v14
	s_addc_u32 s37, s37, s15
	s_and_b64 s[40:41], s[20:21], vcc
	v_or3_b32 v58, v0, v3, s55
	v_mov_b32_e32 v0, s27
	v_add_co_u32_e32 v3, vcc, s26, v18
	v_lshlrev_b32_e32 v23, 2, v1
	v_add_co_u32_e64 v26, s[14:15], -1, v1
	v_cmp_ne_u32_e64 s[16:17], 0, v1
	v_cmp_lt_u32_e64 s[18:19], 1, v1
	v_cmp_lt_u32_e64 s[20:21], 3, v1
	;; [unrolled: 1-line block ×3, first 2 shown]
	v_cndmask_b32_e64 v1, v21, v15, s[24:25]
	v_addc_co_u32_e32 v15, vcc, v19, v0, vcc
	v_add_co_u32_e32 v18, vcc, 8, v3
	v_addc_co_u32_e32 v19, vcc, 0, v15, vcc
	v_add_co_u32_e32 v3, vcc, s26, v20
	v_addc_co_u32_e32 v0, vcc, 0, v0, vcc
	v_add_co_u32_e32 v20, vcc, 8, v3
	v_cndmask_b32_e64 v4, v24, v4, s[24:25]
	v_addc_co_u32_e32 v21, vcc, 0, v0, vcc
	v_cndmask_b32_e64 v16, v16, v22, s[24:25]
	v_cndmask_b32_e64 v5, v25, v5, s[24:25]
	s_add_u32 s87, s48, 8
	v_add_co_u32_e32 v22, vcc, 8, v4
	s_mov_b32 s43, 0
	v_or_b32_e32 v51, 0x5000, v23
	v_add_u32_e32 v54, 0x4ff8, v23
	v_add_u32_e32 v55, 0x4ff0, v23
	;; [unrolled: 1-line block ×3, first 2 shown]
	s_addc_u32 s88, s49, 0
	v_addc_co_u32_e32 v23, vcc, 0, v5, vcc
	s_mul_i32 s42, s54, s54
	s_add_u32 s89, s56, -4
	s_mov_b32 s55, s43
	v_and_b32_e32 v0, 0xf80, v44
	v_add_co_u32_e32 v60, vcc, 4, v49
	v_or_b32_e32 v45, 0x4000, v44
	s_mov_b32 s33, s29
	s_mov_b32 s86, s43
	;; [unrolled: 1-line block ×3, first 2 shown]
	v_lshl_add_u32 v52, v26, 2, v27
	s_addc_u32 s90, s57, -1
	s_lshl_b64 s[56:57], s[42:43], 4
	s_lshl_b64 s[58:59], s[54:55], 4
	v_or_b32_e32 v59, 0x4000, v0
	s_lshl_b64 s[66:67], s[42:43], 6
	v_addc_co_u32_e32 v61, vcc, 0, v50, vcc
	v_lshl_or_b32 v62, v14, 2, v27
	v_mov_b32_e32 v0, 16
	v_pk_mov_b32 v[24:25], s[68:69], s[68:69] op_sel:[0,1]
	v_mov_b32_e32 v3, v2
	v_mov_b32_e32 v4, v2
	v_mov_b32_e32 v5, v2
	s_movk_i32 s55, 0x2ff
	v_mov_b32_e32 v63, 1
	v_cndmask_b32_e64 v64, 0, 1, s[70:71]
	s_branch .LBB240_15
.LBB240_14:                             ;   in Loop: Header=BB240_15 Depth=1
	s_or_b64 exec, exec, s[24:25]
	s_barrier
	ds_read_b32 v15, v2 offset:20544
	v_ashrrev_i32_e32 v0, 31, v26
	v_add_co_u32_e32 v24, vcc, v24, v26
	v_addc_co_u32_e32 v25, vcc, v25, v0, vcc
	s_waitcnt lgkmcnt(0)
	v_cmp_le_i32_e32 vcc, s53, v15
	v_readfirstlane_b32 s43, v15
	v_add_u32_e32 v0, 16, v15
	s_barrier
	s_cbranch_vccnz .LBB240_92
.LBB240_15:                             ; =>This Loop Header: Depth=1
                                        ;     Child Loop BB240_18 Depth 2
                                        ;     Child Loop BB240_24 Depth 2
                                        ;       Child Loop BB240_38 Depth 3
                                        ;         Child Loop BB240_47 Depth 4
                                        ;         Child Loop BB240_52 Depth 4
                                        ;     Child Loop BB240_63 Depth 2
                                        ;     Child Loop BB240_72 Depth 2
	;; [unrolled: 1-line block ×3, first 2 shown]
	s_and_saveexec_b64 s[24:25], s[4:5]
	s_cbranch_execz .LBB240_17
; %bb.16:                               ;   in Loop: Header=BB240_15 Depth=1
	ds_write_b32 v53, v2
.LBB240_17:                             ;   in Loop: Header=BB240_15 Depth=1
	s_or_b64 exec, exec, s[24:25]
	s_mov_b64 s[24:25], 0
	v_mov_b32_e32 v15, v44
	v_mov_b32_e32 v26, v57
.LBB240_18:                             ;   Parent Loop BB240_15 Depth=1
                                        ; =>  This Inner Loop Header: Depth=2
	v_add_u32_e32 v26, 0x100, v26
	v_cmp_lt_u32_e32 vcc, s55, v26
	ds_write_b128 v15, v[2:5]
	s_or_b64 s[24:25], vcc, s[24:25]
	v_add_u32_e32 v15, 0x1000, v15
	s_andn2_b64 exec, exec, s[24:25]
	s_cbranch_execnz .LBB240_18
; %bb.19:                               ;   in Loop: Header=BB240_15 Depth=1
	s_or_b64 exec, exec, s[24:25]
	s_and_saveexec_b64 s[24:25], s[6:7]
	s_cbranch_execz .LBB240_21
; %bb.20:                               ;   in Loop: Header=BB240_15 Depth=1
	v_mov_b32_e32 v15, s53
	ds_write_b32 v2, v15 offset:20544
.LBB240_21:                             ;   in Loop: Header=BB240_15 Depth=1
	s_or_b64 exec, exec, s[24:25]
	s_andn2_b64 vcc, exec, s[40:41]
	v_mov_b32_e32 v15, s53
	s_waitcnt lgkmcnt(0)
	s_barrier
	s_cbranch_vccnz .LBB240_58
; %bb.22:                               ;   in Loop: Header=BB240_15 Depth=1
	s_cmp_lg_u32 s43, 0
	s_cselect_b64 s[68:69], -1, 0
	v_mov_b32_e32 v15, s53
	s_mov_b64 s[70:71], s[62:63]
	s_branch .LBB240_24
.LBB240_23:                             ;   in Loop: Header=BB240_24 Depth=2
	s_or_b64 exec, exec, s[26:27]
	s_add_u32 s70, s70, 4
	s_addc_u32 s71, s71, 0
	v_pk_mov_b32 v[26:27], s[60:61], s[60:61] op_sel:[0,1]
	v_cmp_lt_i64_e32 vcc, s[70:71], v[26:27]
	s_cbranch_vccz .LBB240_58
.LBB240_24:                             ;   Parent Loop BB240_15 Depth=1
                                        ; =>  This Loop Header: Depth=2
                                        ;       Child Loop BB240_38 Depth 3
                                        ;         Child Loop BB240_47 Depth 4
                                        ;         Child Loop BB240_52 Depth 4
	v_mov_b32_e32 v27, s71
	v_add_co_u32_e32 v26, vcc, s70, v14
	v_addc_co_u32_e32 v27, vcc, 0, v27, vcc
	v_cmp_gt_i64_e64 s[24:25], s[60:61], v[26:27]
	s_barrier
	s_and_saveexec_b64 s[26:27], s[24:25]
	s_cbranch_execz .LBB240_29
; %bb.25:                               ;   in Loop: Header=BB240_24 Depth=2
	s_and_saveexec_b64 s[72:73], s[10:11]
	s_xor_b64 s[72:73], exec, s[72:73]
	s_cbranch_execz .LBB240_27
; %bb.26:                               ;   in Loop: Header=BB240_24 Depth=2
	ds_write_b128 v45, v[2:5]
.LBB240_27:                             ;   in Loop: Header=BB240_24 Depth=2
	s_andn2_saveexec_b64 s[72:73], s[72:73]
	s_cbranch_execz .LBB240_29
; %bb.28:                               ;   in Loop: Header=BB240_24 Depth=2
	v_mad_u64_u32 v[28:29], s[72:73], v26, s42, 0
	v_mov_b32_e32 v30, v29
	v_mad_u64_u32 v[30:31], s[72:73], v27, s42, v[30:31]
	v_mov_b32_e32 v29, v30
	v_lshlrev_b64 v[28:29], 4, v[28:29]
	v_add_co_u32_e32 v28, vcc, v46, v28
	v_addc_co_u32_e32 v29, vcc, v47, v29, vcc
	global_load_dwordx4 v[28:31], v[28:29], off
	s_waitcnt vmcnt(0)
	ds_write2_b64 v45, v[28:29], v[30:31] offset1:1
.LBB240_29:                             ;   in Loop: Header=BB240_24 Depth=2
	s_or_b64 exec, exec, s[26:27]
	v_pk_mov_b32 v[28:29], 0, 0
	s_waitcnt lgkmcnt(0)
	s_barrier
	s_and_saveexec_b64 s[72:73], s[24:25]
	s_cbranch_execz .LBB240_55
; %bb.30:                               ;   in Loop: Header=BB240_24 Depth=2
	v_lshlrev_b64 v[28:29], 2, v[26:27]
	v_mov_b32_e32 v30, s45
	v_add_co_u32_e32 v28, vcc, s44, v28
	v_addc_co_u32_e32 v29, vcc, v30, v29, vcc
	global_load_dword v28, v[28:29], off
	s_and_b64 vcc, exec, s[68:69]
	s_waitcnt vmcnt(0)
	v_subrev_u32_e32 v30, s28, v28
	v_ashrrev_i32_e32 v31, 31, v30
	s_cbranch_vccz .LBB240_57
; %bb.31:                               ;   in Loop: Header=BB240_24 Depth=2
	v_lshlrev_b64 v[28:29], 3, v[26:27]
	v_mov_b32_e32 v32, s65
	v_add_co_u32_e32 v28, vcc, s64, v28
	v_addc_co_u32_e32 v29, vcc, v32, v29, vcc
	global_load_dwordx2 v[28:29], v[28:29], off
	s_cbranch_execnz .LBB240_33
.LBB240_32:                             ;   in Loop: Header=BB240_24 Depth=2
	s_waitcnt vmcnt(0)
	v_lshlrev_b64 v[28:29], 3, v[30:31]
	v_mov_b32_e32 v32, s49
	v_add_co_u32_e32 v28, vcc, s48, v28
	v_addc_co_u32_e32 v29, vcc, v32, v29, vcc
	global_load_dwordx2 v[28:29], v[28:29], off
	v_mov_b32_e32 v32, s86
	s_waitcnt vmcnt(0)
	v_subrev_co_u32_e32 v28, vcc, s33, v28
	v_subb_co_u32_e32 v29, vcc, v29, v32, vcc
.LBB240_33:                             ;   in Loop: Header=BB240_24 Depth=2
	v_lshlrev_b64 v[30:31], 3, v[30:31]
	v_mov_b32_e32 v32, s88
	v_add_co_u32_e32 v30, vcc, s87, v30
	v_addc_co_u32_e32 v31, vcc, v32, v31, vcc
	global_load_dwordx2 v[30:31], v[30:31], off
	v_mov_b32_e32 v32, s86
	s_waitcnt vmcnt(0)
	v_subrev_co_u32_e32 v30, vcc, s33, v30
	v_subb_co_u32_e32 v31, vcc, v31, v32, vcc
	v_cmp_lt_i64_e32 vcc, v[28:29], v[30:31]
	s_and_saveexec_b64 s[74:75], vcc
	s_cbranch_execz .LBB240_54
; %bb.34:                               ;   in Loop: Header=BB240_24 Depth=2
	v_mad_u64_u32 v[32:33], s[26:27], s56, v28, v[18:19]
	v_mul_lo_u32 v36, s56, v29
	v_mul_lo_u32 v37, s57, v28
	v_mad_u64_u32 v[34:35], s[26:27], s56, v28, v[20:21]
	v_add3_u32 v33, v37, v33, v36
	v_add3_u32 v35, v37, v35, v36
	s_mov_b64 s[76:77], 0
	v_pk_mov_b32 v[36:37], v[28:29], v[28:29] op_sel:[0,1]
	s_branch .LBB240_38
.LBB240_35:                             ;   in Loop: Header=BB240_38 Depth=3
	v_lshlrev_b32_e32 v42, 6, v65
	v_or3_b32 v42, v42, v48, v17
	v_lshlrev_b32_e32 v65, 4, v42
	v_mul_f64 v[42:43], v[40:41], -v[10:11]
	v_fmac_f64_e32 v[42:43], v[6:7], v[38:39]
	v_mul_f64 v[40:41], v[6:7], v[40:41]
	v_fmac_f64_e32 v[40:41], v[10:11], v[38:39]
	ds_add_f64 v65, v[42:43]
	ds_add_f64 v65, v[40:41] offset:8
.LBB240_36:                             ;   in Loop: Header=BB240_38 Depth=3
	s_or_b64 exec, exec, s[82:83]
	s_or_b64 s[78:79], s[78:79], exec
.LBB240_37:                             ;   in Loop: Header=BB240_38 Depth=3
	s_or_b64 exec, exec, s[80:81]
	v_add_co_u32_e32 v36, vcc, 1, v36
	v_addc_co_u32_e32 v37, vcc, 0, v37, vcc
	v_cmp_ge_i64_e32 vcc, v[36:37], v[30:31]
	s_xor_b64 s[26:27], s[78:79], -1
	s_or_b64 s[26:27], s[26:27], vcc
	v_mov_b32_e32 v38, s57
	v_add_co_u32_e32 v32, vcc, s56, v32
	v_addc_co_u32_e32 v33, vcc, v33, v38, vcc
	s_and_b64 s[26:27], exec, s[26:27]
	v_add_co_u32_e32 v34, vcc, s56, v34
	s_or_b64 s[76:77], s[26:27], s[76:77]
	v_addc_co_u32_e32 v35, vcc, v35, v38, vcc
	s_andn2_b64 exec, exec, s[76:77]
	s_cbranch_execz .LBB240_53
.LBB240_38:                             ;   Parent Loop BB240_15 Depth=1
                                        ;     Parent Loop BB240_24 Depth=2
                                        ; =>    This Loop Header: Depth=3
                                        ;         Child Loop BB240_47 Depth 4
                                        ;         Child Loop BB240_52 Depth 4
	v_lshlrev_b64 v[38:39], 2, v[36:37]
	v_mov_b32_e32 v40, s51
	v_add_co_u32_e32 v38, vcc, s50, v38
	v_addc_co_u32_e32 v39, vcc, v40, v39, vcc
	global_load_dword v38, v[38:39], off
                                        ; implicit-def: $sgpr78_sgpr79
	s_waitcnt vmcnt(0)
	v_subrev_u32_e32 v38, s29, v38
	v_cmp_gt_i32_e64 s[26:27], s43, v38
	v_cmp_ge_i32_e32 vcc, v38, v0
	s_or_b64 s[26:27], s[26:27], vcc
	s_and_saveexec_b64 s[80:81], s[26:27]
	s_xor_b64 s[26:27], exec, s[80:81]
	s_cbranch_execz .LBB240_42
; %bb.39:                               ;   in Loop: Header=BB240_38 Depth=3
	s_mov_b64 s[78:79], -1
	s_and_saveexec_b64 s[80:81], vcc
; %bb.40:                               ;   in Loop: Header=BB240_38 Depth=3
	v_min_i32_e32 v15, v38, v15
	s_xor_b64 s[78:79], exec, -1
	v_pk_mov_b32 v[28:29], v[36:37], v[36:37] op_sel:[0,1]
; %bb.41:                               ;   in Loop: Header=BB240_38 Depth=3
	s_or_b64 exec, exec, s[80:81]
	s_and_b64 s[78:79], s[78:79], exec
                                        ; implicit-def: $vgpr38
.LBB240_42:                             ;   in Loop: Header=BB240_38 Depth=3
	s_andn2_saveexec_b64 s[80:81], s[26:27]
	s_cbranch_execz .LBB240_37
; %bb.43:                               ;   in Loop: Header=BB240_38 Depth=3
	v_subrev_u32_e32 v65, s43, v38
	v_lshlrev_b32_e32 v38, 2, v65
	ds_write_b32 v38, v63 offset:20480
	s_and_saveexec_b64 s[82:83], s[8:9]
	s_cbranch_execz .LBB240_36
; %bb.44:                               ;   in Loop: Header=BB240_38 Depth=3
	s_andn2_b64 vcc, exec, s[46:47]
	v_cmp_ne_u32_e64 s[26:27], 1, v64
	s_cbranch_vccnz .LBB240_49
; %bb.45:                               ;   in Loop: Header=BB240_38 Depth=3
	v_pk_mov_b32 v[38:39], 0, 0
	s_mov_b64 s[84:85], 0
	s_and_b64 vcc, exec, s[26:27]
	v_pk_mov_b32 v[40:41], v[38:39], v[38:39] op_sel:[0,1]
	s_cbranch_vccnz .LBB240_48
; %bb.46:                               ;   in Loop: Header=BB240_38 Depth=3
	v_pk_mov_b32 v[38:39], 0, 0
	v_pk_mov_b32 v[42:43], v[32:33], v[32:33] op_sel:[0,1]
	s_mov_b32 s91, s54
	v_mov_b32_e32 v66, v58
	v_pk_mov_b32 v[40:41], v[38:39], v[38:39] op_sel:[0,1]
.LBB240_47:                             ;   Parent Loop BB240_15 Depth=1
                                        ;     Parent Loop BB240_24 Depth=2
                                        ;       Parent Loop BB240_38 Depth=3
                                        ; =>      This Inner Loop Header: Depth=4
	global_load_dwordx4 v[68:71], v[42:43], off offset:-8
	ds_read_b128 v[72:75], v66
	s_add_i32 s91, s91, -1
	v_add_co_u32_e32 v42, vcc, 16, v42
	v_add_u32_e32 v66, 0x80, v66
	v_addc_co_u32_e32 v43, vcc, 0, v43, vcc
	s_cmp_lg_u32 s91, 0
	s_waitcnt vmcnt(0) lgkmcnt(0)
	v_fmac_f64_e32 v[38:39], v[72:73], v[68:69]
	v_fmac_f64_e32 v[40:41], v[74:75], v[68:69]
	v_fma_f64 v[38:39], -v[74:75], v[70:71], v[38:39]
	v_fmac_f64_e32 v[40:41], v[72:73], v[70:71]
	s_cbranch_scc1 .LBB240_47
.LBB240_48:                             ;   in Loop: Header=BB240_38 Depth=3
	s_andn2_b64 vcc, exec, s[84:85]
	s_cbranch_vccnz .LBB240_35
	s_branch .LBB240_50
.LBB240_49:                             ;   in Loop: Header=BB240_38 Depth=3
                                        ; implicit-def: $vgpr38_vgpr39
                                        ; implicit-def: $vgpr40_vgpr41
.LBB240_50:                             ;   in Loop: Header=BB240_38 Depth=3
	v_pk_mov_b32 v[38:39], 0, 0
	s_and_b64 vcc, exec, s[26:27]
	v_pk_mov_b32 v[40:41], v[38:39], v[38:39] op_sel:[0,1]
	s_cbranch_vccnz .LBB240_35
; %bb.51:                               ;   in Loop: Header=BB240_38 Depth=3
	v_pk_mov_b32 v[38:39], 0, 0
	v_mov_b32_e32 v66, v59
	v_pk_mov_b32 v[42:43], v[34:35], v[34:35] op_sel:[0,1]
	s_mov_b32 s26, s54
	v_pk_mov_b32 v[40:41], v[38:39], v[38:39] op_sel:[0,1]
.LBB240_52:                             ;   Parent Loop BB240_15 Depth=1
                                        ;     Parent Loop BB240_24 Depth=2
                                        ;       Parent Loop BB240_38 Depth=3
                                        ; =>      This Inner Loop Header: Depth=4
	global_load_dwordx4 v[68:71], v[42:43], off offset:-8
	ds_read_b128 v[72:75], v66
	s_add_i32 s26, s26, -1
	v_mov_b32_e32 v67, s59
	v_add_co_u32_e32 v42, vcc, s58, v42
	v_add_u32_e32 v66, 16, v66
	v_addc_co_u32_e32 v43, vcc, v43, v67, vcc
	s_cmp_eq_u32 s26, 0
	s_waitcnt vmcnt(0) lgkmcnt(0)
	v_fmac_f64_e32 v[38:39], v[72:73], v[68:69]
	v_fmac_f64_e32 v[40:41], v[74:75], v[68:69]
	v_fma_f64 v[38:39], -v[74:75], v[70:71], v[38:39]
	v_fmac_f64_e32 v[40:41], v[72:73], v[70:71]
	s_cbranch_scc0 .LBB240_52
	s_branch .LBB240_35
.LBB240_53:                             ;   in Loop: Header=BB240_24 Depth=2
	s_or_b64 exec, exec, s[76:77]
.LBB240_54:                             ;   in Loop: Header=BB240_24 Depth=2
	s_or_b64 exec, exec, s[74:75]
.LBB240_55:                             ;   in Loop: Header=BB240_24 Depth=2
	s_or_b64 exec, exec, s[72:73]
	s_waitcnt lgkmcnt(0)
	s_barrier
	s_and_saveexec_b64 s[26:27], s[24:25]
	s_cbranch_execz .LBB240_23
; %bb.56:                               ;   in Loop: Header=BB240_24 Depth=2
	v_lshlrev_b64 v[26:27], 3, v[26:27]
	v_mov_b32_e32 v30, s65
	v_add_co_u32_e32 v26, vcc, s64, v26
	v_addc_co_u32_e32 v27, vcc, v30, v27, vcc
	global_store_dwordx2 v[26:27], v[28:29], off
	s_branch .LBB240_23
.LBB240_57:                             ;   in Loop: Header=BB240_24 Depth=2
                                        ; implicit-def: $vgpr28_vgpr29
	s_branch .LBB240_32
.LBB240_58:                             ;   in Loop: Header=BB240_15 Depth=1
	s_andn2_b64 vcc, exec, s[34:35]
	s_cbranch_vccnz .LBB240_70
; %bb.59:                               ;   in Loop: Header=BB240_15 Depth=1
	s_load_dwordx4 s[24:27], s[36:37], 0x0
	s_waitcnt lgkmcnt(0)
	s_sub_u32 s68, s26, s52
	v_mov_b32_e32 v26, s25
	v_add_co_u32_e32 v30, vcc, s24, v49
	s_subb_u32 s69, s27, 0
	v_addc_co_u32_e32 v31, vcc, v26, v50, vcc
	v_cmp_gt_i64_e32 vcc, s[68:69], v[30:31]
	s_and_saveexec_b64 s[70:71], vcc
	s_cbranch_execz .LBB240_69
; %bb.60:                               ;   in Loop: Header=BB240_15 Depth=1
	v_lshlrev_b64 v[26:27], 2, v[30:31]
	v_mov_b32_e32 v28, s39
	v_add_co_u32_e32 v26, vcc, s38, v26
	v_addc_co_u32_e32 v27, vcc, v28, v27, vcc
	v_mad_u64_u32 v[28:29], s[26:27], s56, v30, v[22:23]
	v_mul_lo_u32 v31, s56, v31
	v_mul_lo_u32 v30, s57, v30
	v_add3_u32 v29, v30, v29, v31
	v_mov_b32_e32 v31, s25
	v_add_co_u32_e32 v30, vcc, s24, v60
	v_addc_co_u32_e32 v31, vcc, v61, v31, vcc
	s_mov_b64 s[72:73], 0
	s_branch .LBB240_63
.LBB240_61:                             ;   in Loop: Header=BB240_63 Depth=2
	s_or_b64 exec, exec, s[74:75]
	s_or_b64 s[24:25], s[24:25], exec
.LBB240_62:                             ;   in Loop: Header=BB240_63 Depth=2
	s_or_b64 exec, exec, s[26:27]
	v_cmp_le_i64_e32 vcc, s[68:69], v[30:31]
	s_xor_b64 s[24:25], s[24:25], -1
	s_or_b64 s[24:25], s[24:25], vcc
	v_add_co_u32_e32 v26, vcc, 16, v26
	v_addc_co_u32_e32 v27, vcc, 0, v27, vcc
	v_mov_b32_e32 v32, s67
	v_add_co_u32_e32 v28, vcc, s66, v28
	v_addc_co_u32_e32 v29, vcc, v29, v32, vcc
	s_and_b64 s[24:25], exec, s[24:25]
	v_add_co_u32_e32 v30, vcc, 4, v30
	s_or_b64 s[72:73], s[24:25], s[72:73]
	v_addc_co_u32_e32 v31, vcc, 0, v31, vcc
	s_andn2_b64 exec, exec, s[72:73]
	s_cbranch_execz .LBB240_68
.LBB240_63:                             ;   Parent Loop BB240_15 Depth=1
                                        ; =>  This Inner Loop Header: Depth=2
	global_load_dword v32, v[26:27], off
	s_waitcnt vmcnt(0)
	v_subrev_u32_e32 v32, s31, v32
	v_cmp_gt_i32_e64 s[24:25], s43, v32
	v_cmp_ge_i32_e64 s[26:27], v32, v0
	v_cmp_lt_i32_e32 vcc, v32, v0
	s_or_b64 s[26:27], s[24:25], s[26:27]
                                        ; implicit-def: $sgpr24_sgpr25
	s_and_saveexec_b64 s[74:75], s[26:27]
	s_xor_b64 s[26:27], exec, s[74:75]
; %bb.64:                               ;   in Loop: Header=BB240_63 Depth=2
	v_min_i32_e32 v32, v32, v15
	v_cndmask_b32_e32 v15, v32, v15, vcc
	s_and_b64 s[24:25], vcc, exec
                                        ; implicit-def: $vgpr32
; %bb.65:                               ;   in Loop: Header=BB240_63 Depth=2
	s_andn2_saveexec_b64 s[26:27], s[26:27]
	s_cbranch_execz .LBB240_62
; %bb.66:                               ;   in Loop: Header=BB240_63 Depth=2
	v_subrev_u32_e32 v32, s43, v32
	v_lshlrev_b32_e32 v33, 2, v32
	ds_write_b32 v33, v63 offset:20480
	s_and_saveexec_b64 s[74:75], s[8:9]
	s_cbranch_execz .LBB240_61
; %bb.67:                               ;   in Loop: Header=BB240_63 Depth=2
	global_load_dwordx4 v[34:37], v[28:29], off offset:-8
	v_lshlrev_b32_e32 v32, 6, v32
	v_or3_b32 v38, v32, v48, v17
	s_waitcnt vmcnt(0)
	v_mul_f64 v[32:33], v[36:37], -v[8:9]
	v_mul_f64 v[36:37], v[12:13], v[36:37]
	v_fmac_f64_e32 v[32:33], v[12:13], v[34:35]
	v_fmac_f64_e32 v[36:37], v[8:9], v[34:35]
	v_lshlrev_b32_e32 v34, 4, v38
	ds_add_f64 v34, v[32:33]
	ds_add_f64 v34, v[36:37] offset:8
	s_branch .LBB240_61
.LBB240_68:                             ;   in Loop: Header=BB240_15 Depth=1
	s_or_b64 exec, exec, s[72:73]
.LBB240_69:                             ;   in Loop: Header=BB240_15 Depth=1
	s_or_b64 exec, exec, s[70:71]
.LBB240_70:                             ;   in Loop: Header=BB240_15 Depth=1
	s_and_saveexec_b64 s[24:25], s[12:13]
	s_cbranch_execz .LBB240_75
; %bb.71:                               ;   in Loop: Header=BB240_15 Depth=1
	s_mov_b64 s[26:27], exec
	s_brev_b32 s68, -2
.LBB240_72:                             ;   Parent Loop BB240_15 Depth=1
                                        ; =>  This Inner Loop Header: Depth=2
	s_ff1_i32_b64 s69, s[26:27]
	v_readlane_b32 s72, v15, s69
	s_lshl_b64 s[70:71], 1, s69
	s_min_i32 s68, s68, s72
	s_andn2_b64 s[26:27], s[26:27], s[70:71]
	s_cmp_lg_u64 s[26:27], 0
	s_cbranch_scc1 .LBB240_72
; %bb.73:                               ;   in Loop: Header=BB240_15 Depth=1
	v_mbcnt_lo_u32_b32 v0, exec_lo, 0
	v_mbcnt_hi_u32_b32 v0, exec_hi, v0
	v_cmp_eq_u32_e32 vcc, 0, v0
	s_and_saveexec_b64 s[26:27], vcc
	s_xor_b64 s[26:27], exec, s[26:27]
	s_cbranch_execz .LBB240_75
; %bb.74:                               ;   in Loop: Header=BB240_15 Depth=1
	v_mov_b32_e32 v0, s68
	ds_min_i32 v2, v0 offset:20544
.LBB240_75:                             ;   in Loop: Header=BB240_15 Depth=1
	s_or_b64 exec, exec, s[24:25]
	s_waitcnt lgkmcnt(0)
	s_barrier
	ds_read_b32 v0, v51
	s_waitcnt lgkmcnt(0)
	s_barrier
	s_and_saveexec_b64 s[24:25], s[16:17]
	s_cbranch_execz .LBB240_77
; %bb.76:                               ;   in Loop: Header=BB240_15 Depth=1
	ds_read_b32 v15, v52
	s_waitcnt lgkmcnt(0)
	v_add_u32_e32 v0, v15, v0
.LBB240_77:                             ;   in Loop: Header=BB240_15 Depth=1
	s_or_b64 exec, exec, s[24:25]
	s_barrier
	ds_write_b32 v51, v0
	s_waitcnt lgkmcnt(0)
	s_barrier
	s_and_saveexec_b64 s[24:25], s[18:19]
	s_cbranch_execz .LBB240_79
; %bb.78:                               ;   in Loop: Header=BB240_15 Depth=1
	ds_read_b32 v15, v54
	s_waitcnt lgkmcnt(0)
	v_add_u32_e32 v0, v15, v0
.LBB240_79:                             ;   in Loop: Header=BB240_15 Depth=1
	s_or_b64 exec, exec, s[24:25]
	s_barrier
	ds_write_b32 v51, v0
	;; [unrolled: 12-line block ×4, first 2 shown]
	s_waitcnt lgkmcnt(0)
	s_barrier
	ds_read_b32 v26, v2 offset:20540
	v_mov_b32_e32 v15, 0
	s_and_saveexec_b64 s[24:25], s[14:15]
	s_cbranch_execz .LBB240_85
; %bb.84:                               ;   in Loop: Header=BB240_15 Depth=1
	ds_read_b32 v15, v52
.LBB240_85:                             ;   in Loop: Header=BB240_15 Depth=1
	s_or_b64 exec, exec, s[24:25]
	s_waitcnt lgkmcnt(0)
	v_cmp_eq_u32_e32 vcc, v0, v15
	s_and_b64 s[26:27], s[14:15], vcc
	s_barrier
	s_and_saveexec_b64 s[24:25], s[26:27]
	s_cbranch_execz .LBB240_87
; %bb.86:                               ;   in Loop: Header=BB240_15 Depth=1
	ds_write_b32 v51, v2
.LBB240_87:                             ;   in Loop: Header=BB240_15 Depth=1
	s_or_b64 exec, exec, s[24:25]
	v_add_co_u32_e32 v27, vcc, -1, v24
	v_addc_co_u32_e32 v28, vcc, -1, v25, vcc
	s_add_i32 s43, s30, s43
	s_mov_b64 s[24:25], 0
	v_mov_b32_e32 v29, v62
	v_mov_b32_e32 v30, v44
	;; [unrolled: 1-line block ×3, first 2 shown]
	s_waitcnt lgkmcnt(0)
	s_barrier
	s_branch .LBB240_89
.LBB240_88:                             ;   in Loop: Header=BB240_89 Depth=2
	s_or_b64 exec, exec, s[26:27]
	v_add_u32_e32 v0, 4, v31
	v_cmp_lt_u32_e32 vcc, 11, v31
	v_add_u32_e32 v30, 0x1000, v30
	v_add_u32_e32 v29, 16, v29
	s_or_b64 s[24:25], vcc, s[24:25]
	v_mov_b32_e32 v31, v0
	s_andn2_b64 exec, exec, s[24:25]
	s_cbranch_execz .LBB240_14
.LBB240_89:                             ;   Parent Loop BB240_15 Depth=1
                                        ; =>  This Inner Loop Header: Depth=2
	ds_read_b32 v0, v29
	s_waitcnt lgkmcnt(0)
	v_cmp_ne_u32_e32 vcc, 0, v0
	s_and_saveexec_b64 s[26:27], vcc
	s_cbranch_execz .LBB240_88
; %bb.90:                               ;   in Loop: Header=BB240_89 Depth=2
	v_ashrrev_i32_e32 v15, 31, v0
	v_add_co_u32_e32 v32, vcc, v24, v0
	v_addc_co_u32_e32 v33, vcc, v25, v15, vcc
	v_lshlrev_b64 v[32:33], 2, v[32:33]
	v_mov_b32_e32 v35, s90
	v_add_co_u32_e32 v32, vcc, s89, v32
	v_add_u32_e32 v34, s43, v31
	v_addc_co_u32_e32 v33, vcc, v35, v33, vcc
	global_store_dword v[32:33], v34, off
	s_and_b64 exec, exec, s[8:9]
	s_cbranch_execz .LBB240_88
; %bb.91:                               ;   in Loop: Header=BB240_89 Depth=2
	v_add_co_u32_e32 v0, vcc, v27, v0
	v_mad_u64_u32 v[32:33], s[68:69], v0, s42, 0
	v_addc_co_u32_e32 v15, vcc, v28, v15, vcc
	v_mov_b32_e32 v0, v33
	v_mad_u64_u32 v[34:35], s[68:69], v15, s42, v[0:1]
	v_mov_b32_e32 v33, v34
	v_lshlrev_b64 v[36:37], 4, v[32:33]
	ds_read2_b64 v[32:35], v30 offset1:1
	v_add_co_u32_e32 v36, vcc, v16, v36
	v_addc_co_u32_e32 v37, vcc, v1, v37, vcc
	s_waitcnt lgkmcnt(0)
	global_store_dwordx4 v[36:37], v[32:35], off
	s_branch .LBB240_88
.LBB240_92:
	s_endpgm
	.section	.rodata,"a",@progbits
	.p2align	6, 0x0
	.amdhsa_kernel _ZN9rocsparseL38bsrgemm_block_per_row_atomic_multipassILj256ELj16ELj8Eli21rocsparse_complex_numIdEEEv20rocsparse_direction_T3_S4_PKS4_S6_NS_24const_host_device_scalarIT4_EEPKT2_S6_PKS8_SC_S6_SE_S9_SC_S6_SE_SC_PS4_PS8_PSA_21rocsparse_index_base_SI_SI_SI_bbb
		.amdhsa_group_segment_fixed_size 20552
		.amdhsa_private_segment_fixed_size 24
		.amdhsa_kernarg_size 188
		.amdhsa_user_sgpr_count 8
		.amdhsa_user_sgpr_private_segment_buffer 1
		.amdhsa_user_sgpr_dispatch_ptr 0
		.amdhsa_user_sgpr_queue_ptr 0
		.amdhsa_user_sgpr_kernarg_segment_ptr 1
		.amdhsa_user_sgpr_dispatch_id 0
		.amdhsa_user_sgpr_flat_scratch_init 1
		.amdhsa_user_sgpr_kernarg_preload_length 0
		.amdhsa_user_sgpr_kernarg_preload_offset 0
		.amdhsa_user_sgpr_private_segment_size 0
		.amdhsa_uses_dynamic_stack 0
		.amdhsa_system_sgpr_private_segment_wavefront_offset 1
		.amdhsa_system_sgpr_workgroup_id_x 1
		.amdhsa_system_sgpr_workgroup_id_y 0
		.amdhsa_system_sgpr_workgroup_id_z 0
		.amdhsa_system_sgpr_workgroup_info 0
		.amdhsa_system_vgpr_workitem_id 0
		.amdhsa_next_free_vgpr 76
		.amdhsa_next_free_sgpr 92
		.amdhsa_accum_offset 76
		.amdhsa_reserve_vcc 1
		.amdhsa_reserve_flat_scratch 1
		.amdhsa_float_round_mode_32 0
		.amdhsa_float_round_mode_16_64 0
		.amdhsa_float_denorm_mode_32 3
		.amdhsa_float_denorm_mode_16_64 3
		.amdhsa_dx10_clamp 1
		.amdhsa_ieee_mode 1
		.amdhsa_fp16_overflow 0
		.amdhsa_tg_split 0
		.amdhsa_exception_fp_ieee_invalid_op 0
		.amdhsa_exception_fp_denorm_src 0
		.amdhsa_exception_fp_ieee_div_zero 0
		.amdhsa_exception_fp_ieee_overflow 0
		.amdhsa_exception_fp_ieee_underflow 0
		.amdhsa_exception_fp_ieee_inexact 0
		.amdhsa_exception_int_div_zero 0
	.end_amdhsa_kernel
	.section	.text._ZN9rocsparseL38bsrgemm_block_per_row_atomic_multipassILj256ELj16ELj8Eli21rocsparse_complex_numIdEEEv20rocsparse_direction_T3_S4_PKS4_S6_NS_24const_host_device_scalarIT4_EEPKT2_S6_PKS8_SC_S6_SE_S9_SC_S6_SE_SC_PS4_PS8_PSA_21rocsparse_index_base_SI_SI_SI_bbb,"axG",@progbits,_ZN9rocsparseL38bsrgemm_block_per_row_atomic_multipassILj256ELj16ELj8Eli21rocsparse_complex_numIdEEEv20rocsparse_direction_T3_S4_PKS4_S6_NS_24const_host_device_scalarIT4_EEPKT2_S6_PKS8_SC_S6_SE_S9_SC_S6_SE_SC_PS4_PS8_PSA_21rocsparse_index_base_SI_SI_SI_bbb,comdat
.Lfunc_end240:
	.size	_ZN9rocsparseL38bsrgemm_block_per_row_atomic_multipassILj256ELj16ELj8Eli21rocsparse_complex_numIdEEEv20rocsparse_direction_T3_S4_PKS4_S6_NS_24const_host_device_scalarIT4_EEPKT2_S6_PKS8_SC_S6_SE_S9_SC_S6_SE_SC_PS4_PS8_PSA_21rocsparse_index_base_SI_SI_SI_bbb, .Lfunc_end240-_ZN9rocsparseL38bsrgemm_block_per_row_atomic_multipassILj256ELj16ELj8Eli21rocsparse_complex_numIdEEEv20rocsparse_direction_T3_S4_PKS4_S6_NS_24const_host_device_scalarIT4_EEPKT2_S6_PKS8_SC_S6_SE_S9_SC_S6_SE_SC_PS4_PS8_PSA_21rocsparse_index_base_SI_SI_SI_bbb
                                        ; -- End function
	.section	.AMDGPU.csdata,"",@progbits
; Kernel info:
; codeLenInByte = 3568
; NumSgprs: 98
; NumVgprs: 76
; NumAgprs: 0
; TotalNumVgprs: 76
; ScratchSize: 24
; MemoryBound: 0
; FloatMode: 240
; IeeeMode: 1
; LDSByteSize: 20552 bytes/workgroup (compile time only)
; SGPRBlocks: 12
; VGPRBlocks: 9
; NumSGPRsForWavesPerEU: 98
; NumVGPRsForWavesPerEU: 76
; AccumOffset: 76
; Occupancy: 3
; WaveLimiterHint : 1
; COMPUTE_PGM_RSRC2:SCRATCH_EN: 1
; COMPUTE_PGM_RSRC2:USER_SGPR: 8
; COMPUTE_PGM_RSRC2:TRAP_HANDLER: 0
; COMPUTE_PGM_RSRC2:TGID_X_EN: 1
; COMPUTE_PGM_RSRC2:TGID_Y_EN: 0
; COMPUTE_PGM_RSRC2:TGID_Z_EN: 0
; COMPUTE_PGM_RSRC2:TIDIG_COMP_CNT: 0
; COMPUTE_PGM_RSRC3_GFX90A:ACCUM_OFFSET: 18
; COMPUTE_PGM_RSRC3_GFX90A:TG_SPLIT: 0
	.section	.text._ZN9rocsparseL38bsrgemm_block_per_row_atomic_multipassILj256ELj32ELj8Eli21rocsparse_complex_numIdEEEv20rocsparse_direction_T3_S4_PKS4_S6_NS_24const_host_device_scalarIT4_EEPKT2_S6_PKS8_SC_S6_SE_S9_SC_S6_SE_SC_PS4_PS8_PSA_21rocsparse_index_base_SI_SI_SI_bbb,"axG",@progbits,_ZN9rocsparseL38bsrgemm_block_per_row_atomic_multipassILj256ELj32ELj8Eli21rocsparse_complex_numIdEEEv20rocsparse_direction_T3_S4_PKS4_S6_NS_24const_host_device_scalarIT4_EEPKT2_S6_PKS8_SC_S6_SE_S9_SC_S6_SE_SC_PS4_PS8_PSA_21rocsparse_index_base_SI_SI_SI_bbb,comdat
	.globl	_ZN9rocsparseL38bsrgemm_block_per_row_atomic_multipassILj256ELj32ELj8Eli21rocsparse_complex_numIdEEEv20rocsparse_direction_T3_S4_PKS4_S6_NS_24const_host_device_scalarIT4_EEPKT2_S6_PKS8_SC_S6_SE_S9_SC_S6_SE_SC_PS4_PS8_PSA_21rocsparse_index_base_SI_SI_SI_bbb ; -- Begin function _ZN9rocsparseL38bsrgemm_block_per_row_atomic_multipassILj256ELj32ELj8Eli21rocsparse_complex_numIdEEEv20rocsparse_direction_T3_S4_PKS4_S6_NS_24const_host_device_scalarIT4_EEPKT2_S6_PKS8_SC_S6_SE_S9_SC_S6_SE_SC_PS4_PS8_PSA_21rocsparse_index_base_SI_SI_SI_bbb
	.p2align	8
	.type	_ZN9rocsparseL38bsrgemm_block_per_row_atomic_multipassILj256ELj32ELj8Eli21rocsparse_complex_numIdEEEv20rocsparse_direction_T3_S4_PKS4_S6_NS_24const_host_device_scalarIT4_EEPKT2_S6_PKS8_SC_S6_SE_S9_SC_S6_SE_SC_PS4_PS8_PSA_21rocsparse_index_base_SI_SI_SI_bbb,@function
_ZN9rocsparseL38bsrgemm_block_per_row_atomic_multipassILj256ELj32ELj8Eli21rocsparse_complex_numIdEEEv20rocsparse_direction_T3_S4_PKS4_S6_NS_24const_host_device_scalarIT4_EEPKT2_S6_PKS8_SC_S6_SE_S9_SC_S6_SE_SC_PS4_PS8_PSA_21rocsparse_index_base_SI_SI_SI_bbb: ; @_ZN9rocsparseL38bsrgemm_block_per_row_atomic_multipassILj256ELj32ELj8Eli21rocsparse_complex_numIdEEEv20rocsparse_direction_T3_S4_PKS4_S6_NS_24const_host_device_scalarIT4_EEPKT2_S6_PKS8_SC_S6_SE_S9_SC_S6_SE_SC_PS4_PS8_PSA_21rocsparse_index_base_SI_SI_SI_bbb
; %bb.0:
	s_load_dword s9, s[6:7], 0xb8
	s_load_dwordx4 s[28:31], s[6:7], 0xa8
	s_load_dwordx2 s[2:3], s[4:5], 0x4
	s_load_dwordx4 s[16:19], s[6:7], 0x20
	s_load_dwordx4 s[12:15], s[6:7], 0x60
	v_and_b32_e32 v1, 0x3ff, v0
	s_waitcnt lgkmcnt(0)
	s_bitcmp1_b32 s9, 0
	s_cselect_b64 s[20:21], -1, 0
	s_bitcmp1_b32 s9, 16
	s_cselect_b64 s[0:1], -1, 0
	s_lshr_b32 s2, s2, 16
	s_mul_i32 s2, s2, s3
	v_mul_lo_u32 v2, s2, v1
	v_bfe_u32 v3, v0, 10, 10
	v_mad_u32_u24 v2, v3, s3, v2
	v_bfe_u32 v0, v0, 20, 10
	v_add_lshl_u32 v0, v2, v0, 3
	v_pk_mov_b32 v[2:3], s[16:17], s[16:17] op_sel:[0,1]
	v_pk_mov_b32 v[4:5], s[12:13], s[12:13] op_sel:[0,1]
	v_add_u32_e32 v6, 0x88, v0
	s_xor_b64 s[2:3], s[0:1], -1
	ds_write2st64_b64 v6, v[4:5], v[2:3] offset0:72 offset1:76
	v_pk_mov_b32 v[10:11], 0, 0
	v_cndmask_b32_e64 v2, 0, 1, s[2:3]
	s_bitcmp0_b32 s9, 0
	v_cmp_ne_u32_e64 s[2:3], 1, v2
	v_pk_mov_b32 v[8:9], v[10:11], v[10:11] op_sel:[0,1]
	v_pk_mov_b32 v[12:13], v[10:11], v[10:11] op_sel:[0,1]
	s_cbranch_scc1 .LBB241_3
; %bb.1:
	s_mov_b64 s[4:5], src_shared_base
	s_and_b64 s[10:11], s[0:1], exec
	v_add_u32_e32 v2, 0x9888, v0
	s_cselect_b32 s4, s5, s17
	v_mov_b32_e32 v3, s16
	v_cndmask_b32_e64 v2, v3, v2, s[0:1]
	v_mov_b32_e32 v3, s4
	flat_load_dwordx2 v[8:9], v[2:3]
	s_and_b64 vcc, exec, s[2:3]
	v_pk_mov_b32 v[12:13], s[18:19], s[18:19] op_sel:[0,1]
	s_cbranch_vccnz .LBB241_3
; %bb.2:
	v_pk_mov_b32 v[2:3], s[16:17], s[16:17] op_sel:[0,1]
	flat_load_dwordx2 v[12:13], v[2:3] offset:8
.LBB241_3:
	s_load_dwordx2 s[4:5], s[6:7], 0x18
	s_bitcmp1_b32 s9, 8
	s_cselect_b64 s[34:35], -1, 0
	s_bfe_u32 s9, s9, 0x10008
	s_cmp_eq_u32 s9, 0
	v_pk_mov_b32 v[14:15], v[10:11], v[10:11] op_sel:[0,1]
	s_cbranch_scc1 .LBB241_6
; %bb.4:
	s_mov_b64 s[10:11], src_shared_base
	s_and_b64 s[16:17], s[0:1], exec
	v_add_u32_e32 v0, 0x9088, v0
	s_cselect_b32 s9, s11, s13
	v_mov_b32_e32 v2, s12
	v_cndmask_b32_e64 v2, v2, v0, s[0:1]
	v_mov_b32_e32 v3, s9
	flat_load_dwordx2 v[14:15], v[2:3]
	s_and_b64 vcc, exec, s[2:3]
	v_pk_mov_b32 v[10:11], s[14:15], s[14:15] op_sel:[0,1]
	s_cbranch_vccnz .LBB241_6
; %bb.5:
	v_pk_mov_b32 v[2:3], s[12:13], s[12:13] op_sel:[0,1]
	flat_load_dwordx2 v[10:11], v[2:3] offset:8
.LBB241_6:
	s_load_dwordx2 s[2:3], s[6:7], 0x30
	s_waitcnt lgkmcnt(0)
	s_cmp_eq_u64 s[4:5], 0
	s_cbranch_scc1 .LBB241_8
; %bb.7:
	s_load_dwordx2 s[0:1], s[6:7], 0x10
	s_waitcnt lgkmcnt(0)
	s_load_dword s0, s[0:1], 0x0
	s_mov_b32 s1, 0
	s_waitcnt lgkmcnt(0)
	s_add_i32 s0, s0, s8
	s_lshl_b64 s[0:1], s[0:1], 2
	s_add_u32 s0, s4, s0
	s_addc_u32 s1, s5, s1
	s_load_dword s8, s[0:1], 0x0
.LBB241_8:
	v_cndmask_b32_e64 v0, 0, 1, s[20:21]
	s_mov_b64 s[56:57], 0
	v_cmp_ne_u32_e64 s[0:1], 1, v0
	s_andn2_b64 vcc, exec, s[20:21]
	s_mov_b64 s[58:59], 0
	s_cbranch_vccz .LBB241_11
; %bb.9:
	s_and_b64 vcc, exec, s[0:1]
	s_cbranch_vccz .LBB241_12
.LBB241_10:
	s_load_dwordx4 s[52:55], s[6:7], 0x0
	s_waitcnt lgkmcnt(0)
	s_cmp_lt_i32 s53, 1
	s_cbranch_scc0 .LBB241_13
	s_branch .LBB241_94
.LBB241_11:
	s_waitcnt lgkmcnt(0)
	s_ashr_i32 s9, s8, 31
	s_lshl_b64 s[4:5], s[8:9], 3
	s_add_u32 s4, s2, s4
	s_addc_u32 s5, s3, s5
	s_load_dwordx2 s[4:5], s[4:5], 0x0
	s_waitcnt lgkmcnt(0)
	s_sub_u32 s58, s4, s28
	s_subb_u32 s59, s5, 0
	s_and_b64 vcc, exec, s[0:1]
	s_cbranch_vccnz .LBB241_10
.LBB241_12:
	s_waitcnt lgkmcnt(0)
	s_ashr_i32 s9, s8, 31
	s_lshl_b64 s[0:1], s[8:9], 3
	s_add_u32 s0, s2, s0
	s_addc_u32 s1, s3, s1
	s_load_dwordx2 s[0:1], s[0:1], 0x8
	s_waitcnt lgkmcnt(0)
	s_sub_u32 s56, s0, s28
	s_subb_u32 s57, s1, 0
	s_load_dwordx4 s[52:55], s[6:7], 0x0
	s_waitcnt lgkmcnt(0)
	s_cmp_lt_i32 s53, 1
	s_cbranch_scc1 .LBB241_94
.LBB241_13:
	s_load_dwordx2 s[60:61], s[6:7], 0xa0
	s_load_dwordx4 s[24:27], s[6:7], 0x90
	s_load_dwordx8 s[36:43], s[6:7], 0x70
	s_load_dwordx2 s[64:65], s[6:7], 0x58
	s_load_dwordx8 s[44:51], s[6:7], 0x38
	v_and_b32_e32 v21, 7, v1
	v_bfe_u32 v7, v1, 3, 3
	v_mov_b32_e32 v0, 0
	v_max_i32_e32 v2, v21, v7
	v_cmp_gt_i32_e64 s[4:5], s54, v2
	v_cmp_le_i32_e64 s[6:7], s54, v2
	v_mul_lo_u32 v2, v7, s54
	v_mov_b32_e32 v3, v0
	s_ashr_i32 s9, s8, 31
	v_lshlrev_b64 v[2:3], 4, v[2:3]
	s_lshl_b64 s[10:11], s[8:9], 3
	s_waitcnt lgkmcnt(0)
	v_mov_b32_e32 v4, s47
	v_add_co_u32_e64 v5, s[8:9], s46, v2
	v_addc_co_u32_e64 v4, s[8:9], v4, v3, s[8:9]
	v_lshlrev_b32_e32 v24, 4, v21
	v_add_co_u32_e64 v48, s[8:9], v5, v24
	v_addc_co_u32_e64 v49, s[8:9], 0, v4, s[8:9]
	v_mul_lo_u32 v4, v21, s54
	v_mov_b32_e32 v5, v0
	v_lshlrev_b64 v[4:5], 4, v[4:5]
	v_mov_b32_e32 v17, s27
	v_add_co_u32_e64 v20, s[8:9], s26, v4
	v_lshlrev_b32_e32 v7, 4, v7
	v_addc_co_u32_e64 v22, s[8:9], v17, v5, s[8:9]
	v_add_co_u32_e64 v20, s[8:9], v20, v7
	v_addc_co_u32_e64 v22, s[8:9], 0, v22, s[8:9]
	v_add_co_u32_e64 v23, s[8:9], s26, v2
	;; [unrolled: 2-line block ×3, first 2 shown]
	s_add_u32 s0, s42, s10
	v_lshrrev_b32_e32 v16, 6, v1
	v_addc_co_u32_e64 v17, s[8:9], 0, v17, s[8:9]
	s_addc_u32 s1, s43, s11
	v_subrev_co_u32_e64 v51, s[8:9], s31, v16
	s_load_dwordx2 s[0:1], s[0:1], 0x0
	v_subb_co_u32_e64 v52, s[8:9], 0, 0, s[8:9]
	v_mov_b32_e32 v25, s41
	v_add_co_u32_e64 v26, s[8:9], s40, v4
	v_addc_co_u32_e64 v27, s[8:9], v25, v5, s[8:9]
	v_add_co_u32_e64 v26, s[8:9], v26, v7
	v_addc_co_u32_e64 v27, s[8:9], 0, v27, s[8:9]
	s_waitcnt lgkmcnt(0)
	s_sub_u32 s68, s0, s30
	v_add_co_u32_e64 v2, s[8:9], s40, v2
	s_subb_u32 s69, s1, 0
	v_addc_co_u32_e64 v3, s[8:9], v25, v3, s[8:9]
	s_cmp_eq_u32 s52, 0
	v_add_co_u32_e64 v2, s[8:9], v2, v24
	v_and_b32_e32 v6, 63, v1
	s_cselect_b64 s[22:23], -1, 0
	s_cmp_lg_u32 s52, 0
	v_addc_co_u32_e64 v3, s[8:9], 0, v3, s[8:9]
	v_mov_b32_e32 v29, 0x9000
	v_cmp_gt_u32_e64 s[0:1], 32, v1
	v_cmp_eq_u32_e64 s[2:3], 0, v1
	v_pk_mov_b32 v[18:19], s[56:57], s[56:57] op_sel:[0,1]
	v_lshlrev_b32_e32 v46, 4, v1
	s_cselect_b64 s[46:47], -1, 0
	s_cmp_gt_i32 s54, 0
	v_and_b32_e32 v50, 56, v1
	v_cmp_eq_u32_e64 s[8:9], 63, v6
	v_and_b32_e32 v6, 31, v1
	v_lshl_or_b32 v55, v1, 2, v29
	v_cndmask_b32_e64 v17, v22, v17, s[22:23]
	v_cndmask_b32_e64 v20, v20, v23, s[22:23]
	;; [unrolled: 1-line block ×4, first 2 shown]
	v_or_b32_e32 v1, 0x400, v1
	s_movk_i32 s22, 0x700
	v_cmp_lt_i64_e32 vcc, s[58:59], v[18:19]
	s_mov_b32 s55, 0x8000
	s_cselect_b64 s[70:71], -1, 0
	s_add_u32 s36, s36, s10
	v_cmp_gt_u32_e64 s[22:23], s22, v1
	v_lshlrev_b32_e32 v1, 10, v16
	s_addc_u32 s37, s37, s11
	s_and_b64 s[40:41], s[20:21], vcc
	v_or3_b32 v60, v1, v7, s55
	v_mov_b32_e32 v1, s65
	v_add_co_u32_e32 v4, vcc, s64, v4
	v_addc_co_u32_e32 v5, vcc, v5, v1, vcc
	v_add_co_u32_e32 v22, vcc, 8, v4
	v_addc_co_u32_e32 v23, vcc, 0, v5, vcc
	;; [unrolled: 2-line block ×3, first 2 shown]
	v_lshlrev_b32_e32 v25, 2, v6
	s_add_u32 s87, s48, 8
	v_add_co_u32_e32 v24, vcc, 8, v4
	v_or_b32_e32 v53, 0x9000, v25
	v_add_u32_e32 v56, 0x8ff8, v25
	v_add_u32_e32 v57, 0x8ff0, v25
	;; [unrolled: 1-line block ×4, first 2 shown]
	s_addc_u32 s88, s49, 0
	v_addc_co_u32_e32 v25, vcc, 0, v1, vcc
	s_mov_b32 s43, 0
	s_add_u32 s89, s24, -4
	v_add_co_u32_e32 v26, vcc, 8, v2
	s_addc_u32 s90, s25, -1
	s_mov_b32 s55, s43
	v_addc_co_u32_e32 v27, vcc, 0, v3, vcc
	s_mov_b32 s24, s43
	s_mov_b32 s25, s43
	s_mul_i32 s42, s54, s54
	v_add_co_u32_e64 v28, s[10:11], -1, v6
	v_cmp_ne_u32_e64 s[12:13], 0, v6
	v_cmp_lt_u32_e64 s[14:15], 1, v6
	v_cmp_lt_u32_e64 s[16:17], 3, v6
	;; [unrolled: 1-line block ×4, first 2 shown]
	s_lshl_b64 s[64:65], s[54:55], 4
	v_and_b32_e32 v1, 0xf80, v46
	v_add_co_u32_e32 v62, vcc, 4, v51
	s_mov_b32 s26, s43
	s_mov_b32 s27, s43
	v_pk_mov_b32 v[4:5], s[24:25], s[24:25] op_sel:[0,1]
	v_or_b32_e32 v47, 0x8000, v46
	s_mov_b32 s33, s29
	s_mov_b32 s86, s43
	;; [unrolled: 1-line block ×3, first 2 shown]
	v_lshl_add_u32 v54, v28, 2, v29
	s_lshl_b64 s[62:63], s[42:43], 4
	v_or_b32_e32 v61, 0x8000, v1
	s_lshl_b64 s[66:67], s[42:43], 6
	v_addc_co_u32_e32 v63, vcc, 0, v52, vcc
	v_lshl_or_b32 v64, v16, 2, v29
	v_mov_b32_e32 v68, 32
	v_pk_mov_b32 v[28:29], s[68:69], s[68:69] op_sel:[0,1]
	v_pk_mov_b32 v[6:7], s[26:27], s[26:27] op_sel:[0,1]
	v_mov_b32_e32 v65, 1
	v_cndmask_b32_e64 v66, 0, 1, s[70:71]
	v_mov_b32_e32 v67, s65
	s_branch .LBB241_15
.LBB241_14:                             ;   in Loop: Header=BB241_15 Depth=1
	s_or_b64 exec, exec, s[24:25]
	s_barrier
	ds_read_b32 v2, v0 offset:36992
	v_ashrrev_i32_e32 v1, 31, v3
	v_add_co_u32_e32 v28, vcc, v28, v3
	v_addc_co_u32_e32 v29, vcc, v29, v1, vcc
	s_waitcnt lgkmcnt(0)
	v_cmp_le_i32_e32 vcc, s53, v2
	v_readfirstlane_b32 s43, v2
	v_add_u32_e32 v68, 32, v2
	s_barrier
	s_cbranch_vccnz .LBB241_94
.LBB241_15:                             ; =>This Loop Header: Depth=1
                                        ;     Child Loop BB241_24 Depth 2
                                        ;       Child Loop BB241_38 Depth 3
                                        ;         Child Loop BB241_47 Depth 4
                                        ;         Child Loop BB241_52 Depth 4
                                        ;     Child Loop BB241_63 Depth 2
                                        ;     Child Loop BB241_72 Depth 2
	;; [unrolled: 1-line block ×3, first 2 shown]
	s_and_saveexec_b64 s[24:25], s[0:1]
	s_cbranch_execz .LBB241_17
; %bb.16:                               ;   in Loop: Header=BB241_15 Depth=1
	ds_write_b32 v55, v0
.LBB241_17:                             ;   in Loop: Header=BB241_15 Depth=1
	s_or_b64 exec, exec, s[24:25]
	ds_write_b128 v46, v[4:7]
	ds_write_b128 v46, v[4:7] offset:4096
	ds_write_b128 v46, v[4:7] offset:8192
	;; [unrolled: 1-line block ×4, first 2 shown]
	s_and_saveexec_b64 s[24:25], s[22:23]
	s_xor_b64 s[24:25], exec, s[24:25]
	s_cbranch_execz .LBB241_19
; %bb.18:                               ;   in Loop: Header=BB241_15 Depth=1
	ds_write_b128 v46, v[4:7] offset:20480
	ds_write_b128 v46, v[4:7] offset:24576
	ds_write_b128 v46, v[4:7] offset:28672
.LBB241_19:                             ;   in Loop: Header=BB241_15 Depth=1
	s_or_b64 exec, exec, s[24:25]
	s_and_saveexec_b64 s[24:25], s[2:3]
	s_cbranch_execz .LBB241_21
; %bb.20:                               ;   in Loop: Header=BB241_15 Depth=1
	v_mov_b32_e32 v1, s53
	ds_write_b32 v0, v1 offset:36992
.LBB241_21:                             ;   in Loop: Header=BB241_15 Depth=1
	s_or_b64 exec, exec, s[24:25]
	s_andn2_b64 vcc, exec, s[40:41]
	v_mov_b32_e32 v69, s53
	s_waitcnt lgkmcnt(0)
	s_barrier
	s_cbranch_vccnz .LBB241_58
; %bb.22:                               ;   in Loop: Header=BB241_15 Depth=1
	s_cmp_lg_u32 s43, 0
	s_cselect_b64 s[68:69], -1, 0
	v_mov_b32_e32 v69, s53
	s_mov_b64 s[70:71], s[58:59]
	s_branch .LBB241_24
.LBB241_23:                             ;   in Loop: Header=BB241_24 Depth=2
	s_or_b64 exec, exec, s[26:27]
	s_add_u32 s70, s70, 4
	s_addc_u32 s71, s71, 0
	v_cmp_lt_i64_e32 vcc, s[70:71], v[18:19]
	s_cbranch_vccz .LBB241_58
.LBB241_24:                             ;   Parent Loop BB241_15 Depth=1
                                        ; =>  This Loop Header: Depth=2
                                        ;       Child Loop BB241_38 Depth 3
                                        ;         Child Loop BB241_47 Depth 4
                                        ;         Child Loop BB241_52 Depth 4
	v_mov_b32_e32 v1, s71
	v_add_co_u32_e32 v30, vcc, s70, v16
	v_addc_co_u32_e32 v31, vcc, 0, v1, vcc
	v_cmp_gt_i64_e64 s[24:25], s[56:57], v[30:31]
	s_barrier
	s_and_saveexec_b64 s[26:27], s[24:25]
	s_cbranch_execz .LBB241_29
; %bb.25:                               ;   in Loop: Header=BB241_24 Depth=2
	s_and_saveexec_b64 s[72:73], s[6:7]
	s_xor_b64 s[72:73], exec, s[72:73]
	s_cbranch_execz .LBB241_27
; %bb.26:                               ;   in Loop: Header=BB241_24 Depth=2
	v_mov_b32_e32 v1, v0
	v_mov_b32_e32 v2, v0
	;; [unrolled: 1-line block ×3, first 2 shown]
	ds_write_b128 v47, v[0:3]
.LBB241_27:                             ;   in Loop: Header=BB241_24 Depth=2
	s_andn2_saveexec_b64 s[72:73], s[72:73]
	s_cbranch_execz .LBB241_29
; %bb.28:                               ;   in Loop: Header=BB241_24 Depth=2
	v_mad_u64_u32 v[2:3], s[72:73], v30, s42, 0
	v_mov_b32_e32 v32, v3
	v_mad_u64_u32 v[32:33], s[72:73], v31, s42, v[32:33]
	v_mov_b32_e32 v3, v32
	v_lshlrev_b64 v[2:3], 4, v[2:3]
	v_add_co_u32_e32 v2, vcc, v48, v2
	v_addc_co_u32_e32 v3, vcc, v49, v3, vcc
	global_load_dwordx4 v[32:35], v[2:3], off
	s_waitcnt vmcnt(0)
	ds_write2_b64 v47, v[32:33], v[34:35] offset1:1
.LBB241_29:                             ;   in Loop: Header=BB241_24 Depth=2
	s_or_b64 exec, exec, s[26:27]
	v_pk_mov_b32 v[2:3], 0, 0
	s_waitcnt lgkmcnt(0)
	s_barrier
	s_and_saveexec_b64 s[72:73], s[24:25]
	s_cbranch_execz .LBB241_55
; %bb.30:                               ;   in Loop: Header=BB241_24 Depth=2
	v_lshlrev_b64 v[2:3], 2, v[30:31]
	v_mov_b32_e32 v1, s45
	v_add_co_u32_e32 v2, vcc, s44, v2
	v_addc_co_u32_e32 v3, vcc, v1, v3, vcc
	global_load_dword v1, v[2:3], off
	s_and_b64 vcc, exec, s[68:69]
	s_waitcnt vmcnt(0)
	v_subrev_u32_e32 v32, s28, v1
	v_ashrrev_i32_e32 v33, 31, v32
	s_cbranch_vccz .LBB241_57
; %bb.31:                               ;   in Loop: Header=BB241_24 Depth=2
	v_lshlrev_b64 v[2:3], 3, v[30:31]
	v_mov_b32_e32 v1, s61
	v_add_co_u32_e32 v2, vcc, s60, v2
	v_addc_co_u32_e32 v3, vcc, v1, v3, vcc
	global_load_dwordx2 v[2:3], v[2:3], off
	s_cbranch_execnz .LBB241_33
.LBB241_32:                             ;   in Loop: Header=BB241_24 Depth=2
	s_waitcnt vmcnt(0)
	v_lshlrev_b64 v[2:3], 3, v[32:33]
	v_mov_b32_e32 v1, s49
	v_add_co_u32_e32 v2, vcc, s48, v2
	v_addc_co_u32_e32 v3, vcc, v1, v3, vcc
	global_load_dwordx2 v[2:3], v[2:3], off
	v_mov_b32_e32 v1, s86
	s_waitcnt vmcnt(0)
	v_subrev_co_u32_e32 v2, vcc, s33, v2
	v_subb_co_u32_e32 v3, vcc, v3, v1, vcc
.LBB241_33:                             ;   in Loop: Header=BB241_24 Depth=2
	v_lshlrev_b64 v[32:33], 3, v[32:33]
	v_mov_b32_e32 v1, s88
	v_add_co_u32_e32 v32, vcc, s87, v32
	v_addc_co_u32_e32 v33, vcc, v1, v33, vcc
	global_load_dwordx2 v[32:33], v[32:33], off
	v_mov_b32_e32 v1, s86
	s_waitcnt vmcnt(0)
	v_subrev_co_u32_e32 v32, vcc, s33, v32
	v_subb_co_u32_e32 v33, vcc, v33, v1, vcc
	v_cmp_lt_i64_e32 vcc, v[2:3], v[32:33]
	s_and_saveexec_b64 s[74:75], vcc
	s_cbranch_execz .LBB241_54
; %bb.34:                               ;   in Loop: Header=BB241_24 Depth=2
	v_mad_u64_u32 v[34:35], s[26:27], s62, v2, v[22:23]
	v_mul_lo_u32 v1, s62, v3
	v_mul_lo_u32 v38, s63, v2
	v_mad_u64_u32 v[36:37], s[26:27], s62, v2, v[24:25]
	v_add3_u32 v35, v38, v35, v1
	v_add3_u32 v37, v38, v37, v1
	s_mov_b64 s[76:77], 0
	v_pk_mov_b32 v[38:39], v[2:3], v[2:3] op_sel:[0,1]
	s_branch .LBB241_38
.LBB241_35:                             ;   in Loop: Header=BB241_38 Depth=3
	v_lshlrev_b32_e32 v1, 6, v1
	v_or3_b32 v1, v1, v50, v21
	v_mul_f64 v[44:45], v[42:43], -v[12:13]
	v_lshlrev_b32_e32 v1, 4, v1
	v_fmac_f64_e32 v[44:45], v[8:9], v[40:41]
	v_mul_f64 v[42:43], v[8:9], v[42:43]
	v_fmac_f64_e32 v[42:43], v[12:13], v[40:41]
	ds_add_f64 v1, v[44:45]
	ds_add_f64 v1, v[42:43] offset:8
.LBB241_36:                             ;   in Loop: Header=BB241_38 Depth=3
	s_or_b64 exec, exec, s[82:83]
	s_or_b64 s[78:79], s[78:79], exec
.LBB241_37:                             ;   in Loop: Header=BB241_38 Depth=3
	s_or_b64 exec, exec, s[80:81]
	v_add_co_u32_e32 v38, vcc, 1, v38
	v_addc_co_u32_e32 v39, vcc, 0, v39, vcc
	v_cmp_ge_i64_e32 vcc, v[38:39], v[32:33]
	s_xor_b64 s[26:27], s[78:79], -1
	s_or_b64 s[26:27], s[26:27], vcc
	v_mov_b32_e32 v1, s63
	v_add_co_u32_e32 v34, vcc, s62, v34
	v_addc_co_u32_e32 v35, vcc, v35, v1, vcc
	s_and_b64 s[26:27], exec, s[26:27]
	v_add_co_u32_e32 v36, vcc, s62, v36
	s_or_b64 s[76:77], s[26:27], s[76:77]
	v_addc_co_u32_e32 v37, vcc, v37, v1, vcc
	s_andn2_b64 exec, exec, s[76:77]
	s_cbranch_execz .LBB241_53
.LBB241_38:                             ;   Parent Loop BB241_15 Depth=1
                                        ;     Parent Loop BB241_24 Depth=2
                                        ; =>    This Loop Header: Depth=3
                                        ;         Child Loop BB241_47 Depth 4
                                        ;         Child Loop BB241_52 Depth 4
	v_lshlrev_b64 v[40:41], 2, v[38:39]
	v_mov_b32_e32 v1, s51
	v_add_co_u32_e32 v40, vcc, s50, v40
	v_addc_co_u32_e32 v41, vcc, v1, v41, vcc
	global_load_dword v1, v[40:41], off
                                        ; implicit-def: $sgpr78_sgpr79
	s_waitcnt vmcnt(0)
	v_subrev_u32_e32 v1, s29, v1
	v_cmp_gt_i32_e64 s[26:27], s43, v1
	v_cmp_ge_i32_e32 vcc, v1, v68
	s_or_b64 s[26:27], s[26:27], vcc
	s_and_saveexec_b64 s[80:81], s[26:27]
	s_xor_b64 s[26:27], exec, s[80:81]
	s_cbranch_execz .LBB241_42
; %bb.39:                               ;   in Loop: Header=BB241_38 Depth=3
	s_mov_b64 s[78:79], -1
	s_and_saveexec_b64 s[80:81], vcc
; %bb.40:                               ;   in Loop: Header=BB241_38 Depth=3
	v_min_i32_e32 v69, v1, v69
	s_xor_b64 s[78:79], exec, -1
	v_pk_mov_b32 v[2:3], v[38:39], v[38:39] op_sel:[0,1]
; %bb.41:                               ;   in Loop: Header=BB241_38 Depth=3
	s_or_b64 exec, exec, s[80:81]
	s_and_b64 s[78:79], s[78:79], exec
                                        ; implicit-def: $vgpr1
.LBB241_42:                             ;   in Loop: Header=BB241_38 Depth=3
	s_andn2_saveexec_b64 s[80:81], s[26:27]
	s_cbranch_execz .LBB241_37
; %bb.43:                               ;   in Loop: Header=BB241_38 Depth=3
	v_subrev_u32_e32 v1, s43, v1
	v_lshlrev_b32_e32 v40, 2, v1
	ds_write_b32 v40, v65 offset:36864
	s_and_saveexec_b64 s[82:83], s[4:5]
	s_cbranch_execz .LBB241_36
; %bb.44:                               ;   in Loop: Header=BB241_38 Depth=3
	s_andn2_b64 vcc, exec, s[46:47]
	v_cmp_ne_u32_e64 s[26:27], 1, v66
	s_cbranch_vccnz .LBB241_49
; %bb.45:                               ;   in Loop: Header=BB241_38 Depth=3
	v_pk_mov_b32 v[40:41], 0, 0
	s_mov_b64 s[84:85], 0
	s_and_b64 vcc, exec, s[26:27]
	v_pk_mov_b32 v[42:43], v[40:41], v[40:41] op_sel:[0,1]
	s_cbranch_vccnz .LBB241_48
; %bb.46:                               ;   in Loop: Header=BB241_38 Depth=3
	v_pk_mov_b32 v[40:41], 0, 0
	v_pk_mov_b32 v[44:45], v[34:35], v[34:35] op_sel:[0,1]
	s_mov_b32 s55, s54
	v_mov_b32_e32 v70, v60
	v_pk_mov_b32 v[42:43], v[40:41], v[40:41] op_sel:[0,1]
.LBB241_47:                             ;   Parent Loop BB241_15 Depth=1
                                        ;     Parent Loop BB241_24 Depth=2
                                        ;       Parent Loop BB241_38 Depth=3
                                        ; =>      This Inner Loop Header: Depth=4
	global_load_dwordx4 v[72:75], v[44:45], off offset:-8
	ds_read_b128 v[76:79], v70
	s_add_i32 s55, s55, -1
	v_add_co_u32_e32 v44, vcc, 16, v44
	v_add_u32_e32 v70, 0x80, v70
	v_addc_co_u32_e32 v45, vcc, 0, v45, vcc
	s_cmp_lg_u32 s55, 0
	s_waitcnt vmcnt(0) lgkmcnt(0)
	v_fmac_f64_e32 v[40:41], v[76:77], v[72:73]
	v_fmac_f64_e32 v[42:43], v[78:79], v[72:73]
	v_fma_f64 v[40:41], -v[78:79], v[74:75], v[40:41]
	v_fmac_f64_e32 v[42:43], v[76:77], v[74:75]
	s_cbranch_scc1 .LBB241_47
.LBB241_48:                             ;   in Loop: Header=BB241_38 Depth=3
	s_andn2_b64 vcc, exec, s[84:85]
	s_cbranch_vccnz .LBB241_35
	s_branch .LBB241_50
.LBB241_49:                             ;   in Loop: Header=BB241_38 Depth=3
                                        ; implicit-def: $vgpr40_vgpr41
                                        ; implicit-def: $vgpr42_vgpr43
.LBB241_50:                             ;   in Loop: Header=BB241_38 Depth=3
	v_pk_mov_b32 v[40:41], 0, 0
	s_and_b64 vcc, exec, s[26:27]
	v_pk_mov_b32 v[42:43], v[40:41], v[40:41] op_sel:[0,1]
	s_cbranch_vccnz .LBB241_35
; %bb.51:                               ;   in Loop: Header=BB241_38 Depth=3
	v_pk_mov_b32 v[40:41], 0, 0
	v_mov_b32_e32 v70, v61
	v_pk_mov_b32 v[44:45], v[36:37], v[36:37] op_sel:[0,1]
	s_mov_b32 s26, s54
	v_pk_mov_b32 v[42:43], v[40:41], v[40:41] op_sel:[0,1]
.LBB241_52:                             ;   Parent Loop BB241_15 Depth=1
                                        ;     Parent Loop BB241_24 Depth=2
                                        ;       Parent Loop BB241_38 Depth=3
                                        ; =>      This Inner Loop Header: Depth=4
	global_load_dwordx4 v[72:75], v[44:45], off offset:-8
	ds_read_b128 v[76:79], v70
	s_add_i32 s26, s26, -1
	v_add_co_u32_e32 v44, vcc, s64, v44
	v_addc_co_u32_e32 v45, vcc, v45, v67, vcc
	v_add_u32_e32 v70, 16, v70
	s_cmp_eq_u32 s26, 0
	s_waitcnt vmcnt(0) lgkmcnt(0)
	v_fmac_f64_e32 v[40:41], v[76:77], v[72:73]
	v_fmac_f64_e32 v[42:43], v[78:79], v[72:73]
	v_fma_f64 v[40:41], -v[78:79], v[74:75], v[40:41]
	v_fmac_f64_e32 v[42:43], v[76:77], v[74:75]
	s_cbranch_scc0 .LBB241_52
	s_branch .LBB241_35
.LBB241_53:                             ;   in Loop: Header=BB241_24 Depth=2
	s_or_b64 exec, exec, s[76:77]
.LBB241_54:                             ;   in Loop: Header=BB241_24 Depth=2
	s_or_b64 exec, exec, s[74:75]
.LBB241_55:                             ;   in Loop: Header=BB241_24 Depth=2
	s_or_b64 exec, exec, s[72:73]
	s_waitcnt lgkmcnt(0)
	s_barrier
	s_and_saveexec_b64 s[26:27], s[24:25]
	s_cbranch_execz .LBB241_23
; %bb.56:                               ;   in Loop: Header=BB241_24 Depth=2
	v_lshlrev_b64 v[30:31], 3, v[30:31]
	v_mov_b32_e32 v1, s61
	v_add_co_u32_e32 v30, vcc, s60, v30
	v_addc_co_u32_e32 v31, vcc, v1, v31, vcc
	global_store_dwordx2 v[30:31], v[2:3], off
	s_branch .LBB241_23
.LBB241_57:                             ;   in Loop: Header=BB241_24 Depth=2
                                        ; implicit-def: $vgpr2_vgpr3
	s_branch .LBB241_32
.LBB241_58:                             ;   in Loop: Header=BB241_15 Depth=1
	s_andn2_b64 vcc, exec, s[34:35]
	s_cbranch_vccnz .LBB241_70
; %bb.59:                               ;   in Loop: Header=BB241_15 Depth=1
	s_load_dwordx4 s[24:27], s[36:37], 0x0
	s_waitcnt lgkmcnt(0)
	s_sub_u32 s68, s26, s52
	v_mov_b32_e32 v1, s25
	v_add_co_u32_e32 v32, vcc, s24, v51
	s_subb_u32 s69, s27, 0
	v_addc_co_u32_e32 v33, vcc, v1, v52, vcc
	v_cmp_gt_i64_e32 vcc, s[68:69], v[32:33]
	s_and_saveexec_b64 s[70:71], vcc
	s_cbranch_execz .LBB241_69
; %bb.60:                               ;   in Loop: Header=BB241_15 Depth=1
	v_lshlrev_b64 v[2:3], 2, v[32:33]
	v_mov_b32_e32 v1, s39
	v_add_co_u32_e32 v2, vcc, s38, v2
	v_addc_co_u32_e32 v3, vcc, v1, v3, vcc
	v_mad_u64_u32 v[30:31], s[26:27], s62, v32, v[26:27]
	v_mul_lo_u32 v1, s62, v33
	v_mul_lo_u32 v32, s63, v32
	v_add3_u32 v31, v32, v31, v1
	v_mov_b32_e32 v1, s25
	v_add_co_u32_e32 v32, vcc, s24, v62
	v_addc_co_u32_e32 v33, vcc, v63, v1, vcc
	s_mov_b64 s[72:73], 0
	s_branch .LBB241_63
.LBB241_61:                             ;   in Loop: Header=BB241_63 Depth=2
	s_or_b64 exec, exec, s[74:75]
	s_or_b64 s[24:25], s[24:25], exec
.LBB241_62:                             ;   in Loop: Header=BB241_63 Depth=2
	s_or_b64 exec, exec, s[26:27]
	v_cmp_le_i64_e32 vcc, s[68:69], v[32:33]
	s_xor_b64 s[24:25], s[24:25], -1
	s_or_b64 s[24:25], s[24:25], vcc
	v_add_co_u32_e32 v2, vcc, 16, v2
	v_addc_co_u32_e32 v3, vcc, 0, v3, vcc
	v_mov_b32_e32 v1, s67
	v_add_co_u32_e32 v30, vcc, s66, v30
	v_addc_co_u32_e32 v31, vcc, v31, v1, vcc
	s_and_b64 s[24:25], exec, s[24:25]
	v_add_co_u32_e32 v32, vcc, 4, v32
	s_or_b64 s[72:73], s[24:25], s[72:73]
	v_addc_co_u32_e32 v33, vcc, 0, v33, vcc
	s_andn2_b64 exec, exec, s[72:73]
	s_cbranch_execz .LBB241_68
.LBB241_63:                             ;   Parent Loop BB241_15 Depth=1
                                        ; =>  This Inner Loop Header: Depth=2
	global_load_dword v1, v[2:3], off
	s_waitcnt vmcnt(0)
	v_subrev_u32_e32 v1, s31, v1
	v_cmp_gt_i32_e64 s[24:25], s43, v1
	v_cmp_ge_i32_e64 s[26:27], v1, v68
	v_cmp_lt_i32_e32 vcc, v1, v68
	s_or_b64 s[26:27], s[24:25], s[26:27]
                                        ; implicit-def: $sgpr24_sgpr25
	s_and_saveexec_b64 s[74:75], s[26:27]
	s_xor_b64 s[26:27], exec, s[74:75]
; %bb.64:                               ;   in Loop: Header=BB241_63 Depth=2
	v_min_i32_e32 v1, v1, v69
	v_cndmask_b32_e32 v69, v1, v69, vcc
	s_and_b64 s[24:25], vcc, exec
                                        ; implicit-def: $vgpr1
; %bb.65:                               ;   in Loop: Header=BB241_63 Depth=2
	s_andn2_saveexec_b64 s[26:27], s[26:27]
	s_cbranch_execz .LBB241_62
; %bb.66:                               ;   in Loop: Header=BB241_63 Depth=2
	v_subrev_u32_e32 v1, s43, v1
	v_lshlrev_b32_e32 v34, 2, v1
	ds_write_b32 v34, v65 offset:36864
	s_and_saveexec_b64 s[74:75], s[4:5]
	s_cbranch_execz .LBB241_61
; %bb.67:                               ;   in Loop: Header=BB241_63 Depth=2
	global_load_dwordx4 v[34:37], v[30:31], off offset:-8
	v_lshlrev_b32_e32 v1, 6, v1
	v_or3_b32 v1, v1, v50, v21
	v_lshlrev_b32_e32 v1, 4, v1
	s_waitcnt vmcnt(0)
	v_mul_f64 v[38:39], v[36:37], -v[10:11]
	v_mul_f64 v[36:37], v[14:15], v[36:37]
	v_fmac_f64_e32 v[38:39], v[14:15], v[34:35]
	v_fmac_f64_e32 v[36:37], v[10:11], v[34:35]
	ds_add_f64 v1, v[38:39]
	ds_add_f64 v1, v[36:37] offset:8
	s_branch .LBB241_61
.LBB241_68:                             ;   in Loop: Header=BB241_15 Depth=1
	s_or_b64 exec, exec, s[72:73]
.LBB241_69:                             ;   in Loop: Header=BB241_15 Depth=1
	s_or_b64 exec, exec, s[70:71]
.LBB241_70:                             ;   in Loop: Header=BB241_15 Depth=1
	s_and_saveexec_b64 s[24:25], s[8:9]
	s_cbranch_execz .LBB241_75
; %bb.71:                               ;   in Loop: Header=BB241_15 Depth=1
	s_mov_b64 s[26:27], exec
	s_brev_b32 s55, -2
.LBB241_72:                             ;   Parent Loop BB241_15 Depth=1
                                        ; =>  This Inner Loop Header: Depth=2
	s_ff1_i32_b64 s65, s[26:27]
	v_readlane_b32 s70, v69, s65
	s_lshl_b64 s[68:69], 1, s65
	s_min_i32 s55, s55, s70
	s_andn2_b64 s[26:27], s[26:27], s[68:69]
	s_cmp_lg_u64 s[26:27], 0
	s_cbranch_scc1 .LBB241_72
; %bb.73:                               ;   in Loop: Header=BB241_15 Depth=1
	v_mbcnt_lo_u32_b32 v1, exec_lo, 0
	v_mbcnt_hi_u32_b32 v1, exec_hi, v1
	v_cmp_eq_u32_e32 vcc, 0, v1
	s_and_saveexec_b64 s[26:27], vcc
	s_xor_b64 s[26:27], exec, s[26:27]
	s_cbranch_execz .LBB241_75
; %bb.74:                               ;   in Loop: Header=BB241_15 Depth=1
	v_mov_b32_e32 v1, s55
	ds_min_i32 v0, v1 offset:36992
.LBB241_75:                             ;   in Loop: Header=BB241_15 Depth=1
	s_or_b64 exec, exec, s[24:25]
	s_waitcnt lgkmcnt(0)
	s_barrier
	ds_read_b32 v1, v53
	s_waitcnt lgkmcnt(0)
	s_barrier
	s_and_saveexec_b64 s[24:25], s[12:13]
	s_cbranch_execz .LBB241_77
; %bb.76:                               ;   in Loop: Header=BB241_15 Depth=1
	ds_read_b32 v2, v54
	s_waitcnt lgkmcnt(0)
	v_add_u32_e32 v1, v2, v1
.LBB241_77:                             ;   in Loop: Header=BB241_15 Depth=1
	s_or_b64 exec, exec, s[24:25]
	s_barrier
	ds_write_b32 v53, v1
	s_waitcnt lgkmcnt(0)
	s_barrier
	s_and_saveexec_b64 s[24:25], s[14:15]
	s_cbranch_execz .LBB241_79
; %bb.78:                               ;   in Loop: Header=BB241_15 Depth=1
	ds_read_b32 v2, v56
	s_waitcnt lgkmcnt(0)
	v_add_u32_e32 v1, v2, v1
.LBB241_79:                             ;   in Loop: Header=BB241_15 Depth=1
	s_or_b64 exec, exec, s[24:25]
	s_barrier
	ds_write_b32 v53, v1
	;; [unrolled: 12-line block ×5, first 2 shown]
	s_waitcnt lgkmcnt(0)
	s_barrier
	ds_read_b32 v3, v0 offset:36988
	v_mov_b32_e32 v2, 0
	s_and_saveexec_b64 s[24:25], s[10:11]
	s_cbranch_execz .LBB241_87
; %bb.86:                               ;   in Loop: Header=BB241_15 Depth=1
	ds_read_b32 v2, v54
.LBB241_87:                             ;   in Loop: Header=BB241_15 Depth=1
	s_or_b64 exec, exec, s[24:25]
	s_waitcnt lgkmcnt(0)
	v_cmp_eq_u32_e32 vcc, v1, v2
	s_and_b64 s[26:27], s[10:11], vcc
	s_barrier
	s_and_saveexec_b64 s[24:25], s[26:27]
	s_cbranch_execz .LBB241_89
; %bb.88:                               ;   in Loop: Header=BB241_15 Depth=1
	ds_write_b32 v53, v0
.LBB241_89:                             ;   in Loop: Header=BB241_15 Depth=1
	s_or_b64 exec, exec, s[24:25]
	v_add_co_u32_e32 v30, vcc, -1, v28
	v_addc_co_u32_e32 v31, vcc, -1, v29, vcc
	s_add_i32 s43, s30, s43
	s_mov_b64 s[24:25], 0
	v_mov_b32_e32 v32, v64
	v_mov_b32_e32 v33, v46
	;; [unrolled: 1-line block ×3, first 2 shown]
	s_waitcnt lgkmcnt(0)
	s_barrier
	s_branch .LBB241_91
.LBB241_90:                             ;   in Loop: Header=BB241_91 Depth=2
	s_or_b64 exec, exec, s[26:27]
	v_add_u32_e32 v1, 4, v34
	v_cmp_lt_u32_e32 vcc, 27, v34
	v_add_u32_e32 v33, 0x1000, v33
	v_add_u32_e32 v32, 16, v32
	s_or_b64 s[24:25], vcc, s[24:25]
	v_mov_b32_e32 v34, v1
	s_andn2_b64 exec, exec, s[24:25]
	s_cbranch_execz .LBB241_14
.LBB241_91:                             ;   Parent Loop BB241_15 Depth=1
                                        ; =>  This Inner Loop Header: Depth=2
	ds_read_b32 v2, v32
	s_waitcnt lgkmcnt(0)
	v_cmp_ne_u32_e32 vcc, 0, v2
	s_and_saveexec_b64 s[26:27], vcc
	s_cbranch_execz .LBB241_90
; %bb.92:                               ;   in Loop: Header=BB241_91 Depth=2
	v_ashrrev_i32_e32 v1, 31, v2
	v_add_co_u32_e32 v36, vcc, v28, v2
	v_addc_co_u32_e32 v37, vcc, v29, v1, vcc
	v_lshlrev_b64 v[36:37], 2, v[36:37]
	v_mov_b32_e32 v38, s90
	v_add_co_u32_e32 v36, vcc, s89, v36
	v_add_u32_e32 v35, s43, v34
	v_addc_co_u32_e32 v37, vcc, v38, v37, vcc
	global_store_dword v[36:37], v35, off
	s_and_b64 exec, exec, s[4:5]
	s_cbranch_execz .LBB241_90
; %bb.93:                               ;   in Loop: Header=BB241_91 Depth=2
	v_add_co_u32_e32 v2, vcc, v30, v2
	v_mad_u64_u32 v[36:37], s[68:69], v2, s42, 0
	v_addc_co_u32_e32 v1, vcc, v31, v1, vcc
	v_mov_b32_e32 v2, v37
	v_mad_u64_u32 v[38:39], s[68:69], v1, s42, v[2:3]
	v_mov_b32_e32 v37, v38
	v_lshlrev_b64 v[40:41], 4, v[36:37]
	ds_read2_b64 v[36:39], v33 offset1:1
	v_add_co_u32_e32 v40, vcc, v20, v40
	v_addc_co_u32_e32 v41, vcc, v17, v41, vcc
	s_waitcnt lgkmcnt(0)
	global_store_dwordx4 v[40:41], v[36:39], off
	s_branch .LBB241_90
.LBB241_94:
	s_endpgm
	.section	.rodata,"a",@progbits
	.p2align	6, 0x0
	.amdhsa_kernel _ZN9rocsparseL38bsrgemm_block_per_row_atomic_multipassILj256ELj32ELj8Eli21rocsparse_complex_numIdEEEv20rocsparse_direction_T3_S4_PKS4_S6_NS_24const_host_device_scalarIT4_EEPKT2_S6_PKS8_SC_S6_SE_S9_SC_S6_SE_SC_PS4_PS8_PSA_21rocsparse_index_base_SI_SI_SI_bbb
		.amdhsa_group_segment_fixed_size 41096
		.amdhsa_private_segment_fixed_size 0
		.amdhsa_kernarg_size 188
		.amdhsa_user_sgpr_count 8
		.amdhsa_user_sgpr_private_segment_buffer 1
		.amdhsa_user_sgpr_dispatch_ptr 1
		.amdhsa_user_sgpr_queue_ptr 0
		.amdhsa_user_sgpr_kernarg_segment_ptr 1
		.amdhsa_user_sgpr_dispatch_id 0
		.amdhsa_user_sgpr_flat_scratch_init 0
		.amdhsa_user_sgpr_kernarg_preload_length 0
		.amdhsa_user_sgpr_kernarg_preload_offset 0
		.amdhsa_user_sgpr_private_segment_size 0
		.amdhsa_uses_dynamic_stack 0
		.amdhsa_system_sgpr_private_segment_wavefront_offset 0
		.amdhsa_system_sgpr_workgroup_id_x 1
		.amdhsa_system_sgpr_workgroup_id_y 0
		.amdhsa_system_sgpr_workgroup_id_z 0
		.amdhsa_system_sgpr_workgroup_info 0
		.amdhsa_system_vgpr_workitem_id 2
		.amdhsa_next_free_vgpr 80
		.amdhsa_next_free_sgpr 91
		.amdhsa_accum_offset 80
		.amdhsa_reserve_vcc 1
		.amdhsa_reserve_flat_scratch 0
		.amdhsa_float_round_mode_32 0
		.amdhsa_float_round_mode_16_64 0
		.amdhsa_float_denorm_mode_32 3
		.amdhsa_float_denorm_mode_16_64 3
		.amdhsa_dx10_clamp 1
		.amdhsa_ieee_mode 1
		.amdhsa_fp16_overflow 0
		.amdhsa_tg_split 0
		.amdhsa_exception_fp_ieee_invalid_op 0
		.amdhsa_exception_fp_denorm_src 0
		.amdhsa_exception_fp_ieee_div_zero 0
		.amdhsa_exception_fp_ieee_overflow 0
		.amdhsa_exception_fp_ieee_underflow 0
		.amdhsa_exception_fp_ieee_inexact 0
		.amdhsa_exception_int_div_zero 0
	.end_amdhsa_kernel
	.section	.text._ZN9rocsparseL38bsrgemm_block_per_row_atomic_multipassILj256ELj32ELj8Eli21rocsparse_complex_numIdEEEv20rocsparse_direction_T3_S4_PKS4_S6_NS_24const_host_device_scalarIT4_EEPKT2_S6_PKS8_SC_S6_SE_S9_SC_S6_SE_SC_PS4_PS8_PSA_21rocsparse_index_base_SI_SI_SI_bbb,"axG",@progbits,_ZN9rocsparseL38bsrgemm_block_per_row_atomic_multipassILj256ELj32ELj8Eli21rocsparse_complex_numIdEEEv20rocsparse_direction_T3_S4_PKS4_S6_NS_24const_host_device_scalarIT4_EEPKT2_S6_PKS8_SC_S6_SE_S9_SC_S6_SE_SC_PS4_PS8_PSA_21rocsparse_index_base_SI_SI_SI_bbb,comdat
.Lfunc_end241:
	.size	_ZN9rocsparseL38bsrgemm_block_per_row_atomic_multipassILj256ELj32ELj8Eli21rocsparse_complex_numIdEEEv20rocsparse_direction_T3_S4_PKS4_S6_NS_24const_host_device_scalarIT4_EEPKT2_S6_PKS8_SC_S6_SE_S9_SC_S6_SE_SC_PS4_PS8_PSA_21rocsparse_index_base_SI_SI_SI_bbb, .Lfunc_end241-_ZN9rocsparseL38bsrgemm_block_per_row_atomic_multipassILj256ELj32ELj8Eli21rocsparse_complex_numIdEEEv20rocsparse_direction_T3_S4_PKS4_S6_NS_24const_host_device_scalarIT4_EEPKT2_S6_PKS8_SC_S6_SE_S9_SC_S6_SE_SC_PS4_PS8_PSA_21rocsparse_index_base_SI_SI_SI_bbb
                                        ; -- End function
	.section	.AMDGPU.csdata,"",@progbits
; Kernel info:
; codeLenInByte = 3732
; NumSgprs: 95
; NumVgprs: 80
; NumAgprs: 0
; TotalNumVgprs: 80
; ScratchSize: 0
; MemoryBound: 0
; FloatMode: 240
; IeeeMode: 1
; LDSByteSize: 41096 bytes/workgroup (compile time only)
; SGPRBlocks: 11
; VGPRBlocks: 9
; NumSGPRsForWavesPerEU: 95
; NumVGPRsForWavesPerEU: 80
; AccumOffset: 80
; Occupancy: 1
; WaveLimiterHint : 1
; COMPUTE_PGM_RSRC2:SCRATCH_EN: 0
; COMPUTE_PGM_RSRC2:USER_SGPR: 8
; COMPUTE_PGM_RSRC2:TRAP_HANDLER: 0
; COMPUTE_PGM_RSRC2:TGID_X_EN: 1
; COMPUTE_PGM_RSRC2:TGID_Y_EN: 0
; COMPUTE_PGM_RSRC2:TGID_Z_EN: 0
; COMPUTE_PGM_RSRC2:TIDIG_COMP_CNT: 2
; COMPUTE_PGM_RSRC3_GFX90A:ACCUM_OFFSET: 19
; COMPUTE_PGM_RSRC3_GFX90A:TG_SPLIT: 0
	.section	.text._ZN9rocsparseL31bsrgemm_block_per_row_multipassILj256ELj8ELj16Eli21rocsparse_complex_numIdEEEv20rocsparse_direction_T3_S4_PKS4_S6_NS_24const_host_device_scalarIT4_EEPKT2_S6_PKS8_SC_S6_SE_S9_SC_S6_SE_SC_PS4_PS8_PSA_21rocsparse_index_base_SI_SI_SI_bbb,"axG",@progbits,_ZN9rocsparseL31bsrgemm_block_per_row_multipassILj256ELj8ELj16Eli21rocsparse_complex_numIdEEEv20rocsparse_direction_T3_S4_PKS4_S6_NS_24const_host_device_scalarIT4_EEPKT2_S6_PKS8_SC_S6_SE_S9_SC_S6_SE_SC_PS4_PS8_PSA_21rocsparse_index_base_SI_SI_SI_bbb,comdat
	.globl	_ZN9rocsparseL31bsrgemm_block_per_row_multipassILj256ELj8ELj16Eli21rocsparse_complex_numIdEEEv20rocsparse_direction_T3_S4_PKS4_S6_NS_24const_host_device_scalarIT4_EEPKT2_S6_PKS8_SC_S6_SE_S9_SC_S6_SE_SC_PS4_PS8_PSA_21rocsparse_index_base_SI_SI_SI_bbb ; -- Begin function _ZN9rocsparseL31bsrgemm_block_per_row_multipassILj256ELj8ELj16Eli21rocsparse_complex_numIdEEEv20rocsparse_direction_T3_S4_PKS4_S6_NS_24const_host_device_scalarIT4_EEPKT2_S6_PKS8_SC_S6_SE_S9_SC_S6_SE_SC_PS4_PS8_PSA_21rocsparse_index_base_SI_SI_SI_bbb
	.p2align	8
	.type	_ZN9rocsparseL31bsrgemm_block_per_row_multipassILj256ELj8ELj16Eli21rocsparse_complex_numIdEEEv20rocsparse_direction_T3_S4_PKS4_S6_NS_24const_host_device_scalarIT4_EEPKT2_S6_PKS8_SC_S6_SE_S9_SC_S6_SE_SC_PS4_PS8_PSA_21rocsparse_index_base_SI_SI_SI_bbb,@function
_ZN9rocsparseL31bsrgemm_block_per_row_multipassILj256ELj8ELj16Eli21rocsparse_complex_numIdEEEv20rocsparse_direction_T3_S4_PKS4_S6_NS_24const_host_device_scalarIT4_EEPKT2_S6_PKS8_SC_S6_SE_S9_SC_S6_SE_SC_PS4_PS8_PSA_21rocsparse_index_base_SI_SI_SI_bbb: ; @_ZN9rocsparseL31bsrgemm_block_per_row_multipassILj256ELj8ELj16Eli21rocsparse_complex_numIdEEEv20rocsparse_direction_T3_S4_PKS4_S6_NS_24const_host_device_scalarIT4_EEPKT2_S6_PKS8_SC_S6_SE_S9_SC_S6_SE_SC_PS4_PS8_PSA_21rocsparse_index_base_SI_SI_SI_bbb
; %bb.0:
	s_load_dword s9, s[6:7], 0xb8
	s_load_dwordx4 s[24:27], s[6:7], 0xa8
	s_load_dwordx4 s[16:19], s[6:7], 0x20
	;; [unrolled: 1-line block ×3, first 2 shown]
	v_and_b32_e32 v16, 0x3ff, v0
	s_load_dwordx2 s[4:5], s[4:5], 0x4
	s_waitcnt lgkmcnt(0)
	s_bitcmp1_b32 s9, 0
	s_cselect_b64 s[42:43], -1, 0
	s_bitcmp1_b32 s9, 16
	s_cselect_b64 s[0:1], -1, 0
	s_lshr_b32 s4, s4, 16
	s_mul_i32 s4, s4, s5
	v_mul_lo_u32 v1, s4, v16
	v_bfe_u32 v2, v0, 10, 10
	v_mad_u32_u24 v1, v2, s5, v1
	v_bfe_u32 v0, v0, 20, 10
	v_add_lshl_u32 v0, v1, v0, 3
	s_xor_b64 s[2:3], s[0:1], -1
	v_pk_mov_b32 v[2:3], s[16:17], s[16:17] op_sel:[0,1]
	v_pk_mov_b32 v[4:5], s[12:13], s[12:13] op_sel:[0,1]
	v_add_u32_e32 v1, 8, v0
	v_pk_mov_b32 v[6:7], 0, 0
	ds_write2st64_b64 v1, v[4:5], v[2:3] offset0:64 offset1:68
	s_bitcmp0_b32 s9, 0
	v_pk_mov_b32 v[4:5], v[6:7], v[6:7] op_sel:[0,1]
	v_pk_mov_b32 v[8:9], v[6:7], v[6:7] op_sel:[0,1]
	s_cbranch_scc1 .LBB242_3
; %bb.1:
	s_mov_b64 s[4:5], src_shared_base
	s_and_b64 s[10:11], s[0:1], exec
	v_add_u32_e32 v1, 0x8808, v0
	s_cselect_b32 s4, s5, s17
	v_mov_b32_e32 v2, s16
	v_cndmask_b32_e64 v2, v2, v1, s[0:1]
	v_mov_b32_e32 v3, s4
	flat_load_dwordx2 v[4:5], v[2:3]
	s_andn2_b64 vcc, exec, s[2:3]
	v_pk_mov_b32 v[8:9], s[18:19], s[18:19] op_sel:[0,1]
	s_cbranch_vccnz .LBB242_3
; %bb.2:
	v_pk_mov_b32 v[2:3], s[16:17], s[16:17] op_sel:[0,1]
	flat_load_dwordx2 v[8:9], v[2:3] offset:8
.LBB242_3:
	s_load_dwordx2 s[10:11], s[6:7], 0x18
	s_bitcmp1_b32 s9, 8
	s_cselect_b64 s[34:35], -1, 0
	s_bfe_u32 s4, s9, 0x10008
	s_cmp_eq_u32 s4, 0
	v_pk_mov_b32 v[10:11], v[6:7], v[6:7] op_sel:[0,1]
	s_cbranch_scc1 .LBB242_6
; %bb.4:
	s_mov_b64 s[4:5], src_shared_base
	s_and_b64 s[16:17], s[0:1], exec
	v_add_u32_e32 v0, 0x8008, v0
	s_cselect_b32 s4, s5, s13
	v_mov_b32_e32 v1, s12
	v_cndmask_b32_e64 v0, v1, v0, s[0:1]
	v_mov_b32_e32 v1, s4
	flat_load_dwordx2 v[10:11], v[0:1]
	s_andn2_b64 vcc, exec, s[2:3]
	v_pk_mov_b32 v[6:7], s[14:15], s[14:15] op_sel:[0,1]
	s_cbranch_vccnz .LBB242_6
; %bb.5:
	v_pk_mov_b32 v[0:1], s[12:13], s[12:13] op_sel:[0,1]
	flat_load_dwordx2 v[6:7], v[0:1] offset:8
.LBB242_6:
	s_load_dwordx2 s[4:5], s[6:7], 0x30
	s_waitcnt lgkmcnt(0)
	s_cmp_eq_u64 s[10:11], 0
	s_cbranch_scc1 .LBB242_8
; %bb.7:
	s_load_dwordx2 s[0:1], s[6:7], 0x10
	s_waitcnt lgkmcnt(0)
	s_load_dword s0, s[0:1], 0x0
	s_mov_b32 s1, 0
	s_waitcnt lgkmcnt(0)
	s_add_i32 s0, s0, s8
	s_lshl_b64 s[0:1], s[0:1], 2
	s_add_u32 s0, s10, s0
	s_addc_u32 s1, s11, s1
	s_load_dword s8, s[0:1], 0x0
.LBB242_8:
	v_cndmask_b32_e64 v0, 0, 1, s[42:43]
	s_mov_b64 s[2:3], 0
	v_cmp_ne_u32_e64 s[0:1], 1, v0
	s_andn2_b64 vcc, exec, s[42:43]
	s_mov_b64 s[44:45], 0
	s_cbranch_vccz .LBB242_11
; %bb.9:
	s_and_b64 vcc, exec, s[0:1]
	s_cbranch_vccz .LBB242_12
.LBB242_10:
	s_load_dwordx4 s[28:31], s[6:7], 0x0
	s_waitcnt lgkmcnt(0)
	s_cmp_lt_i32 s29, 1
	s_cbranch_scc0 .LBB242_13
	s_branch .LBB242_96
.LBB242_11:
	s_waitcnt lgkmcnt(0)
	s_ashr_i32 s9, s8, 31
	s_lshl_b64 s[10:11], s[8:9], 3
	s_add_u32 s10, s4, s10
	s_addc_u32 s11, s5, s11
	s_load_dwordx2 s[10:11], s[10:11], 0x0
	s_waitcnt lgkmcnt(0)
	s_sub_u32 s44, s10, s24
	s_subb_u32 s45, s11, 0
	s_and_b64 vcc, exec, s[0:1]
	s_cbranch_vccnz .LBB242_10
.LBB242_12:
	s_waitcnt lgkmcnt(0)
	s_ashr_i32 s9, s8, 31
	s_lshl_b64 s[0:1], s[8:9], 3
	s_add_u32 s0, s4, s0
	s_addc_u32 s1, s5, s1
	s_load_dwordx2 s[0:1], s[0:1], 0x8
	s_waitcnt lgkmcnt(0)
	s_sub_u32 s2, s0, s24
	s_subb_u32 s3, s1, 0
	s_load_dwordx4 s[28:31], s[6:7], 0x0
	s_waitcnt lgkmcnt(0)
	s_cmp_lt_i32 s29, 1
	s_cbranch_scc1 .LBB242_96
.LBB242_13:
	s_load_dwordx8 s[16:23], s[6:7], 0x70
	s_load_dwordx2 s[46:47], s[6:7], 0xa0
	s_load_dwordx4 s[36:39], s[6:7], 0x90
	s_load_dwordx2 s[54:55], s[6:7], 0x58
	s_ashr_i32 s9, s8, 31
	s_lshl_b64 s[50:51], s[8:9], 3
	s_waitcnt lgkmcnt(0)
	s_add_u32 s0, s22, s50
	s_addc_u32 s1, s23, s51
	s_load_dwordx2 s[4:5], s[0:1], 0x0
	s_load_dwordx8 s[8:15], s[6:7], 0x38
	v_and_b32_e32 v48, 15, v16
	v_lshrrev_b32_e32 v0, 4, v16
	v_mul_lo_u32 v14, v48, s30
	s_waitcnt lgkmcnt(0)
	s_sub_u32 s6, s4, s26
	v_mov_b32_e32 v15, 0
	s_subb_u32 s7, s5, 0
	v_pk_mov_b32 v[12:13], s[2:3], s[2:3] op_sel:[0,1]
	v_cmp_gt_u32_e64 s[2:3], s30, v48
	v_cmp_gt_i32_e64 s[4:5], s30, v0
	v_lshlrev_b64 v[2:3], 4, v[14:15]
	s_and_b64 s[22:23], s[2:3], s[4:5]
	v_mov_b32_e32 v14, s21
	v_add_co_u32_e64 v17, s[2:3], s20, v2
	v_and_b32_e32 v49, 0xf0, v16
	v_addc_co_u32_e64 v18, s[2:3], v14, v3, s[2:3]
	v_mul_lo_u32 v0, v0, s30
	v_mov_b32_e32 v1, v15
	v_add_co_u32_e64 v17, s[2:3], v17, v49
	v_addc_co_u32_e64 v18, s[2:3], 0, v18, s[2:3]
	v_lshlrev_b64 v[0:1], 4, v[0:1]
	v_add_co_u32_e64 v19, s[2:3], s20, v0
	v_addc_co_u32_e64 v14, s[2:3], v14, v1, s[2:3]
	v_lshlrev_b32_e32 v24, 4, v48
	v_add_co_u32_e64 v19, s[2:3], v19, v24
	v_mov_b32_e32 v20, s39
	v_add_co_u32_e64 v21, s[4:5], s38, v2
	s_cmp_eq_u32 s28, 0
	v_addc_co_u32_e64 v14, s[2:3], 0, v14, s[2:3]
	v_addc_co_u32_e64 v22, s[4:5], v20, v3, s[4:5]
	s_cselect_b64 s[2:3], -1, 0
	s_cmp_lg_u32 s28, 0
	v_add_co_u32_e64 v50, s[4:5], v21, v49
	s_cselect_b64 s[20:21], -1, 0
	s_cmp_gt_i32 s30, 0
	v_addc_co_u32_e64 v51, s[4:5], 0, v22, s[4:5]
	v_cmp_lt_i64_e32 vcc, s[44:45], v[12:13]
	s_cselect_b64 s[56:57], -1, 0
	s_add_u32 s16, s16, s50
	v_add_co_u32_e64 v21, s[4:5], s38, v0
	s_addc_u32 s17, s17, s51
	v_addc_co_u32_e64 v20, s[4:5], v20, v1, s[4:5]
	s_and_b64 s[38:39], s[42:43], vcc
	v_add_co_u32_e64 v52, s[4:5], v21, v24
	s_add_u32 s28, s12, 8
	s_mul_i32 s48, s30, s30
	v_addc_co_u32_e64 v53, s[4:5], 0, v20, s[4:5]
	s_addc_u32 s62, s13, 0
	s_add_u32 s63, s36, -4
	s_mul_i32 s4, s45, s48
	s_mul_hi_u32 s5, s44, s48
	s_addc_u32 s64, s37, -1
	s_add_i32 s5, s5, s4
	s_mul_i32 s4, s44, s48
	s_lshl_b64 s[4:5], s[4:5], 4
	s_add_u32 s4, s10, s4
	v_or_b32_e32 v20, v49, v48
	v_cndmask_b32_e64 v27, v18, v14, s[2:3]
	v_cndmask_b32_e64 v26, v17, v19, s[2:3]
	;; [unrolled: 1-line block ×4, first 2 shown]
	v_or_b32_e32 v18, 0x400, v16
	s_movk_i32 s2, 0x700
	s_addc_u32 s5, s11, s5
	v_lshlrev_b32_e32 v20, 4, v20
	v_cmp_gt_u32_e64 s[2:3], s2, v18
	v_mov_b32_e32 v18, s5
	v_add_co_u32_e32 v19, vcc, s4, v49
	v_or_b32_e32 v55, 0x1000, v20
	v_or_b32_e32 v56, 0x2000, v20
	;; [unrolled: 1-line block ×6, first 2 shown]
	v_addc_co_u32_e32 v20, vcc, 0, v18, vcc
	v_add_co_u32_e32 v18, vcc, 8, v19
	v_addc_co_u32_e32 v19, vcc, 0, v20, vcc
	v_mov_b32_e32 v25, s55
	v_add_co_u32_e32 v2, vcc, s54, v2
	v_addc_co_u32_e32 v3, vcc, v3, v25, vcc
	v_add_co_u32_e32 v20, vcc, 8, v2
	v_addc_co_u32_e32 v21, vcc, 0, v3, vcc
	v_mov_b32_e32 v2, s5
	v_add_co_u32_e32 v0, vcc, s4, v0
	v_addc_co_u32_e32 v1, vcc, v2, v1, vcc
	v_add_co_u32_e32 v22, vcc, 8, v0
	s_mov_b32 s41, 0
	v_addc_co_u32_e32 v23, vcc, 0, v1, vcc
	s_mov_b32 s49, s41
	s_mov_b32 s50, s27
	;; [unrolled: 1-line block ×4, first 2 shown]
	v_add_co_u32_e32 v0, vcc, s54, v24
	s_lshl_b64 s[10:11], s[48:49], 4
	s_lshl_b64 s[52:53], s[30:31], 4
	v_addc_co_u32_e32 v1, vcc, 0, v25, vcc
	s_lshl_b64 s[4:5], s[50:51], 2
	v_add_co_u32_e32 v24, vcc, 8, v0
	s_sub_u32 s31, s18, s4
	v_addc_co_u32_e32 v25, vcc, 0, v1, vcc
	s_subb_u32 s49, s19, s5
	s_mov_b32 s40, s41
	v_lshlrev_b32_e32 v54, 4, v16
	v_add_co_u32_e32 v26, vcc, 8, v26
	s_sub_u32 s51, 1, s27
	s_mov_b32 s42, s41
	s_mov_b32 s43, s41
	v_pk_mov_b32 v[0:1], s[40:41], s[40:41] op_sel:[0,1]
	s_mov_b32 s66, 8
	v_cmp_gt_u32_e64 s[0:1], 8, v16
	s_mov_b32 s33, s25
	v_or_b32_e32 v58, 0x4000, v54
	v_addc_co_u32_e32 v27, vcc, 0, v27, vcc
	s_subb_u32 s65, 0, 0
	v_pk_mov_b32 v[28:29], s[6:7], s[6:7] op_sel:[0,1]
	v_pk_mov_b32 v[2:3], s[42:43], s[42:43] op_sel:[0,1]
	v_cndmask_b32_e64 v62, 0, 1, s[56:57]
	v_mov_b32_e32 v63, s53
	v_mov_b32_e32 v64, s11
	;; [unrolled: 1-line block ×3, first 2 shown]
	s_mov_b32 s53, 0
	s_branch .LBB242_16
.LBB242_14:                             ;   in Loop: Header=BB242_16 Depth=1
	s_or_b64 exec, exec, s[4:5]
.LBB242_15:                             ;   in Loop: Header=BB242_16 Depth=1
	s_min_i32 s53, s40, s29
	s_add_i32 s66, s53, 8
	s_cmp_lt_i32 s40, s29
	v_pk_mov_b32 v[28:29], v[30:31], v[30:31] op_sel:[0,1]
	s_barrier
	s_barrier
	s_cbranch_scc0 .LBB242_96
.LBB242_16:                             ; =>This Loop Header: Depth=1
                                        ;     Child Loop BB242_22 Depth 2
                                        ;       Child Loop BB242_27 Depth 3
                                        ;         Child Loop BB242_36 Depth 4
                                        ;         Child Loop BB242_41 Depth 4
                                        ;     Child Loop BB242_55 Depth 2
	s_and_saveexec_b64 s[4:5], s[0:1]
	s_cbranch_execz .LBB242_18
; %bb.17:                               ;   in Loop: Header=BB242_16 Depth=1
	ds_write_b8 v16, v15 offset:32768
.LBB242_18:                             ;   in Loop: Header=BB242_16 Depth=1
	s_or_b64 exec, exec, s[4:5]
	ds_write_b128 v54, v[0:3]
	ds_write_b128 v54, v[0:3] offset:4096
	ds_write_b128 v54, v[0:3] offset:8192
	;; [unrolled: 1-line block ×4, first 2 shown]
	s_and_saveexec_b64 s[4:5], s[2:3]
	s_xor_b64 s[4:5], exec, s[4:5]
	s_cbranch_execz .LBB242_20
; %bb.19:                               ;   in Loop: Header=BB242_16 Depth=1
	ds_write_b128 v54, v[0:3] offset:20480
	ds_write_b128 v54, v[0:3] offset:24576
	;; [unrolled: 1-line block ×3, first 2 shown]
.LBB242_20:                             ;   in Loop: Header=BB242_16 Depth=1
	s_or_b64 exec, exec, s[4:5]
	s_andn2_b64 vcc, exec, s[38:39]
	s_mov_b32 s40, s29
	s_waitcnt lgkmcnt(0)
	s_barrier
	s_cbranch_vccnz .LBB242_50
; %bb.21:                               ;   in Loop: Header=BB242_16 Depth=1
	s_cmp_lg_u32 s53, 0
	s_cselect_b64 s[6:7], -1, 0
	v_pk_mov_b32 v[30:31], v[22:23], v[22:23] op_sel:[0,1]
	v_pk_mov_b32 v[32:33], v[18:19], v[18:19] op_sel:[0,1]
	s_mov_b32 s67, s29
	s_mov_b64 s[18:19], s[44:45]
.LBB242_22:                             ;   Parent Loop BB242_16 Depth=1
                                        ; =>  This Loop Header: Depth=2
                                        ;       Child Loop BB242_27 Depth 3
                                        ;         Child Loop BB242_36 Depth 4
                                        ;         Child Loop BB242_41 Depth 4
	s_lshl_b64 s[4:5], s[18:19], 2
	s_add_u32 s4, s8, s4
	s_addc_u32 s5, s9, s5
	s_load_dword s4, s[4:5], 0x0
	s_and_b64 vcc, exec, s[6:7]
	s_waitcnt lgkmcnt(0)
	s_sub_i32 s4, s4, s24
	s_cbranch_vccz .LBB242_49
; %bb.23:                               ;   in Loop: Header=BB242_22 Depth=2
	s_lshl_b64 s[42:43], s[18:19], 3
	s_add_u32 s42, s46, s42
	s_addc_u32 s43, s47, s43
	global_load_dwordx2 v[34:35], v15, s[42:43]
	s_ashr_i32 s5, s4, 31
	s_waitcnt vmcnt(0)
	v_readfirstlane_b32 s42, v34
	v_readfirstlane_b32 s43, v35
	s_cbranch_execnz .LBB242_25
.LBB242_24:                             ;   in Loop: Header=BB242_22 Depth=2
	s_ashr_i32 s5, s4, 31
	s_lshl_b64 s[42:43], s[4:5], 3
	s_add_u32 s42, s12, s42
	s_addc_u32 s43, s13, s43
	s_load_dwordx2 s[42:43], s[42:43], 0x0
	s_waitcnt lgkmcnt(0)
	s_sub_u32 s42, s42, s33
	s_subb_u32 s43, s43, 0
.LBB242_25:                             ;   in Loop: Header=BB242_22 Depth=2
	s_lshl_b64 s[4:5], s[4:5], 3
	s_add_u32 s4, s28, s4
	s_addc_u32 s5, s62, s5
	s_load_dwordx2 s[4:5], s[4:5], 0x0
	s_waitcnt lgkmcnt(0)
	s_sub_u32 s4, s4, s33
	s_subb_u32 s5, s5, 0
	v_pk_mov_b32 v[34:35], s[4:5], s[4:5] op_sel:[0,1]
	v_cmp_ge_i64_e32 vcc, s[42:43], v[34:35]
	s_cbranch_vccnz .LBB242_46
; %bb.26:                               ;   in Loop: Header=BB242_22 Depth=2
	v_mov_b32_e32 v36, s42
	v_mad_u64_u32 v[34:35], s[54:55], s10, v36, v[20:21]
	s_mul_i32 s40, s11, s42
	s_mul_i32 s54, s10, s43
	s_add_i32 s40, s54, s40
	v_mad_u64_u32 v[36:37], s[54:55], s10, v36, v[24:25]
	v_add_u32_e32 v35, s40, v35
	v_add_u32_e32 v37, s40, v37
	v_pk_mov_b32 v[38:39], s[4:5], s[4:5] op_sel:[0,1]
	s_mov_b64 s[54:55], s[42:43]
.LBB242_27:                             ;   Parent Loop BB242_16 Depth=1
                                        ;     Parent Loop BB242_22 Depth=2
                                        ; =>    This Loop Header: Depth=3
                                        ;         Child Loop BB242_36 Depth 4
                                        ;         Child Loop BB242_41 Depth 4
	s_lshl_b64 s[4:5], s[54:55], 2
	s_add_u32 s4, s14, s4
	s_addc_u32 s5, s15, s5
	s_load_dword s4, s[4:5], 0x0
	s_mov_b64 s[58:59], -1
                                        ; implicit-def: $sgpr40
                                        ; implicit-def: $sgpr56_sgpr57
	s_waitcnt lgkmcnt(0)
	s_sub_i32 s68, s4, s25
	s_cmp_lt_i32 s68, s53
	s_cselect_b64 s[4:5], -1, 0
	s_cmp_ge_i32 s68, s66
	s_cselect_b64 s[60:61], -1, 0
	s_or_b64 s[4:5], s[4:5], s[60:61]
	s_and_b64 vcc, exec, s[4:5]
                                        ; implicit-def: $sgpr4_sgpr5
	s_cbranch_vccz .LBB242_31
; %bb.28:                               ;   in Loop: Header=BB242_27 Depth=3
	s_mov_b64 s[56:57], -1
	s_andn2_b64 vcc, exec, s[60:61]
	s_mov_b32 s40, s67
	s_mov_b64 s[4:5], s[42:43]
	s_cbranch_vccnz .LBB242_30
; %bb.29:                               ;   in Loop: Header=BB242_27 Depth=3
	s_min_i32 s40, s68, s67
	s_mov_b64 s[56:57], 0
	s_mov_b64 s[4:5], s[54:55]
.LBB242_30:                             ;   in Loop: Header=BB242_27 Depth=3
	s_mov_b64 s[58:59], 0
.LBB242_31:                             ;   in Loop: Header=BB242_27 Depth=3
	s_andn2_b64 vcc, exec, s[58:59]
	s_cbranch_vccnz .LBB242_44
; %bb.32:                               ;   in Loop: Header=BB242_27 Depth=3
	s_sub_i32 s40, s68, s53
	v_mov_b32_e32 v40, s40
	ds_write_b8 v40, v65 offset:32768
	s_and_saveexec_b64 s[56:57], s[22:23]
	s_cbranch_execz .LBB242_43
; %bb.33:                               ;   in Loop: Header=BB242_27 Depth=3
	s_andn2_b64 vcc, exec, s[20:21]
	v_cmp_ne_u32_e64 s[4:5], 1, v62
	s_cbranch_vccnz .LBB242_38
; %bb.34:                               ;   in Loop: Header=BB242_27 Depth=3
	v_pk_mov_b32 v[40:41], 0, 0
	s_mov_b64 s[58:59], 0
	s_and_b64 vcc, exec, s[4:5]
	v_pk_mov_b32 v[42:43], v[40:41], v[40:41] op_sel:[0,1]
	s_cbranch_vccnz .LBB242_37
; %bb.35:                               ;   in Loop: Header=BB242_27 Depth=3
	v_pk_mov_b32 v[40:41], 0, 0
	v_pk_mov_b32 v[44:45], v[34:35], v[34:35] op_sel:[0,1]
	v_pk_mov_b32 v[46:47], v[32:33], v[32:33] op_sel:[0,1]
	s_mov_b32 s60, s30
	v_pk_mov_b32 v[42:43], v[40:41], v[40:41] op_sel:[0,1]
.LBB242_36:                             ;   Parent Loop BB242_16 Depth=1
                                        ;     Parent Loop BB242_22 Depth=2
                                        ;       Parent Loop BB242_27 Depth=3
                                        ; =>      This Inner Loop Header: Depth=4
	global_load_dwordx4 v[66:69], v[46:47], off offset:-8
	global_load_dwordx4 v[70:73], v[44:45], off offset:-8
	v_add_co_u32_e32 v46, vcc, s52, v46
	v_addc_co_u32_e32 v47, vcc, v47, v63, vcc
	s_add_i32 s60, s60, -1
	v_add_co_u32_e32 v44, vcc, 16, v44
	v_addc_co_u32_e32 v45, vcc, 0, v45, vcc
	s_cmp_lg_u32 s60, 0
	s_waitcnt vmcnt(0)
	v_fmac_f64_e32 v[40:41], v[66:67], v[70:71]
	v_fmac_f64_e32 v[42:43], v[68:69], v[70:71]
	v_fma_f64 v[40:41], -v[68:69], v[72:73], v[40:41]
	v_fmac_f64_e32 v[42:43], v[66:67], v[72:73]
	s_cbranch_scc1 .LBB242_36
.LBB242_37:                             ;   in Loop: Header=BB242_27 Depth=3
	s_andn2_b64 vcc, exec, s[58:59]
	s_cbranch_vccz .LBB242_39
	s_branch .LBB242_42
.LBB242_38:                             ;   in Loop: Header=BB242_27 Depth=3
                                        ; implicit-def: $vgpr40_vgpr41
                                        ; implicit-def: $vgpr42_vgpr43
.LBB242_39:                             ;   in Loop: Header=BB242_27 Depth=3
	v_pk_mov_b32 v[40:41], 0, 0
	s_and_b64 vcc, exec, s[4:5]
	v_pk_mov_b32 v[42:43], v[40:41], v[40:41] op_sel:[0,1]
	s_cbranch_vccnz .LBB242_42
; %bb.40:                               ;   in Loop: Header=BB242_27 Depth=3
	v_pk_mov_b32 v[40:41], 0, 0
	v_pk_mov_b32 v[44:45], v[36:37], v[36:37] op_sel:[0,1]
	v_pk_mov_b32 v[46:47], v[30:31], v[30:31] op_sel:[0,1]
	s_mov_b32 s4, s30
	v_pk_mov_b32 v[42:43], v[40:41], v[40:41] op_sel:[0,1]
.LBB242_41:                             ;   Parent Loop BB242_16 Depth=1
                                        ;     Parent Loop BB242_22 Depth=2
                                        ;       Parent Loop BB242_27 Depth=3
                                        ; =>      This Inner Loop Header: Depth=4
	global_load_dwordx4 v[66:69], v[46:47], off offset:-8
	global_load_dwordx4 v[70:73], v[44:45], off offset:-8
	v_add_co_u32_e32 v46, vcc, 16, v46
	v_addc_co_u32_e32 v47, vcc, 0, v47, vcc
	s_add_i32 s4, s4, -1
	v_add_co_u32_e32 v44, vcc, s52, v44
	v_addc_co_u32_e32 v45, vcc, v45, v63, vcc
	s_cmp_eq_u32 s4, 0
	s_waitcnt vmcnt(0)
	v_fmac_f64_e32 v[40:41], v[66:67], v[70:71]
	v_fmac_f64_e32 v[42:43], v[68:69], v[70:71]
	v_fma_f64 v[40:41], -v[68:69], v[72:73], v[40:41]
	v_fmac_f64_e32 v[42:43], v[66:67], v[72:73]
	s_cbranch_scc0 .LBB242_41
.LBB242_42:                             ;   in Loop: Header=BB242_27 Depth=3
	s_lshl_b32 s4, s40, 8
	v_or3_b32 v44, s4, v49, v48
	v_lshlrev_b32_e32 v66, 4, v44
	ds_read_b128 v[44:47], v66
	s_waitcnt vmcnt(0) lgkmcnt(0)
	v_fmac_f64_e32 v[44:45], v[4:5], v[40:41]
	v_fmac_f64_e32 v[46:47], v[8:9], v[40:41]
	v_fma_f64 v[44:45], -v[8:9], v[42:43], v[44:45]
	v_fmac_f64_e32 v[46:47], v[4:5], v[42:43]
	ds_write_b128 v66, v[44:47]
.LBB242_43:                             ;   in Loop: Header=BB242_27 Depth=3
	s_or_b64 exec, exec, s[56:57]
	s_mov_b64 s[56:57], -1
	s_mov_b32 s40, s67
	s_mov_b64 s[4:5], s[42:43]
	s_waitcnt lgkmcnt(0)
	s_barrier
.LBB242_44:                             ;   in Loop: Header=BB242_27 Depth=3
	s_add_u32 s54, s54, 1
	s_addc_u32 s55, s55, 0
	v_cmp_lt_i64_e32 vcc, s[54:55], v[38:39]
	s_and_b64 s[42:43], s[56:57], vcc
	v_add_co_u32_e32 v34, vcc, s10, v34
	v_addc_co_u32_e32 v35, vcc, v35, v64, vcc
	v_add_co_u32_e32 v36, vcc, s10, v36
	v_addc_co_u32_e32 v37, vcc, v37, v64, vcc
	s_and_b64 vcc, exec, s[42:43]
	s_cbranch_vccz .LBB242_47
; %bb.45:                               ;   in Loop: Header=BB242_27 Depth=3
	s_mov_b32 s67, s40
	s_mov_b64 s[42:43], s[4:5]
	s_branch .LBB242_27
.LBB242_46:                             ;   in Loop: Header=BB242_22 Depth=2
	s_mov_b32 s40, s67
	s_mov_b64 s[4:5], s[42:43]
.LBB242_47:                             ;   in Loop: Header=BB242_22 Depth=2
	s_lshl_b64 s[42:43], s[18:19], 3
	s_add_u32 s42, s46, s42
	v_add_co_u32_e32 v32, vcc, s10, v32
	s_addc_u32 s43, s47, s43
	v_addc_co_u32_e32 v33, vcc, v33, v64, vcc
	s_add_u32 s18, s18, 1
	v_add_co_u32_e32 v30, vcc, s10, v30
	s_addc_u32 s19, s19, 0
	v_addc_co_u32_e32 v31, vcc, v31, v64, vcc
	v_cmp_lt_i64_e32 vcc, s[18:19], v[12:13]
	v_pk_mov_b32 v[34:35], s[4:5], s[4:5] op_sel:[0,1]
	global_store_dwordx2 v15, v[34:35], s[42:43]
	s_cbranch_vccz .LBB242_50
; %bb.48:                               ;   in Loop: Header=BB242_22 Depth=2
	s_mov_b32 s67, s40
	s_branch .LBB242_22
.LBB242_49:                             ;   in Loop: Header=BB242_22 Depth=2
                                        ; implicit-def: $sgpr42_sgpr43
	s_branch .LBB242_24
.LBB242_50:                             ;   in Loop: Header=BB242_16 Depth=1
	s_andn2_b64 vcc, exec, s[34:35]
	s_cbranch_vccnz .LBB242_60
; %bb.51:                               ;   in Loop: Header=BB242_16 Depth=1
	s_load_dwordx4 s[4:7], s[16:17], 0x0
	s_waitcnt lgkmcnt(0)
	v_pk_mov_b32 v[30:31], s[6:7], s[6:7] op_sel:[0,1]
	v_cmp_ge_i64_e32 vcc, s[4:5], v[30:31]
	s_cbranch_vccnz .LBB242_60
; %bb.52:                               ;   in Loop: Header=BB242_16 Depth=1
	s_sub_u32 s18, s6, s50
	s_subb_u32 s19, s7, 0
	s_sub_u32 s42, s4, s50
	s_subb_u32 s43, s5, 0
	s_lshl_b64 s[6:7], s[4:5], 2
	s_add_u32 s6, s31, s6
	s_mul_i32 s54, s11, s42
	s_mul_i32 s43, s10, s43
	s_addc_u32 s7, s49, s7
	s_add_i32 s54, s43, s54
	v_mov_b32_e32 v30, s42
	v_mad_u64_u32 v[30:31], s[42:43], s10, v30, v[26:27]
	s_add_u32 s4, s51, s4
	v_add_u32_e32 v31, s54, v31
	s_addc_u32 s5, s65, s5
	v_pk_mov_b32 v[32:33], s[18:19], s[18:19] op_sel:[0,1]
	s_branch .LBB242_55
.LBB242_53:                             ;   in Loop: Header=BB242_55 Depth=2
	s_or_b64 exec, exec, s[18:19]
	s_mov_b64 s[18:19], -1
	s_mov_b32 s54, s40
	s_waitcnt lgkmcnt(0)
	s_barrier
.LBB242_54:                             ;   in Loop: Header=BB242_55 Depth=2
	v_cmp_lt_i64_e32 vcc, s[4:5], v[32:33]
	s_and_b64 s[18:19], s[18:19], vcc
	s_add_u32 s6, s6, 4
	s_addc_u32 s7, s7, 0
	v_add_co_u32_e32 v30, vcc, s10, v30
	v_addc_co_u32_e32 v31, vcc, v31, v64, vcc
	s_add_u32 s4, s4, 1
	s_addc_u32 s5, s5, 0
	s_mov_b32 s40, s54
	s_and_b64 vcc, exec, s[18:19]
	s_cbranch_vccz .LBB242_60
.LBB242_55:                             ;   Parent Loop BB242_16 Depth=1
                                        ; =>  This Inner Loop Header: Depth=2
	s_load_dword s18, s[6:7], 0x0
                                        ; implicit-def: $sgpr54
	s_waitcnt lgkmcnt(0)
	s_sub_i32 s55, s18, s27
	s_cmp_lt_i32 s55, s53
	s_cselect_b64 s[42:43], -1, 0
	s_cmp_lt_i32 s55, s66
	s_cselect_b64 s[18:19], -1, 0
	s_cmp_ge_i32 s55, s66
	s_cselect_b64 s[56:57], -1, 0
	s_or_b64 s[56:57], s[42:43], s[56:57]
	s_mov_b64 s[42:43], -1
	s_and_b64 vcc, exec, s[56:57]
	s_cbranch_vccz .LBB242_57
; %bb.56:                               ;   in Loop: Header=BB242_55 Depth=2
	s_min_i32 s54, s55, s40
	s_and_b64 s[42:43], s[18:19], exec
	s_cselect_b32 s54, s40, s54
	s_mov_b64 s[42:43], 0
.LBB242_57:                             ;   in Loop: Header=BB242_55 Depth=2
	s_andn2_b64 vcc, exec, s[42:43]
	s_cbranch_vccnz .LBB242_54
; %bb.58:                               ;   in Loop: Header=BB242_55 Depth=2
	s_sub_i32 s42, s55, s53
	v_mov_b32_e32 v34, s42
	ds_write_b8 v34, v65 offset:32768
	s_and_saveexec_b64 s[18:19], s[22:23]
	s_cbranch_execz .LBB242_53
; %bb.59:                               ;   in Loop: Header=BB242_55 Depth=2
	global_load_dwordx4 v[34:37], v[30:31], off offset:-8
	s_lshl_b32 s42, s42, 8
	v_or3_b32 v38, s42, v49, v48
	v_lshlrev_b32_e32 v42, 4, v38
	ds_read_b128 v[38:41], v42
	s_waitcnt vmcnt(0) lgkmcnt(0)
	v_fmac_f64_e32 v[38:39], v[10:11], v[34:35]
	v_fmac_f64_e32 v[40:41], v[6:7], v[34:35]
	v_fma_f64 v[38:39], -v[6:7], v[36:37], v[38:39]
	v_fmac_f64_e32 v[40:41], v[10:11], v[36:37]
	ds_write_b128 v42, v[38:41]
	s_branch .LBB242_53
.LBB242_60:                             ;   in Loop: Header=BB242_16 Depth=1
	s_barrier
	ds_read_u8 v30, v15 offset:32768
	s_add_i32 s6, s53, s26
	s_mov_b32 s7, 0
	s_waitcnt lgkmcnt(0)
	v_cmp_eq_u32_e32 vcc, 0, v30
	s_cbranch_vccnz .LBB242_64
; %bb.61:                               ;   in Loop: Header=BB242_16 Depth=1
	v_lshlrev_b64 v[30:31], 2, v[28:29]
	v_mov_b32_e32 v32, s37
	v_add_co_u32_e32 v30, vcc, s36, v30
	v_addc_co_u32_e32 v31, vcc, v32, v31, vcc
	v_mov_b32_e32 v32, s6
	global_store_dword v[30:31], v32, off
	s_and_saveexec_b64 s[4:5], s[22:23]
	s_cbranch_execz .LBB242_63
; %bb.62:                               ;   in Loop: Header=BB242_16 Depth=1
	v_mad_u64_u32 v[30:31], s[18:19], v28, s48, 0
	v_mov_b32_e32 v32, v31
	v_mad_u64_u32 v[32:33], s[18:19], v29, s48, v[32:33]
	v_mov_b32_e32 v31, v32
	v_lshlrev_b64 v[34:35], 4, v[30:31]
	ds_read2_b64 v[30:33], v54 offset1:1
	v_add_co_u32_e32 v34, vcc, v14, v34
	v_addc_co_u32_e32 v35, vcc, v17, v35, vcc
	s_waitcnt lgkmcnt(0)
	global_store_dwordx4 v[34:35], v[30:33], off
.LBB242_63:                             ;   in Loop: Header=BB242_16 Depth=1
	s_or_b64 exec, exec, s[4:5]
	s_mov_b32 s7, 1
.LBB242_64:                             ;   in Loop: Header=BB242_16 Depth=1
	ds_read_u8 v30, v15 offset:32769
	v_add_co_u32_e64 v32, s[4:5], -1, v28
	v_addc_co_u32_e64 v33, s[4:5], -1, v29, s[4:5]
	s_waitcnt lgkmcnt(0)
	v_cmp_eq_u32_e32 vcc, 0, v30
	s_cbranch_vccz .LBB242_70
; %bb.65:                               ;   in Loop: Header=BB242_16 Depth=1
	ds_read_u8 v30, v15 offset:32770
	s_waitcnt lgkmcnt(0)
	v_cmp_eq_u32_e32 vcc, 0, v30
	s_cbranch_vccz .LBB242_73
.LBB242_66:                             ;   in Loop: Header=BB242_16 Depth=1
	ds_read_u8 v30, v15 offset:32771
	s_waitcnt lgkmcnt(0)
	v_cmp_eq_u32_e32 vcc, 0, v30
	s_cbranch_vccz .LBB242_76
.LBB242_67:                             ;   in Loop: Header=BB242_16 Depth=1
	ds_read_u8 v30, v15 offset:32772
	s_waitcnt lgkmcnt(0)
	v_cmp_eq_u32_e32 vcc, 0, v30
	s_cbranch_vccz .LBB242_79
.LBB242_68:                             ;   in Loop: Header=BB242_16 Depth=1
	ds_read_u8 v30, v15 offset:32773
	s_waitcnt lgkmcnt(0)
	v_cmp_eq_u32_e32 vcc, 0, v30
	s_cbranch_vccz .LBB242_82
.LBB242_69:                             ;   in Loop: Header=BB242_16 Depth=1
	ds_read_u8 v30, v15 offset:32774
	s_waitcnt lgkmcnt(0)
	v_cmp_eq_u32_e32 vcc, 0, v30
	s_cbranch_vccz .LBB242_85
	s_branch .LBB242_88
.LBB242_70:                             ;   in Loop: Header=BB242_16 Depth=1
	s_add_i32 s7, s7, 1
	v_add_co_u32_e32 v30, vcc, s7, v28
	v_addc_co_u32_e32 v31, vcc, 0, v29, vcc
	v_lshlrev_b64 v[30:31], 2, v[30:31]
	s_add_i32 s4, s6, 1
	v_mov_b32_e32 v34, s64
	v_add_co_u32_e32 v30, vcc, s63, v30
	v_addc_co_u32_e32 v31, vcc, v34, v31, vcc
	v_mov_b32_e32 v34, s4
	global_store_dword v[30:31], v34, off
	s_and_saveexec_b64 s[4:5], s[22:23]
	s_cbranch_execz .LBB242_72
; %bb.71:                               ;   in Loop: Header=BB242_16 Depth=1
	v_mov_b32_e32 v30, s41
	v_add_co_u32_e32 v31, vcc, s7, v32
	v_addc_co_u32_e32 v35, vcc, v33, v30, vcc
	v_mad_u64_u32 v[30:31], s[18:19], v31, s48, 0
	v_mov_b32_e32 v34, v31
	v_mad_u64_u32 v[34:35], s[18:19], v35, s48, v[34:35]
	v_mov_b32_e32 v31, v34
	ds_read2_b64 v[34:37], v55 offset1:1
	v_lshlrev_b64 v[30:31], 4, v[30:31]
	v_add_co_u32_e32 v30, vcc, v14, v30
	v_addc_co_u32_e32 v31, vcc, v17, v31, vcc
	s_waitcnt lgkmcnt(0)
	global_store_dwordx4 v[30:31], v[34:37], off
.LBB242_72:                             ;   in Loop: Header=BB242_16 Depth=1
	s_or_b64 exec, exec, s[4:5]
	ds_read_u8 v30, v15 offset:32770
	s_waitcnt lgkmcnt(0)
	v_cmp_eq_u32_e32 vcc, 0, v30
	s_cbranch_vccnz .LBB242_66
.LBB242_73:                             ;   in Loop: Header=BB242_16 Depth=1
	s_add_i32 s7, s7, 1
	v_add_co_u32_e32 v30, vcc, s7, v28
	v_addc_co_u32_e32 v31, vcc, 0, v29, vcc
	v_lshlrev_b64 v[30:31], 2, v[30:31]
	s_add_i32 s4, s6, 2
	v_mov_b32_e32 v34, s64
	v_add_co_u32_e32 v30, vcc, s63, v30
	v_addc_co_u32_e32 v31, vcc, v34, v31, vcc
	v_mov_b32_e32 v34, s4
	global_store_dword v[30:31], v34, off
	s_and_saveexec_b64 s[4:5], s[22:23]
	s_cbranch_execz .LBB242_75
; %bb.74:                               ;   in Loop: Header=BB242_16 Depth=1
	v_mov_b32_e32 v30, s41
	v_add_co_u32_e32 v31, vcc, s7, v32
	v_addc_co_u32_e32 v35, vcc, v33, v30, vcc
	v_mad_u64_u32 v[30:31], s[18:19], v31, s48, 0
	v_mov_b32_e32 v34, v31
	v_mad_u64_u32 v[34:35], s[18:19], v35, s48, v[34:35]
	v_mov_b32_e32 v31, v34
	ds_read2_b64 v[34:37], v56 offset1:1
	v_lshlrev_b64 v[30:31], 4, v[30:31]
	v_add_co_u32_e32 v30, vcc, v14, v30
	v_addc_co_u32_e32 v31, vcc, v17, v31, vcc
	s_waitcnt lgkmcnt(0)
	global_store_dwordx4 v[30:31], v[34:37], off
.LBB242_75:                             ;   in Loop: Header=BB242_16 Depth=1
	s_or_b64 exec, exec, s[4:5]
	ds_read_u8 v30, v15 offset:32771
	s_waitcnt lgkmcnt(0)
	v_cmp_eq_u32_e32 vcc, 0, v30
	s_cbranch_vccnz .LBB242_67
.LBB242_76:                             ;   in Loop: Header=BB242_16 Depth=1
	s_add_i32 s7, s7, 1
	v_add_co_u32_e32 v30, vcc, s7, v28
	v_addc_co_u32_e32 v31, vcc, 0, v29, vcc
	v_lshlrev_b64 v[30:31], 2, v[30:31]
	s_add_i32 s4, s6, 3
	v_mov_b32_e32 v34, s64
	v_add_co_u32_e32 v30, vcc, s63, v30
	v_addc_co_u32_e32 v31, vcc, v34, v31, vcc
	v_mov_b32_e32 v34, s4
	global_store_dword v[30:31], v34, off
	s_and_saveexec_b64 s[4:5], s[22:23]
	s_cbranch_execz .LBB242_78
; %bb.77:                               ;   in Loop: Header=BB242_16 Depth=1
	v_mov_b32_e32 v30, s41
	v_add_co_u32_e32 v31, vcc, s7, v32
	v_addc_co_u32_e32 v35, vcc, v33, v30, vcc
	v_mad_u64_u32 v[30:31], s[18:19], v31, s48, 0
	v_mov_b32_e32 v34, v31
	v_mad_u64_u32 v[34:35], s[18:19], v35, s48, v[34:35]
	v_mov_b32_e32 v31, v34
	ds_read2_b64 v[34:37], v57 offset1:1
	v_lshlrev_b64 v[30:31], 4, v[30:31]
	v_add_co_u32_e32 v30, vcc, v14, v30
	v_addc_co_u32_e32 v31, vcc, v17, v31, vcc
	s_waitcnt lgkmcnt(0)
	global_store_dwordx4 v[30:31], v[34:37], off
.LBB242_78:                             ;   in Loop: Header=BB242_16 Depth=1
	s_or_b64 exec, exec, s[4:5]
	ds_read_u8 v30, v15 offset:32772
	s_waitcnt lgkmcnt(0)
	v_cmp_eq_u32_e32 vcc, 0, v30
	s_cbranch_vccnz .LBB242_68
.LBB242_79:                             ;   in Loop: Header=BB242_16 Depth=1
	s_add_i32 s7, s7, 1
	v_add_co_u32_e32 v30, vcc, s7, v28
	v_addc_co_u32_e32 v31, vcc, 0, v29, vcc
	v_lshlrev_b64 v[30:31], 2, v[30:31]
	s_add_i32 s4, s6, 4
	v_mov_b32_e32 v34, s64
	v_add_co_u32_e32 v30, vcc, s63, v30
	v_addc_co_u32_e32 v31, vcc, v34, v31, vcc
	v_mov_b32_e32 v34, s4
	global_store_dword v[30:31], v34, off
	s_and_saveexec_b64 s[4:5], s[22:23]
	s_cbranch_execz .LBB242_81
; %bb.80:                               ;   in Loop: Header=BB242_16 Depth=1
	v_mov_b32_e32 v30, s41
	v_add_co_u32_e32 v31, vcc, s7, v32
	v_addc_co_u32_e32 v35, vcc, v33, v30, vcc
	v_mad_u64_u32 v[30:31], s[18:19], v31, s48, 0
	v_mov_b32_e32 v34, v31
	v_mad_u64_u32 v[34:35], s[18:19], v35, s48, v[34:35]
	v_mov_b32_e32 v31, v34
	ds_read2_b64 v[34:37], v58 offset1:1
	v_lshlrev_b64 v[30:31], 4, v[30:31]
	v_add_co_u32_e32 v30, vcc, v14, v30
	v_addc_co_u32_e32 v31, vcc, v17, v31, vcc
	s_waitcnt lgkmcnt(0)
	global_store_dwordx4 v[30:31], v[34:37], off
.LBB242_81:                             ;   in Loop: Header=BB242_16 Depth=1
	s_or_b64 exec, exec, s[4:5]
	ds_read_u8 v30, v15 offset:32773
	s_waitcnt lgkmcnt(0)
	v_cmp_eq_u32_e32 vcc, 0, v30
	s_cbranch_vccnz .LBB242_69
.LBB242_82:                             ;   in Loop: Header=BB242_16 Depth=1
	s_add_i32 s7, s7, 1
	v_add_co_u32_e32 v30, vcc, s7, v28
	v_addc_co_u32_e32 v31, vcc, 0, v29, vcc
	v_lshlrev_b64 v[30:31], 2, v[30:31]
	s_add_i32 s4, s6, 5
	v_mov_b32_e32 v34, s64
	v_add_co_u32_e32 v30, vcc, s63, v30
	v_addc_co_u32_e32 v31, vcc, v34, v31, vcc
	v_mov_b32_e32 v34, s4
	global_store_dword v[30:31], v34, off
	s_and_saveexec_b64 s[4:5], s[22:23]
	s_cbranch_execz .LBB242_84
; %bb.83:                               ;   in Loop: Header=BB242_16 Depth=1
	v_mov_b32_e32 v30, s41
	v_add_co_u32_e32 v31, vcc, s7, v32
	v_addc_co_u32_e32 v35, vcc, v33, v30, vcc
	v_mad_u64_u32 v[30:31], s[18:19], v31, s48, 0
	v_mov_b32_e32 v34, v31
	v_mad_u64_u32 v[34:35], s[18:19], v35, s48, v[34:35]
	v_mov_b32_e32 v31, v34
	ds_read2_b64 v[34:37], v59 offset1:1
	v_lshlrev_b64 v[30:31], 4, v[30:31]
	v_add_co_u32_e32 v30, vcc, v14, v30
	v_addc_co_u32_e32 v31, vcc, v17, v31, vcc
	s_waitcnt lgkmcnt(0)
	global_store_dwordx4 v[30:31], v[34:37], off
.LBB242_84:                             ;   in Loop: Header=BB242_16 Depth=1
	s_or_b64 exec, exec, s[4:5]
	ds_read_u8 v30, v15 offset:32774
	s_waitcnt lgkmcnt(0)
	v_cmp_eq_u32_e32 vcc, 0, v30
	s_cbranch_vccnz .LBB242_88
.LBB242_85:                             ;   in Loop: Header=BB242_16 Depth=1
	s_add_i32 s7, s7, 1
	v_add_co_u32_e32 v30, vcc, s7, v28
	v_addc_co_u32_e32 v31, vcc, 0, v29, vcc
	v_lshlrev_b64 v[30:31], 2, v[30:31]
	s_add_i32 s4, s6, 6
	v_mov_b32_e32 v34, s64
	v_add_co_u32_e32 v30, vcc, s63, v30
	v_addc_co_u32_e32 v31, vcc, v34, v31, vcc
	v_mov_b32_e32 v34, s4
	global_store_dword v[30:31], v34, off
	s_and_saveexec_b64 s[4:5], s[22:23]
	s_cbranch_execz .LBB242_87
; %bb.86:                               ;   in Loop: Header=BB242_16 Depth=1
	v_mov_b32_e32 v30, s41
	v_add_co_u32_e32 v31, vcc, s7, v32
	v_addc_co_u32_e32 v35, vcc, v33, v30, vcc
	v_mad_u64_u32 v[30:31], s[18:19], v31, s48, 0
	v_mov_b32_e32 v34, v31
	v_mad_u64_u32 v[34:35], s[18:19], v35, s48, v[34:35]
	v_mov_b32_e32 v31, v34
	ds_read2_b64 v[34:37], v60 offset1:1
	v_lshlrev_b64 v[30:31], 4, v[30:31]
	v_add_co_u32_e32 v30, vcc, v14, v30
	v_addc_co_u32_e32 v31, vcc, v17, v31, vcc
	s_waitcnt lgkmcnt(0)
	global_store_dwordx4 v[30:31], v[34:37], off
.LBB242_87:                             ;   in Loop: Header=BB242_16 Depth=1
	s_or_b64 exec, exec, s[4:5]
.LBB242_88:                             ;   in Loop: Header=BB242_16 Depth=1
	ds_read_u8 v30, v15 offset:32775
	s_waitcnt lgkmcnt(0)
	v_readfirstlane_b32 s4, v30
	s_bitcmp1_b32 s4, 0
	s_cselect_b64 s[4:5], -1, 0
	s_and_b64 vcc, exec, s[4:5]
	s_cbranch_vccnz .LBB242_90
; %bb.89:                               ;   in Loop: Header=BB242_16 Depth=1
	v_add_co_u32_e32 v30, vcc, s7, v28
	v_addc_co_u32_e32 v31, vcc, 0, v29, vcc
	s_cbranch_execnz .LBB242_15
	s_branch .LBB242_91
.LBB242_90:                             ;   in Loop: Header=BB242_16 Depth=1
                                        ; implicit-def: $vgpr30_vgpr31
.LBB242_91:                             ;   in Loop: Header=BB242_16 Depth=1
	s_add_i32 s7, s7, 1
	v_add_co_u32_e32 v30, vcc, s7, v28
	v_addc_co_u32_e32 v31, vcc, 0, v29, vcc
	v_lshlrev_b64 v[28:29], 2, v[30:31]
	s_add_i32 s4, s6, 7
	v_mov_b32_e32 v34, s64
	v_add_co_u32_e32 v28, vcc, s63, v28
	v_addc_co_u32_e32 v29, vcc, v34, v29, vcc
	v_mov_b32_e32 v34, s4
	global_store_dword v[28:29], v34, off
	s_and_saveexec_b64 s[4:5], s[22:23]
	s_cbranch_execz .LBB242_14
; %bb.92:                               ;   in Loop: Header=BB242_16 Depth=1
	v_mov_b32_e32 v28, s41
	v_add_co_u32_e32 v29, vcc, s7, v32
	v_addc_co_u32_e32 v33, vcc, v33, v28, vcc
	v_mad_u64_u32 v[28:29], s[6:7], v29, s48, 0
	v_mov_b32_e32 v32, v29
	v_mad_u64_u32 v[32:33], s[6:7], v33, s48, v[32:33]
	v_mov_b32_e32 v29, v32
	s_andn2_b64 vcc, exec, s[20:21]
	v_lshlrev_b64 v[28:29], 4, v[28:29]
	s_cbranch_vccnz .LBB242_94
; %bb.93:                               ;   in Loop: Header=BB242_16 Depth=1
	ds_read2_b64 v[32:35], v61 offset1:1
	v_add_co_u32_e32 v36, vcc, v50, v28
	v_addc_co_u32_e32 v37, vcc, v51, v29, vcc
	s_waitcnt lgkmcnt(0)
	global_store_dwordx4 v[36:37], v[32:35], off
	s_cbranch_execnz .LBB242_14
	s_branch .LBB242_95
.LBB242_94:                             ;   in Loop: Header=BB242_16 Depth=1
.LBB242_95:                             ;   in Loop: Header=BB242_16 Depth=1
	ds_read2_b64 v[32:35], v61 offset1:1
	v_add_co_u32_e32 v28, vcc, v52, v28
	v_addc_co_u32_e32 v29, vcc, v53, v29, vcc
	s_waitcnt lgkmcnt(0)
	global_store_dwordx4 v[28:29], v[32:35], off
	s_branch .LBB242_14
.LBB242_96:
	s_endpgm
	.section	.rodata,"a",@progbits
	.p2align	6, 0x0
	.amdhsa_kernel _ZN9rocsparseL31bsrgemm_block_per_row_multipassILj256ELj8ELj16Eli21rocsparse_complex_numIdEEEv20rocsparse_direction_T3_S4_PKS4_S6_NS_24const_host_device_scalarIT4_EEPKT2_S6_PKS8_SC_S6_SE_S9_SC_S6_SE_SC_PS4_PS8_PSA_21rocsparse_index_base_SI_SI_SI_bbb
		.amdhsa_group_segment_fixed_size 36872
		.amdhsa_private_segment_fixed_size 0
		.amdhsa_kernarg_size 188
		.amdhsa_user_sgpr_count 8
		.amdhsa_user_sgpr_private_segment_buffer 1
		.amdhsa_user_sgpr_dispatch_ptr 1
		.amdhsa_user_sgpr_queue_ptr 0
		.amdhsa_user_sgpr_kernarg_segment_ptr 1
		.amdhsa_user_sgpr_dispatch_id 0
		.amdhsa_user_sgpr_flat_scratch_init 0
		.amdhsa_user_sgpr_kernarg_preload_length 0
		.amdhsa_user_sgpr_kernarg_preload_offset 0
		.amdhsa_user_sgpr_private_segment_size 0
		.amdhsa_uses_dynamic_stack 0
		.amdhsa_system_sgpr_private_segment_wavefront_offset 0
		.amdhsa_system_sgpr_workgroup_id_x 1
		.amdhsa_system_sgpr_workgroup_id_y 0
		.amdhsa_system_sgpr_workgroup_id_z 0
		.amdhsa_system_sgpr_workgroup_info 0
		.amdhsa_system_vgpr_workitem_id 2
		.amdhsa_next_free_vgpr 74
		.amdhsa_next_free_sgpr 69
		.amdhsa_accum_offset 76
		.amdhsa_reserve_vcc 1
		.amdhsa_reserve_flat_scratch 0
		.amdhsa_float_round_mode_32 0
		.amdhsa_float_round_mode_16_64 0
		.amdhsa_float_denorm_mode_32 3
		.amdhsa_float_denorm_mode_16_64 3
		.amdhsa_dx10_clamp 1
		.amdhsa_ieee_mode 1
		.amdhsa_fp16_overflow 0
		.amdhsa_tg_split 0
		.amdhsa_exception_fp_ieee_invalid_op 0
		.amdhsa_exception_fp_denorm_src 0
		.amdhsa_exception_fp_ieee_div_zero 0
		.amdhsa_exception_fp_ieee_overflow 0
		.amdhsa_exception_fp_ieee_underflow 0
		.amdhsa_exception_fp_ieee_inexact 0
		.amdhsa_exception_int_div_zero 0
	.end_amdhsa_kernel
	.section	.text._ZN9rocsparseL31bsrgemm_block_per_row_multipassILj256ELj8ELj16Eli21rocsparse_complex_numIdEEEv20rocsparse_direction_T3_S4_PKS4_S6_NS_24const_host_device_scalarIT4_EEPKT2_S6_PKS8_SC_S6_SE_S9_SC_S6_SE_SC_PS4_PS8_PSA_21rocsparse_index_base_SI_SI_SI_bbb,"axG",@progbits,_ZN9rocsparseL31bsrgemm_block_per_row_multipassILj256ELj8ELj16Eli21rocsparse_complex_numIdEEEv20rocsparse_direction_T3_S4_PKS4_S6_NS_24const_host_device_scalarIT4_EEPKT2_S6_PKS8_SC_S6_SE_S9_SC_S6_SE_SC_PS4_PS8_PSA_21rocsparse_index_base_SI_SI_SI_bbb,comdat
.Lfunc_end242:
	.size	_ZN9rocsparseL31bsrgemm_block_per_row_multipassILj256ELj8ELj16Eli21rocsparse_complex_numIdEEEv20rocsparse_direction_T3_S4_PKS4_S6_NS_24const_host_device_scalarIT4_EEPKT2_S6_PKS8_SC_S6_SE_S9_SC_S6_SE_SC_PS4_PS8_PSA_21rocsparse_index_base_SI_SI_SI_bbb, .Lfunc_end242-_ZN9rocsparseL31bsrgemm_block_per_row_multipassILj256ELj8ELj16Eli21rocsparse_complex_numIdEEEv20rocsparse_direction_T3_S4_PKS4_S6_NS_24const_host_device_scalarIT4_EEPKT2_S6_PKS8_SC_S6_SE_S9_SC_S6_SE_SC_PS4_PS8_PSA_21rocsparse_index_base_SI_SI_SI_bbb
                                        ; -- End function
	.section	.AMDGPU.csdata,"",@progbits
; Kernel info:
; codeLenInByte = 4116
; NumSgprs: 73
; NumVgprs: 74
; NumAgprs: 0
; TotalNumVgprs: 74
; ScratchSize: 0
; MemoryBound: 1
; FloatMode: 240
; IeeeMode: 1
; LDSByteSize: 36872 bytes/workgroup (compile time only)
; SGPRBlocks: 9
; VGPRBlocks: 9
; NumSGPRsForWavesPerEU: 73
; NumVGPRsForWavesPerEU: 74
; AccumOffset: 76
; Occupancy: 1
; WaveLimiterHint : 1
; COMPUTE_PGM_RSRC2:SCRATCH_EN: 0
; COMPUTE_PGM_RSRC2:USER_SGPR: 8
; COMPUTE_PGM_RSRC2:TRAP_HANDLER: 0
; COMPUTE_PGM_RSRC2:TGID_X_EN: 1
; COMPUTE_PGM_RSRC2:TGID_Y_EN: 0
; COMPUTE_PGM_RSRC2:TGID_Z_EN: 0
; COMPUTE_PGM_RSRC2:TIDIG_COMP_CNT: 2
; COMPUTE_PGM_RSRC3_GFX90A:ACCUM_OFFSET: 18
; COMPUTE_PGM_RSRC3_GFX90A:TG_SPLIT: 0
	.section	.text._ZN9rocsparseL31bsrgemm_block_per_row_multipassILj256ELj2ELj32Eli21rocsparse_complex_numIdEEEv20rocsparse_direction_T3_S4_PKS4_S6_NS_24const_host_device_scalarIT4_EEPKT2_S6_PKS8_SC_S6_SE_S9_SC_S6_SE_SC_PS4_PS8_PSA_21rocsparse_index_base_SI_SI_SI_bbb,"axG",@progbits,_ZN9rocsparseL31bsrgemm_block_per_row_multipassILj256ELj2ELj32Eli21rocsparse_complex_numIdEEEv20rocsparse_direction_T3_S4_PKS4_S6_NS_24const_host_device_scalarIT4_EEPKT2_S6_PKS8_SC_S6_SE_S9_SC_S6_SE_SC_PS4_PS8_PSA_21rocsparse_index_base_SI_SI_SI_bbb,comdat
	.globl	_ZN9rocsparseL31bsrgemm_block_per_row_multipassILj256ELj2ELj32Eli21rocsparse_complex_numIdEEEv20rocsparse_direction_T3_S4_PKS4_S6_NS_24const_host_device_scalarIT4_EEPKT2_S6_PKS8_SC_S6_SE_S9_SC_S6_SE_SC_PS4_PS8_PSA_21rocsparse_index_base_SI_SI_SI_bbb ; -- Begin function _ZN9rocsparseL31bsrgemm_block_per_row_multipassILj256ELj2ELj32Eli21rocsparse_complex_numIdEEEv20rocsparse_direction_T3_S4_PKS4_S6_NS_24const_host_device_scalarIT4_EEPKT2_S6_PKS8_SC_S6_SE_S9_SC_S6_SE_SC_PS4_PS8_PSA_21rocsparse_index_base_SI_SI_SI_bbb
	.p2align	8
	.type	_ZN9rocsparseL31bsrgemm_block_per_row_multipassILj256ELj2ELj32Eli21rocsparse_complex_numIdEEEv20rocsparse_direction_T3_S4_PKS4_S6_NS_24const_host_device_scalarIT4_EEPKT2_S6_PKS8_SC_S6_SE_S9_SC_S6_SE_SC_PS4_PS8_PSA_21rocsparse_index_base_SI_SI_SI_bbb,@function
_ZN9rocsparseL31bsrgemm_block_per_row_multipassILj256ELj2ELj32Eli21rocsparse_complex_numIdEEEv20rocsparse_direction_T3_S4_PKS4_S6_NS_24const_host_device_scalarIT4_EEPKT2_S6_PKS8_SC_S6_SE_S9_SC_S6_SE_SC_PS4_PS8_PSA_21rocsparse_index_base_SI_SI_SI_bbb: ; @_ZN9rocsparseL31bsrgemm_block_per_row_multipassILj256ELj2ELj32Eli21rocsparse_complex_numIdEEEv20rocsparse_direction_T3_S4_PKS4_S6_NS_24const_host_device_scalarIT4_EEPKT2_S6_PKS8_SC_S6_SE_S9_SC_S6_SE_SC_PS4_PS8_PSA_21rocsparse_index_base_SI_SI_SI_bbb
; %bb.0:
	s_load_dword s9, s[6:7], 0xb8
	s_load_dwordx4 s[28:31], s[6:7], 0xa8
	s_load_dwordx4 s[16:19], s[6:7], 0x20
	;; [unrolled: 1-line block ×3, first 2 shown]
	v_and_b32_e32 v13, 0x3ff, v0
	s_load_dwordx2 s[4:5], s[4:5], 0x4
	s_waitcnt lgkmcnt(0)
	s_bitcmp1_b32 s9, 0
	s_cselect_b64 s[10:11], -1, 0
	s_bitcmp1_b32 s9, 16
	s_cselect_b64 s[0:1], -1, 0
	s_lshr_b32 s4, s4, 16
	s_mul_i32 s4, s4, s5
	v_mul_lo_u32 v1, s4, v13
	v_bfe_u32 v2, v0, 10, 10
	v_mad_u32_u24 v1, v2, s5, v1
	v_bfe_u32 v0, v0, 20, 10
	v_add_lshl_u32 v0, v1, v0, 3
	s_xor_b64 s[2:3], s[0:1], -1
	v_pk_mov_b32 v[2:3], s[16:17], s[16:17] op_sel:[0,1]
	v_pk_mov_b32 v[4:5], s[12:13], s[12:13] op_sel:[0,1]
	v_add_u32_e32 v1, 8, v0
	v_pk_mov_b32 v[6:7], 0, 0
	ds_write2st64_b64 v1, v[4:5], v[2:3] offset0:64 offset1:68
	s_bitcmp0_b32 s9, 0
	v_pk_mov_b32 v[4:5], v[6:7], v[6:7] op_sel:[0,1]
	v_pk_mov_b32 v[8:9], v[6:7], v[6:7] op_sel:[0,1]
	s_cbranch_scc1 .LBB243_3
; %bb.1:
	s_mov_b64 s[4:5], src_shared_base
	s_and_b64 s[20:21], s[0:1], exec
	v_add_u32_e32 v1, 0x8808, v0
	s_cselect_b32 s4, s5, s17
	v_mov_b32_e32 v2, s16
	v_cndmask_b32_e64 v2, v2, v1, s[0:1]
	v_mov_b32_e32 v3, s4
	flat_load_dwordx2 v[4:5], v[2:3]
	s_andn2_b64 vcc, exec, s[2:3]
	v_pk_mov_b32 v[8:9], s[18:19], s[18:19] op_sel:[0,1]
	s_cbranch_vccnz .LBB243_3
; %bb.2:
	v_pk_mov_b32 v[2:3], s[16:17], s[16:17] op_sel:[0,1]
	flat_load_dwordx2 v[8:9], v[2:3] offset:8
.LBB243_3:
	s_load_dwordx2 s[4:5], s[6:7], 0x18
	s_bitcmp1_b32 s9, 8
	s_cselect_b64 s[34:35], -1, 0
	s_bfe_u32 s9, s9, 0x10008
	s_cmp_eq_u32 s9, 0
	v_pk_mov_b32 v[10:11], v[6:7], v[6:7] op_sel:[0,1]
	s_cbranch_scc1 .LBB243_6
; %bb.4:
	s_mov_b64 s[16:17], src_shared_base
	s_and_b64 s[18:19], s[0:1], exec
	v_add_u32_e32 v0, 0x8008, v0
	s_cselect_b32 s9, s17, s13
	v_mov_b32_e32 v1, s12
	v_cndmask_b32_e64 v0, v1, v0, s[0:1]
	v_mov_b32_e32 v1, s9
	flat_load_dwordx2 v[10:11], v[0:1]
	s_andn2_b64 vcc, exec, s[2:3]
	v_pk_mov_b32 v[6:7], s[14:15], s[14:15] op_sel:[0,1]
	s_cbranch_vccnz .LBB243_6
; %bb.5:
	v_pk_mov_b32 v[0:1], s[12:13], s[12:13] op_sel:[0,1]
	flat_load_dwordx2 v[6:7], v[0:1] offset:8
.LBB243_6:
	s_load_dwordx2 s[2:3], s[6:7], 0x30
	s_waitcnt lgkmcnt(0)
	s_cmp_eq_u64 s[4:5], 0
	s_cbranch_scc1 .LBB243_8
; %bb.7:
	s_load_dwordx2 s[0:1], s[6:7], 0x10
	s_waitcnt lgkmcnt(0)
	s_load_dword s0, s[0:1], 0x0
	s_mov_b32 s1, 0
	s_waitcnt lgkmcnt(0)
	s_add_i32 s0, s0, s8
	s_lshl_b64 s[0:1], s[0:1], 2
	s_add_u32 s0, s4, s0
	s_addc_u32 s1, s5, s1
	s_load_dword s8, s[0:1], 0x0
.LBB243_8:
	v_cndmask_b32_e64 v0, 0, 1, s[10:11]
	s_mov_b64 s[44:45], 0
	v_cmp_ne_u32_e64 s[0:1], 1, v0
	s_andn2_b64 vcc, exec, s[10:11]
	s_mov_b64 s[46:47], 0
	s_cbranch_vccz .LBB243_11
; %bb.9:
	s_and_b64 vcc, exec, s[0:1]
	s_cbranch_vccz .LBB243_12
.LBB243_10:
	s_load_dwordx4 s[36:39], s[6:7], 0x0
	s_waitcnt lgkmcnt(0)
	s_cmp_lt_i32 s37, 1
	s_cbranch_scc0 .LBB243_13
	s_branch .LBB243_123
.LBB243_11:
	s_waitcnt lgkmcnt(0)
	s_ashr_i32 s9, s8, 31
	s_lshl_b64 s[4:5], s[8:9], 3
	s_add_u32 s4, s2, s4
	s_addc_u32 s5, s3, s5
	s_load_dwordx2 s[4:5], s[4:5], 0x0
	s_waitcnt lgkmcnt(0)
	s_sub_u32 s46, s4, s28
	s_subb_u32 s47, s5, 0
	s_and_b64 vcc, exec, s[0:1]
	s_cbranch_vccnz .LBB243_10
.LBB243_12:
	s_waitcnt lgkmcnt(0)
	s_ashr_i32 s9, s8, 31
	s_lshl_b64 s[0:1], s[8:9], 3
	s_add_u32 s0, s2, s0
	s_addc_u32 s1, s3, s1
	s_load_dwordx2 s[0:1], s[0:1], 0x8
	s_waitcnt lgkmcnt(0)
	s_sub_u32 s44, s0, s28
	s_subb_u32 s45, s1, 0
	s_load_dwordx4 s[36:39], s[6:7], 0x0
	s_waitcnt lgkmcnt(0)
	s_cmp_lt_i32 s37, 1
	s_cbranch_scc1 .LBB243_123
.LBB243_13:
	s_load_dwordx8 s[12:19], s[6:7], 0x70
	s_load_dwordx2 s[48:49], s[6:7], 0xa0
	s_load_dwordx4 s[40:43], s[6:7], 0x90
	s_load_dwordx2 s[66:67], s[6:7], 0x58
	s_ashr_i32 s9, s8, 31
	s_lshl_b64 s[54:55], s[8:9], 3
	s_waitcnt lgkmcnt(0)
	s_add_u32 s0, s18, s54
	s_addc_u32 s1, s19, s55
	s_load_dwordx2 s[2:3], s[0:1], 0x0
	s_load_dwordx8 s[20:27], s[6:7], 0x38
	v_lshrrev_b32_e32 v2, 3, v13
	v_and_b32_e32 v12, 7, v13
	v_pk_mov_b32 v[0:1], s[44:45], s[44:45] op_sel:[0,1]
	v_mul_lo_u32 v14, v2, s38
	v_mov_b32_e32 v15, 0
	s_waitcnt lgkmcnt(0)
	s_sub_u32 s8, s2, s30
	v_cmp_lt_i64_e64 s[4:5], s[46:47], v[0:1]
	v_lshlrev_b64 v[0:1], 4, v[14:15]
	v_lshlrev_b32_e32 v24, 4, v12
	s_subb_u32 s9, s3, 0
	v_mul_lo_u32 v14, v12, s38
	v_add_co_u32_e64 v74, s[2:3], v0, v24
	v_lshlrev_b32_e32 v44, 4, v2
	v_lshlrev_b64 v[16:17], 4, v[14:15]
	v_addc_co_u32_e64 v75, s[2:3], 0, v1, s[2:3]
	v_add_co_u32_e64 v46, s[2:3], v44, v16
	s_cmp_eq_u32 s36, 0
	v_addc_co_u32_e64 v47, s[2:3], 0, v17, s[2:3]
	s_cselect_b64 s[2:3], -1, 0
	s_cmp_lg_u32 s36, 0
	v_cmp_gt_i32_e32 vcc, s38, v2
	s_cselect_b64 s[50:51], -1, 0
	s_cmp_gt_i32 s38, 0
	v_lshlrev_b32_e32 v76, 5, v2
	v_mov_b32_e32 v2, s43
	v_add_co_u32_e64 v77, s[6:7], s42, v44
	s_cselect_b64 s[52:53], -1, 0
	s_add_u32 s12, s12, s54
	v_addc_co_u32_e64 v78, s[6:7], 0, v2, s[6:7]
	s_addc_u32 s13, s13, s55
	v_add_co_u32_e64 v79, s[6:7], s42, v0
	s_and_b64 s[42:43], s[10:11], s[4:5]
	v_cmp_gt_u32_e64 s[4:5], s38, v12
	v_or_b32_e32 v18, 8, v12
	s_and_b64 s[56:57], vcc, s[4:5]
	v_cmp_gt_u32_e64 s[4:5], s38, v18
	v_or_b32_e32 v19, 16, v12
	s_and_b64 s[58:59], vcc, s[4:5]
	v_cmp_gt_u32_e64 s[4:5], s38, v19
	v_or_b32_e32 v20, 24, v12
	v_addc_co_u32_e64 v80, s[6:7], v2, v1, s[6:7]
	s_and_b64 s[60:61], vcc, s[4:5]
	v_cmp_gt_u32_e64 s[4:5], s38, v20
	s_lshl_b32 s6, s38, 3
	s_and_b64 s[62:63], vcc, s[4:5]
	v_add_u32_e32 v2, s6, v14
	s_add_u32 s36, s24, 8
	s_mul_i32 s18, s38, s38
	v_add_u32_e32 v32, s6, v2
	s_addc_u32 s76, s25, 0
	v_add_u32_e32 v38, s6, v32
	s_add_u32 s77, s40, -4
	s_mul_i32 s6, s47, s18
	s_mul_hi_u32 s7, s46, s18
	v_or_b32_e32 v18, v76, v18
	v_mov_b32_e32 v21, 0x4000
	s_addc_u32 s78, s41, -1
	s_add_i32 s7, s7, s6
	s_mul_i32 s6, s46, s18
	v_lshl_or_b32 v85, v18, 4, v21
	v_or_b32_e32 v18, v76, v19
	s_lshl_b64 s[6:7], s[6:7], 4
	v_lshl_or_b32 v86, v18, 4, v21
	v_or_b32_e32 v18, v76, v20
	s_add_u32 s6, s22, s6
	v_lshl_or_b32 v87, v18, 4, v21
	v_or_b32_e32 v18, 0x400, v13
	s_movk_i32 s4, 0x700
	s_addc_u32 s7, s23, s7
	v_cmp_gt_u32_e64 s[4:5], s4, v18
	v_mov_b32_e32 v18, s7
	v_add_co_u32_e32 v19, vcc, s6, v44
	v_addc_co_u32_e32 v20, vcc, 0, v18, vcc
	v_add_co_u32_e32 v18, vcc, 8, v19
	v_addc_co_u32_e32 v19, vcc, 0, v20, vcc
	v_mov_b32_e32 v40, s67
	v_add_co_u32_e32 v20, vcc, s66, v16
	v_addc_co_u32_e32 v21, vcc, v17, v40, vcc
	v_add_co_u32_e32 v20, vcc, 8, v20
	v_addc_co_u32_e32 v21, vcc, 0, v21, vcc
	;; [unrolled: 5-line block ×3, first 2 shown]
	v_add_co_u32_e32 v0, vcc, s66, v24
	v_addc_co_u32_e32 v1, vcc, 0, v40, vcc
	v_mov_b32_e32 v3, v15
	v_add_co_u32_e32 v24, vcc, 8, v0
	v_addc_co_u32_e32 v25, vcc, 0, v1, vcc
	v_lshlrev_b64 v[26:27], 4, v[2:3]
	v_add_co_u32_e32 v2, vcc, s66, v26
	v_addc_co_u32_e32 v3, vcc, v27, v40, vcc
	v_add_co_u32_e32 v28, vcc, 8, v2
	s_movk_i32 s10, 0x80
	v_addc_co_u32_e32 v29, vcc, 0, v3, vcc
	v_mov_b32_e32 v33, v15
	v_add_co_u32_e32 v30, vcc, s10, v0
	v_addc_co_u32_e32 v31, vcc, 0, v1, vcc
	v_lshlrev_b64 v[32:33], 4, v[32:33]
	v_add_co_u32_e32 v2, vcc, s66, v32
	v_addc_co_u32_e32 v3, vcc, v33, v40, vcc
	v_add_co_u32_e32 v34, vcc, 8, v2
	s_movk_i32 s11, 0x100
	;; [unrolled: 9-line block ×3, first 2 shown]
	v_addc_co_u32_e32 v41, vcc, 0, v3, vcc
	v_add_co_u32_e32 v42, vcc, s68, v0
	v_addc_co_u32_e32 v43, vcc, 0, v1, vcc
	s_mov_b32 s19, 0
	v_add_co_u32_e32 v89, vcc, v44, v26
	s_mov_b32 s54, s31
	s_mov_b32 s55, s19
	;; [unrolled: 1-line block ×3, first 2 shown]
	v_addc_co_u32_e32 v90, vcc, 0, v27, vcc
	s_lshl_b64 s[22:23], s[18:19], 4
	s_lshl_b64 s[64:65], s[38:39], 4
	;; [unrolled: 1-line block ×3, first 2 shown]
	v_add_co_u32_e32 v91, vcc, v44, v32
	s_sub_u32 s39, s14, s6
	v_addc_co_u32_e32 v92, vcc, 0, v33, vcc
	v_or_b32_e32 v14, v76, v12
	s_subb_u32 s55, s15, s7
	v_add_co_u32_e32 v93, vcc, v44, v38
	v_pk_mov_b32 v[44:45], s[8:9], s[8:9] op_sel:[0,1]
	s_mov_b32 s8, s19
	s_mov_b32 s9, s19
	v_lshlrev_b32_e32 v14, 4, v14
	s_sub_u32 s79, 1, s31
	s_mov_b32 s10, s19
	s_mov_b32 s11, s19
	v_pk_mov_b32 v[0:1], s[8:9], s[8:9] op_sel:[0,1]
	s_mov_b32 s81, 2
	v_cmp_gt_u32_e64 s[0:1], 2, v13
	s_mov_b32 s33, s29
	v_or_b32_e32 v81, 0x80, v14
	v_or_b32_e32 v82, 0x100, v14
	;; [unrolled: 1-line block ×4, first 2 shown]
	v_lshlrev_b32_e32 v88, 4, v13
	v_addc_co_u32_e32 v94, vcc, 0, v39, vcc
	s_subb_u32 s80, 0, 0
	v_pk_mov_b32 v[2:3], s[10:11], s[10:11] op_sel:[0,1]
	v_cndmask_b32_e64 v95, 0, 1, s[50:51]
	v_cndmask_b32_e64 v96, 0, 1, s[52:53]
	v_mov_b32_e32 v97, s65
	v_mov_b32_e32 v98, 1
	v_cndmask_b32_e64 v99, v47, v75, s[2:3]
	v_cndmask_b32_e64 v100, v46, v74, s[2:3]
	s_branch .LBB243_16
.LBB243_14:                             ;   in Loop: Header=BB243_16 Depth=1
	s_or_b64 exec, exec, s[6:7]
.LBB243_15:                             ;   in Loop: Header=BB243_16 Depth=1
	s_min_i32 s19, s83, s37
	s_add_i32 s81, s19, 2
	s_cmp_lt_i32 s83, s37
	v_pk_mov_b32 v[44:45], v[46:47], v[46:47] op_sel:[0,1]
	s_barrier
	s_barrier
	s_cbranch_scc0 .LBB243_123
.LBB243_16:                             ; =>This Loop Header: Depth=1
                                        ;     Child Loop BB243_22 Depth 2
                                        ;       Child Loop BB243_27 Depth 3
                                        ;         Child Loop BB243_39 Depth 4
                                        ;         Child Loop BB243_44 Depth 4
	;; [unrolled: 1-line block ×8, first 2 shown]
                                        ;     Child Loop BB243_88 Depth 2
	s_and_saveexec_b64 s[6:7], s[0:1]
	s_cbranch_execz .LBB243_18
; %bb.17:                               ;   in Loop: Header=BB243_16 Depth=1
	ds_write_b8 v13, v15 offset:32768
.LBB243_18:                             ;   in Loop: Header=BB243_16 Depth=1
	s_or_b64 exec, exec, s[6:7]
	ds_write_b128 v88, v[0:3]
	ds_write_b128 v88, v[0:3] offset:4096
	ds_write_b128 v88, v[0:3] offset:8192
	;; [unrolled: 1-line block ×4, first 2 shown]
	s_and_saveexec_b64 s[6:7], s[4:5]
	s_xor_b64 s[6:7], exec, s[6:7]
	s_cbranch_execz .LBB243_20
; %bb.19:                               ;   in Loop: Header=BB243_16 Depth=1
	ds_write_b128 v88, v[0:3] offset:20480
	ds_write_b128 v88, v[0:3] offset:24576
	;; [unrolled: 1-line block ×3, first 2 shown]
.LBB243_20:                             ;   in Loop: Header=BB243_16 Depth=1
	s_or_b64 exec, exec, s[6:7]
	s_andn2_b64 vcc, exec, s[42:43]
	s_mov_b32 s83, s37
	s_waitcnt lgkmcnt(0)
	s_barrier
	s_cbranch_vccnz .LBB243_83
; %bb.21:                               ;   in Loop: Header=BB243_16 Depth=1
	s_cmp_lg_u32 s19, 0
	s_cselect_b64 s[10:11], -1, 0
	v_pk_mov_b32 v[46:47], v[22:23], v[22:23] op_sel:[0,1]
	v_pk_mov_b32 v[48:49], v[18:19], v[18:19] op_sel:[0,1]
	s_mov_b32 s82, s37
	s_mov_b64 s[14:15], s[46:47]
.LBB243_22:                             ;   Parent Loop BB243_16 Depth=1
                                        ; =>  This Loop Header: Depth=2
                                        ;       Child Loop BB243_27 Depth 3
                                        ;         Child Loop BB243_39 Depth 4
                                        ;         Child Loop BB243_44 Depth 4
	;; [unrolled: 1-line block ×8, first 2 shown]
	s_lshl_b64 s[6:7], s[14:15], 2
	s_add_u32 s6, s20, s6
	s_addc_u32 s7, s21, s7
	s_load_dword s6, s[6:7], 0x0
	s_and_b64 vcc, exec, s[10:11]
	s_waitcnt lgkmcnt(0)
	s_sub_i32 s6, s6, s28
	s_cbranch_vccz .LBB243_82
; %bb.23:                               ;   in Loop: Header=BB243_22 Depth=2
	s_lshl_b64 s[8:9], s[14:15], 3
	s_add_u32 s8, s48, s8
	s_addc_u32 s9, s49, s9
	global_load_dwordx2 v[50:51], v15, s[8:9]
	s_ashr_i32 s7, s6, 31
	s_waitcnt vmcnt(0)
	v_readfirstlane_b32 s68, v50
	v_readfirstlane_b32 s69, v51
	s_cbranch_execnz .LBB243_25
.LBB243_24:                             ;   in Loop: Header=BB243_22 Depth=2
	s_ashr_i32 s7, s6, 31
	s_lshl_b64 s[8:9], s[6:7], 3
	s_add_u32 s8, s24, s8
	s_addc_u32 s9, s25, s9
	s_load_dwordx2 s[8:9], s[8:9], 0x0
	s_waitcnt lgkmcnt(0)
	s_sub_u32 s68, s8, s33
	s_subb_u32 s69, s9, 0
.LBB243_25:                             ;   in Loop: Header=BB243_22 Depth=2
	s_lshl_b64 s[6:7], s[6:7], 3
	s_add_u32 s6, s36, s6
	s_addc_u32 s7, s76, s7
	s_load_dwordx2 s[6:7], s[6:7], 0x0
	s_waitcnt lgkmcnt(0)
	s_sub_u32 s66, s6, s33
	s_subb_u32 s67, s7, 0
	v_pk_mov_b32 v[50:51], s[66:67], s[66:67] op_sel:[0,1]
	v_cmp_ge_i64_e32 vcc, s[68:69], v[50:51]
	s_cbranch_vccnz .LBB243_79
; %bb.26:                               ;   in Loop: Header=BB243_22 Depth=2
	v_mov_b32_e32 v64, s68
	v_mad_u64_u32 v[50:51], s[6:7], s22, v64, v[20:21]
	s_mul_i32 s6, s23, s68
	s_mul_i32 s7, s22, s69
	s_add_i32 s8, s7, s6
	v_mad_u64_u32 v[52:53], s[6:7], s22, v64, v[24:25]
	v_mad_u64_u32 v[54:55], s[6:7], s22, v64, v[28:29]
	;; [unrolled: 1-line block ×7, first 2 shown]
	v_add_u32_e32 v51, s8, v51
	v_add_u32_e32 v53, s8, v53
	;; [unrolled: 1-line block ×8, first 2 shown]
	s_mov_b64 s[70:71], s[68:69]
.LBB243_27:                             ;   Parent Loop BB243_16 Depth=1
                                        ;     Parent Loop BB243_22 Depth=2
                                        ; =>    This Loop Header: Depth=3
                                        ;         Child Loop BB243_39 Depth 4
                                        ;         Child Loop BB243_44 Depth 4
	;; [unrolled: 1-line block ×8, first 2 shown]
	s_lshl_b64 s[6:7], s[70:71], 2
	s_add_u32 s6, s26, s6
	s_addc_u32 s7, s27, s7
	s_load_dword s6, s[6:7], 0x0
	s_mov_b64 s[72:73], -1
                                        ; implicit-def: $sgpr83
                                        ; implicit-def: $sgpr8_sgpr9
	s_waitcnt lgkmcnt(0)
	s_sub_i32 s84, s6, s29
	s_cmp_lt_i32 s84, s19
	s_cselect_b64 s[6:7], -1, 0
	s_cmp_ge_i32 s84, s81
	s_cselect_b64 s[74:75], -1, 0
	s_or_b64 s[6:7], s[6:7], s[74:75]
	s_and_b64 vcc, exec, s[6:7]
                                        ; implicit-def: $sgpr6_sgpr7
	s_cbranch_vccz .LBB243_31
; %bb.28:                               ;   in Loop: Header=BB243_27 Depth=3
	s_mov_b64 s[8:9], -1
	s_andn2_b64 vcc, exec, s[74:75]
	s_mov_b32 s83, s82
	s_mov_b64 s[6:7], s[68:69]
	s_cbranch_vccnz .LBB243_30
; %bb.29:                               ;   in Loop: Header=BB243_27 Depth=3
	s_min_i32 s83, s84, s82
	s_mov_b64 s[8:9], 0
	s_mov_b64 s[6:7], s[70:71]
.LBB243_30:                             ;   in Loop: Header=BB243_27 Depth=3
	s_mov_b64 s[72:73], 0
.LBB243_31:                             ;   in Loop: Header=BB243_27 Depth=3
	s_andn2_b64 vcc, exec, s[72:73]
	s_cbranch_vccnz .LBB243_77
; %bb.32:                               ;   in Loop: Header=BB243_27 Depth=3
	s_sub_i32 s6, s84, s19
	v_mov_b32_e32 v66, s6
	v_lshl_or_b32 v101, s6, 10, v76
	v_cmp_ne_u32_e64 s[6:7], 1, v95
	ds_write_b8 v66, v98 offset:32768
	s_and_saveexec_b64 s[8:9], s[56:57]
	s_cbranch_execnz .LBB243_36
; %bb.33:                               ;   in Loop: Header=BB243_27 Depth=3
	s_or_b64 exec, exec, s[8:9]
	s_and_saveexec_b64 s[8:9], s[58:59]
	s_cbranch_execnz .LBB243_46
.LBB243_34:                             ;   in Loop: Header=BB243_27 Depth=3
	s_or_b64 exec, exec, s[8:9]
	v_cmp_ne_u32_e64 s[8:9], 1, v96
	s_and_saveexec_b64 s[72:73], s[60:61]
	s_cbranch_execnz .LBB243_56
.LBB243_35:                             ;   in Loop: Header=BB243_27 Depth=3
	s_or_b64 exec, exec, s[72:73]
	s_and_saveexec_b64 s[72:73], s[62:63]
	s_cbranch_execnz .LBB243_66
	s_branch .LBB243_76
.LBB243_36:                             ;   in Loop: Header=BB243_27 Depth=3
	s_and_b64 vcc, exec, s[6:7]
	s_cbranch_vccnz .LBB243_41
; %bb.37:                               ;   in Loop: Header=BB243_27 Depth=3
	v_pk_mov_b32 v[66:67], 0, 0
	s_mov_b64 s[72:73], 0
	s_andn2_b64 vcc, exec, s[52:53]
	v_pk_mov_b32 v[68:69], v[66:67], v[66:67] op_sel:[0,1]
	s_cbranch_vccnz .LBB243_40
; %bb.38:                               ;   in Loop: Header=BB243_27 Depth=3
	v_pk_mov_b32 v[66:67], 0, 0
	v_pk_mov_b32 v[70:71], v[50:51], v[50:51] op_sel:[0,1]
	v_pk_mov_b32 v[72:73], v[48:49], v[48:49] op_sel:[0,1]
	s_mov_b32 s74, s38
	v_pk_mov_b32 v[68:69], v[66:67], v[66:67] op_sel:[0,1]
.LBB243_39:                             ;   Parent Loop BB243_16 Depth=1
                                        ;     Parent Loop BB243_22 Depth=2
                                        ;       Parent Loop BB243_27 Depth=3
                                        ; =>      This Inner Loop Header: Depth=4
	global_load_dwordx4 v[102:105], v[72:73], off offset:-8
	global_load_dwordx4 v[106:109], v[70:71], off offset:-8
	v_add_co_u32_e32 v72, vcc, s64, v72
	v_addc_co_u32_e32 v73, vcc, v73, v97, vcc
	s_add_i32 s74, s74, -1
	v_add_co_u32_e32 v70, vcc, 16, v70
	v_addc_co_u32_e32 v71, vcc, 0, v71, vcc
	s_cmp_lg_u32 s74, 0
	s_waitcnt vmcnt(0)
	v_fmac_f64_e32 v[66:67], v[102:103], v[106:107]
	v_fmac_f64_e32 v[68:69], v[104:105], v[106:107]
	v_fma_f64 v[66:67], -v[104:105], v[108:109], v[66:67]
	v_fmac_f64_e32 v[68:69], v[102:103], v[108:109]
	s_cbranch_scc1 .LBB243_39
.LBB243_40:                             ;   in Loop: Header=BB243_27 Depth=3
	s_andn2_b64 vcc, exec, s[72:73]
	s_cbranch_vccz .LBB243_42
	s_branch .LBB243_45
.LBB243_41:                             ;   in Loop: Header=BB243_27 Depth=3
                                        ; implicit-def: $vgpr66_vgpr67
                                        ; implicit-def: $vgpr68_vgpr69
.LBB243_42:                             ;   in Loop: Header=BB243_27 Depth=3
	v_pk_mov_b32 v[66:67], 0, 0
	s_andn2_b64 vcc, exec, s[52:53]
	v_pk_mov_b32 v[68:69], v[66:67], v[66:67] op_sel:[0,1]
	s_cbranch_vccnz .LBB243_45
; %bb.43:                               ;   in Loop: Header=BB243_27 Depth=3
	v_pk_mov_b32 v[66:67], 0, 0
	v_pk_mov_b32 v[70:71], v[52:53], v[52:53] op_sel:[0,1]
	v_pk_mov_b32 v[72:73], v[46:47], v[46:47] op_sel:[0,1]
	s_mov_b32 s72, s38
	v_pk_mov_b32 v[68:69], v[66:67], v[66:67] op_sel:[0,1]
.LBB243_44:                             ;   Parent Loop BB243_16 Depth=1
                                        ;     Parent Loop BB243_22 Depth=2
                                        ;       Parent Loop BB243_27 Depth=3
                                        ; =>      This Inner Loop Header: Depth=4
	global_load_dwordx4 v[102:105], v[72:73], off offset:-8
	global_load_dwordx4 v[106:109], v[70:71], off offset:-8
	v_add_co_u32_e32 v72, vcc, 16, v72
	v_addc_co_u32_e32 v73, vcc, 0, v73, vcc
	s_add_i32 s72, s72, -1
	v_add_co_u32_e32 v70, vcc, s64, v70
	v_addc_co_u32_e32 v71, vcc, v71, v97, vcc
	s_cmp_eq_u32 s72, 0
	s_waitcnt vmcnt(0)
	v_fmac_f64_e32 v[66:67], v[102:103], v[106:107]
	v_fmac_f64_e32 v[68:69], v[104:105], v[106:107]
	v_fma_f64 v[66:67], -v[104:105], v[108:109], v[66:67]
	v_fmac_f64_e32 v[68:69], v[102:103], v[108:109]
	s_cbranch_scc0 .LBB243_44
.LBB243_45:                             ;   in Loop: Header=BB243_27 Depth=3
	v_or_b32_e32 v70, v101, v12
	v_lshlrev_b32_e32 v102, 4, v70
	ds_read_b128 v[70:73], v102
	s_waitcnt vmcnt(0) lgkmcnt(0)
	v_fmac_f64_e32 v[70:71], v[4:5], v[66:67]
	v_fmac_f64_e32 v[72:73], v[8:9], v[66:67]
	v_fma_f64 v[70:71], -v[8:9], v[68:69], v[70:71]
	v_fmac_f64_e32 v[72:73], v[4:5], v[68:69]
	ds_write_b128 v102, v[70:73]
	s_or_b64 exec, exec, s[8:9]
	s_and_saveexec_b64 s[8:9], s[58:59]
	s_cbranch_execz .LBB243_34
.LBB243_46:                             ;   in Loop: Header=BB243_27 Depth=3
	s_and_b64 vcc, exec, s[6:7]
	s_cbranch_vccnz .LBB243_51
; %bb.47:                               ;   in Loop: Header=BB243_27 Depth=3
	v_pk_mov_b32 v[66:67], 0, 0
	s_mov_b64 s[72:73], 0
	s_andn2_b64 vcc, exec, s[52:53]
	v_pk_mov_b32 v[68:69], v[66:67], v[66:67] op_sel:[0,1]
	s_cbranch_vccnz .LBB243_50
; %bb.48:                               ;   in Loop: Header=BB243_27 Depth=3
	v_pk_mov_b32 v[66:67], 0, 0
	v_pk_mov_b32 v[70:71], v[54:55], v[54:55] op_sel:[0,1]
	v_pk_mov_b32 v[72:73], v[48:49], v[48:49] op_sel:[0,1]
	s_mov_b32 s74, s38
	v_pk_mov_b32 v[68:69], v[66:67], v[66:67] op_sel:[0,1]
.LBB243_49:                             ;   Parent Loop BB243_16 Depth=1
                                        ;     Parent Loop BB243_22 Depth=2
                                        ;       Parent Loop BB243_27 Depth=3
                                        ; =>      This Inner Loop Header: Depth=4
	global_load_dwordx4 v[102:105], v[72:73], off offset:-8
	global_load_dwordx4 v[106:109], v[70:71], off offset:-8
	v_add_co_u32_e32 v72, vcc, s64, v72
	v_addc_co_u32_e32 v73, vcc, v73, v97, vcc
	s_add_i32 s74, s74, -1
	v_add_co_u32_e32 v70, vcc, 16, v70
	v_addc_co_u32_e32 v71, vcc, 0, v71, vcc
	s_cmp_eq_u32 s74, 0
	s_waitcnt vmcnt(0)
	v_fmac_f64_e32 v[66:67], v[102:103], v[106:107]
	v_fmac_f64_e32 v[68:69], v[104:105], v[106:107]
	v_fma_f64 v[66:67], -v[104:105], v[108:109], v[66:67]
	v_fmac_f64_e32 v[68:69], v[102:103], v[108:109]
	s_cbranch_scc0 .LBB243_49
.LBB243_50:                             ;   in Loop: Header=BB243_27 Depth=3
	s_andn2_b64 vcc, exec, s[72:73]
	s_cbranch_vccz .LBB243_52
	s_branch .LBB243_55
.LBB243_51:                             ;   in Loop: Header=BB243_27 Depth=3
                                        ; implicit-def: $vgpr66_vgpr67
                                        ; implicit-def: $vgpr68_vgpr69
.LBB243_52:                             ;   in Loop: Header=BB243_27 Depth=3
	v_pk_mov_b32 v[66:67], 0, 0
	s_andn2_b64 vcc, exec, s[52:53]
	v_pk_mov_b32 v[68:69], v[66:67], v[66:67] op_sel:[0,1]
	s_cbranch_vccnz .LBB243_55
; %bb.53:                               ;   in Loop: Header=BB243_27 Depth=3
	v_pk_mov_b32 v[66:67], 0, 0
	v_pk_mov_b32 v[70:71], v[46:47], v[46:47] op_sel:[0,1]
	v_pk_mov_b32 v[72:73], v[56:57], v[56:57] op_sel:[0,1]
	s_mov_b32 s72, s38
	v_pk_mov_b32 v[68:69], v[66:67], v[66:67] op_sel:[0,1]
.LBB243_54:                             ;   Parent Loop BB243_16 Depth=1
                                        ;     Parent Loop BB243_22 Depth=2
                                        ;       Parent Loop BB243_27 Depth=3
                                        ; =>      This Inner Loop Header: Depth=4
	global_load_dwordx4 v[102:105], v[70:71], off offset:-8
	global_load_dwordx4 v[106:109], v[72:73], off
	v_add_co_u32_e32 v72, vcc, s64, v72
	v_addc_co_u32_e32 v73, vcc, v73, v97, vcc
	s_add_i32 s72, s72, -1
	v_add_co_u32_e32 v70, vcc, 16, v70
	v_addc_co_u32_e32 v71, vcc, 0, v71, vcc
	s_cmp_eq_u32 s72, 0
	s_waitcnt vmcnt(0)
	v_fmac_f64_e32 v[66:67], v[102:103], v[106:107]
	v_fmac_f64_e32 v[68:69], v[104:105], v[106:107]
	v_fma_f64 v[66:67], -v[104:105], v[108:109], v[66:67]
	v_fmac_f64_e32 v[68:69], v[102:103], v[108:109]
	s_cbranch_scc0 .LBB243_54
.LBB243_55:                             ;   in Loop: Header=BB243_27 Depth=3
	v_add_lshl_u32 v102, v101, v12, 4
	ds_read_b128 v[70:73], v102 offset:128
	s_waitcnt vmcnt(0) lgkmcnt(0)
	v_fmac_f64_e32 v[70:71], v[4:5], v[66:67]
	v_fmac_f64_e32 v[72:73], v[8:9], v[66:67]
	v_fma_f64 v[70:71], -v[8:9], v[68:69], v[70:71]
	v_fmac_f64_e32 v[72:73], v[4:5], v[68:69]
	ds_write_b128 v102, v[70:73] offset:128
	s_or_b64 exec, exec, s[8:9]
	v_cmp_ne_u32_e64 s[8:9], 1, v96
	s_and_saveexec_b64 s[72:73], s[60:61]
	s_cbranch_execz .LBB243_35
.LBB243_56:                             ;   in Loop: Header=BB243_27 Depth=3
	s_and_b64 vcc, exec, s[6:7]
	s_cbranch_vccnz .LBB243_61
; %bb.57:                               ;   in Loop: Header=BB243_27 Depth=3
	v_pk_mov_b32 v[66:67], 0, 0
	s_mov_b64 s[74:75], 0
	s_and_b64 vcc, exec, s[8:9]
	v_pk_mov_b32 v[68:69], v[66:67], v[66:67] op_sel:[0,1]
	s_cbranch_vccnz .LBB243_60
; %bb.58:                               ;   in Loop: Header=BB243_27 Depth=3
	v_pk_mov_b32 v[66:67], 0, 0
	v_pk_mov_b32 v[70:71], v[58:59], v[58:59] op_sel:[0,1]
	v_pk_mov_b32 v[72:73], v[48:49], v[48:49] op_sel:[0,1]
	s_mov_b32 s83, s38
	v_pk_mov_b32 v[68:69], v[66:67], v[66:67] op_sel:[0,1]
.LBB243_59:                             ;   Parent Loop BB243_16 Depth=1
                                        ;     Parent Loop BB243_22 Depth=2
                                        ;       Parent Loop BB243_27 Depth=3
                                        ; =>      This Inner Loop Header: Depth=4
	global_load_dwordx4 v[102:105], v[72:73], off offset:-8
	global_load_dwordx4 v[106:109], v[70:71], off offset:-8
	v_add_co_u32_e32 v72, vcc, s64, v72
	v_addc_co_u32_e32 v73, vcc, v73, v97, vcc
	s_add_i32 s83, s83, -1
	v_add_co_u32_e32 v70, vcc, 16, v70
	v_addc_co_u32_e32 v71, vcc, 0, v71, vcc
	s_cmp_eq_u32 s83, 0
	s_waitcnt vmcnt(0)
	v_fmac_f64_e32 v[66:67], v[102:103], v[106:107]
	v_fmac_f64_e32 v[68:69], v[104:105], v[106:107]
	v_fma_f64 v[66:67], -v[104:105], v[108:109], v[66:67]
	v_fmac_f64_e32 v[68:69], v[102:103], v[108:109]
	s_cbranch_scc0 .LBB243_59
.LBB243_60:                             ;   in Loop: Header=BB243_27 Depth=3
	s_andn2_b64 vcc, exec, s[74:75]
	s_cbranch_vccz .LBB243_62
	s_branch .LBB243_65
.LBB243_61:                             ;   in Loop: Header=BB243_27 Depth=3
                                        ; implicit-def: $vgpr66_vgpr67
                                        ; implicit-def: $vgpr68_vgpr69
.LBB243_62:                             ;   in Loop: Header=BB243_27 Depth=3
	v_pk_mov_b32 v[66:67], 0, 0
	s_and_b64 vcc, exec, s[8:9]
	v_pk_mov_b32 v[68:69], v[66:67], v[66:67] op_sel:[0,1]
	s_cbranch_vccnz .LBB243_65
; %bb.63:                               ;   in Loop: Header=BB243_27 Depth=3
	v_pk_mov_b32 v[66:67], 0, 0
	v_pk_mov_b32 v[70:71], v[46:47], v[46:47] op_sel:[0,1]
	v_pk_mov_b32 v[72:73], v[60:61], v[60:61] op_sel:[0,1]
	s_mov_b32 s74, s38
	v_pk_mov_b32 v[68:69], v[66:67], v[66:67] op_sel:[0,1]
.LBB243_64:                             ;   Parent Loop BB243_16 Depth=1
                                        ;     Parent Loop BB243_22 Depth=2
                                        ;       Parent Loop BB243_27 Depth=3
                                        ; =>      This Inner Loop Header: Depth=4
	global_load_dwordx4 v[102:105], v[70:71], off offset:-8
	global_load_dwordx4 v[106:109], v[72:73], off
	v_add_co_u32_e32 v72, vcc, s64, v72
	v_addc_co_u32_e32 v73, vcc, v73, v97, vcc
	s_add_i32 s74, s74, -1
	v_add_co_u32_e32 v70, vcc, 16, v70
	v_addc_co_u32_e32 v71, vcc, 0, v71, vcc
	s_cmp_eq_u32 s74, 0
	s_waitcnt vmcnt(0)
	v_fmac_f64_e32 v[66:67], v[102:103], v[106:107]
	v_fmac_f64_e32 v[68:69], v[104:105], v[106:107]
	v_fma_f64 v[66:67], -v[104:105], v[108:109], v[66:67]
	v_fmac_f64_e32 v[68:69], v[102:103], v[108:109]
	s_cbranch_scc0 .LBB243_64
.LBB243_65:                             ;   in Loop: Header=BB243_27 Depth=3
	v_add_lshl_u32 v102, v101, v12, 4
	ds_read_b128 v[70:73], v102 offset:256
	s_waitcnt vmcnt(0) lgkmcnt(0)
	v_fmac_f64_e32 v[70:71], v[4:5], v[66:67]
	v_fmac_f64_e32 v[72:73], v[8:9], v[66:67]
	v_fma_f64 v[70:71], -v[8:9], v[68:69], v[70:71]
	v_fmac_f64_e32 v[72:73], v[4:5], v[68:69]
	ds_write_b128 v102, v[70:73] offset:256
	s_or_b64 exec, exec, s[72:73]
	s_and_saveexec_b64 s[72:73], s[62:63]
	s_cbranch_execz .LBB243_76
.LBB243_66:                             ;   in Loop: Header=BB243_27 Depth=3
	s_and_b64 vcc, exec, s[6:7]
	s_cbranch_vccnz .LBB243_71
; %bb.67:                               ;   in Loop: Header=BB243_27 Depth=3
	v_pk_mov_b32 v[66:67], 0, 0
	s_mov_b64 s[6:7], 0
	s_and_b64 vcc, exec, s[8:9]
	v_pk_mov_b32 v[68:69], v[66:67], v[66:67] op_sel:[0,1]
	s_cbranch_vccnz .LBB243_70
; %bb.68:                               ;   in Loop: Header=BB243_27 Depth=3
	v_pk_mov_b32 v[66:67], 0, 0
	v_pk_mov_b32 v[70:71], v[62:63], v[62:63] op_sel:[0,1]
	v_pk_mov_b32 v[72:73], v[48:49], v[48:49] op_sel:[0,1]
	s_mov_b32 s74, s38
	v_pk_mov_b32 v[68:69], v[66:67], v[66:67] op_sel:[0,1]
.LBB243_69:                             ;   Parent Loop BB243_16 Depth=1
                                        ;     Parent Loop BB243_22 Depth=2
                                        ;       Parent Loop BB243_27 Depth=3
                                        ; =>      This Inner Loop Header: Depth=4
	global_load_dwordx4 v[102:105], v[72:73], off offset:-8
	global_load_dwordx4 v[106:109], v[70:71], off offset:-8
	v_add_co_u32_e32 v72, vcc, s64, v72
	v_addc_co_u32_e32 v73, vcc, v73, v97, vcc
	s_add_i32 s74, s74, -1
	v_add_co_u32_e32 v70, vcc, 16, v70
	v_addc_co_u32_e32 v71, vcc, 0, v71, vcc
	s_cmp_eq_u32 s74, 0
	s_waitcnt vmcnt(0)
	v_fmac_f64_e32 v[66:67], v[102:103], v[106:107]
	v_fmac_f64_e32 v[68:69], v[104:105], v[106:107]
	v_fma_f64 v[66:67], -v[104:105], v[108:109], v[66:67]
	v_fmac_f64_e32 v[68:69], v[102:103], v[108:109]
	s_cbranch_scc0 .LBB243_69
.LBB243_70:                             ;   in Loop: Header=BB243_27 Depth=3
	s_andn2_b64 vcc, exec, s[6:7]
	s_cbranch_vccz .LBB243_72
	s_branch .LBB243_75
.LBB243_71:                             ;   in Loop: Header=BB243_27 Depth=3
                                        ; implicit-def: $vgpr66_vgpr67
                                        ; implicit-def: $vgpr68_vgpr69
.LBB243_72:                             ;   in Loop: Header=BB243_27 Depth=3
	v_pk_mov_b32 v[66:67], 0, 0
	s_and_b64 vcc, exec, s[8:9]
	v_pk_mov_b32 v[68:69], v[66:67], v[66:67] op_sel:[0,1]
	s_cbranch_vccnz .LBB243_75
; %bb.73:                               ;   in Loop: Header=BB243_27 Depth=3
	v_pk_mov_b32 v[66:67], 0, 0
	v_pk_mov_b32 v[70:71], v[46:47], v[46:47] op_sel:[0,1]
	v_pk_mov_b32 v[72:73], v[64:65], v[64:65] op_sel:[0,1]
	s_mov_b32 s6, s38
	v_pk_mov_b32 v[68:69], v[66:67], v[66:67] op_sel:[0,1]
.LBB243_74:                             ;   Parent Loop BB243_16 Depth=1
                                        ;     Parent Loop BB243_22 Depth=2
                                        ;       Parent Loop BB243_27 Depth=3
                                        ; =>      This Inner Loop Header: Depth=4
	global_load_dwordx4 v[102:105], v[70:71], off offset:-8
	global_load_dwordx4 v[106:109], v[72:73], off
	v_add_co_u32_e32 v70, vcc, 16, v70
	v_addc_co_u32_e32 v71, vcc, 0, v71, vcc
	s_add_i32 s6, s6, -1
	v_mov_b32_e32 v110, s65
	v_add_co_u32_e32 v72, vcc, s64, v72
	v_addc_co_u32_e32 v73, vcc, v73, v110, vcc
	s_cmp_eq_u32 s6, 0
	s_waitcnt vmcnt(0)
	v_fmac_f64_e32 v[66:67], v[102:103], v[106:107]
	v_fmac_f64_e32 v[68:69], v[104:105], v[106:107]
	v_fma_f64 v[66:67], -v[104:105], v[108:109], v[66:67]
	v_fmac_f64_e32 v[68:69], v[102:103], v[108:109]
	s_cbranch_scc0 .LBB243_74
.LBB243_75:                             ;   in Loop: Header=BB243_27 Depth=3
	v_add_lshl_u32 v101, v101, v12, 4
	ds_read_b128 v[70:73], v101 offset:384
	s_waitcnt vmcnt(0) lgkmcnt(0)
	v_fmac_f64_e32 v[70:71], v[4:5], v[66:67]
	v_fmac_f64_e32 v[72:73], v[8:9], v[66:67]
	v_fma_f64 v[70:71], -v[8:9], v[68:69], v[70:71]
	v_fmac_f64_e32 v[72:73], v[4:5], v[68:69]
	ds_write_b128 v101, v[70:73] offset:384
.LBB243_76:                             ;   in Loop: Header=BB243_27 Depth=3
	s_or_b64 exec, exec, s[72:73]
	s_mov_b64 s[8:9], -1
	s_mov_b32 s83, s82
	s_mov_b64 s[6:7], s[68:69]
	s_waitcnt lgkmcnt(0)
	s_barrier
.LBB243_77:                             ;   in Loop: Header=BB243_27 Depth=3
	s_add_u32 s70, s70, 1
	s_addc_u32 s71, s71, 0
	v_pk_mov_b32 v[66:67], s[66:67], s[66:67] op_sel:[0,1]
	v_cmp_lt_i64_e32 vcc, s[70:71], v[66:67]
	s_and_b64 s[8:9], s[8:9], vcc
	v_mov_b32_e32 v66, s23
	v_add_co_u32_e32 v50, vcc, s22, v50
	v_addc_co_u32_e32 v51, vcc, v51, v66, vcc
	v_add_co_u32_e32 v52, vcc, s22, v52
	v_addc_co_u32_e32 v53, vcc, v53, v66, vcc
	;; [unrolled: 2-line block ×8, first 2 shown]
	s_and_b64 vcc, exec, s[8:9]
	s_cbranch_vccz .LBB243_80
; %bb.78:                               ;   in Loop: Header=BB243_27 Depth=3
	s_mov_b32 s82, s83
	s_mov_b64 s[68:69], s[6:7]
	s_branch .LBB243_27
.LBB243_79:                             ;   in Loop: Header=BB243_22 Depth=2
	s_mov_b32 s83, s82
	s_mov_b64 s[6:7], s[68:69]
.LBB243_80:                             ;   in Loop: Header=BB243_22 Depth=2
	s_lshl_b64 s[8:9], s[14:15], 3
	s_add_u32 s8, s48, s8
	s_addc_u32 s9, s49, s9
	v_pk_mov_b32 v[50:51], s[6:7], s[6:7] op_sel:[0,1]
	global_store_dwordx2 v15, v[50:51], s[8:9]
	v_mov_b32_e32 v50, s23
	v_add_co_u32_e32 v48, vcc, s22, v48
	v_addc_co_u32_e32 v49, vcc, v49, v50, vcc
	s_add_u32 s14, s14, 1
	v_add_co_u32_e32 v46, vcc, s22, v46
	s_addc_u32 s15, s15, 0
	v_addc_co_u32_e32 v47, vcc, v47, v50, vcc
	v_pk_mov_b32 v[50:51], s[44:45], s[44:45] op_sel:[0,1]
	v_cmp_lt_i64_e32 vcc, s[14:15], v[50:51]
	s_cbranch_vccz .LBB243_83
; %bb.81:                               ;   in Loop: Header=BB243_22 Depth=2
	s_mov_b32 s82, s83
	s_branch .LBB243_22
.LBB243_82:                             ;   in Loop: Header=BB243_22 Depth=2
                                        ; implicit-def: $sgpr68_sgpr69
	s_branch .LBB243_24
.LBB243_83:                             ;   in Loop: Header=BB243_16 Depth=1
	s_andn2_b64 vcc, exec, s[34:35]
	s_cbranch_vccnz .LBB243_99
; %bb.84:                               ;   in Loop: Header=BB243_16 Depth=1
	s_load_dwordx4 s[8:11], s[12:13], 0x0
	s_waitcnt lgkmcnt(0)
	v_pk_mov_b32 v[46:47], s[10:11], s[10:11] op_sel:[0,1]
	v_cmp_ge_i64_e32 vcc, s[8:9], v[46:47]
	s_cbranch_vccnz .LBB243_99
; %bb.85:                               ;   in Loop: Header=BB243_16 Depth=1
	s_sub_u32 s6, s10, s54
	s_subb_u32 s7, s11, 0
	s_sub_u32 s14, s8, s54
	s_subb_u32 s15, s9, 0
	s_lshl_b64 s[10:11], s[8:9], 2
	s_add_u32 s10, s39, s10
	s_mul_i32 s15, s22, s15
	s_mul_hi_u32 s66, s22, s14
	s_addc_u32 s11, s55, s11
	s_add_i32 s15, s66, s15
	s_mul_i32 s66, s23, s14
	s_add_i32 s15, s15, s66
	s_mul_i32 s14, s22, s14
	s_add_u32 s68, s16, s14
	s_addc_u32 s69, s17, s15
	s_add_u32 s8, s79, s8
	s_addc_u32 s9, s80, s9
	s_branch .LBB243_88
.LBB243_86:                             ;   in Loop: Header=BB243_88 Depth=2
	s_or_b64 exec, exec, s[14:15]
	s_mov_b64 s[14:15], -1
	s_mov_b32 s70, s83
	s_waitcnt lgkmcnt(0)
	s_barrier
.LBB243_87:                             ;   in Loop: Header=BB243_88 Depth=2
	v_pk_mov_b32 v[46:47], s[6:7], s[6:7] op_sel:[0,1]
	v_cmp_lt_i64_e32 vcc, s[8:9], v[46:47]
	s_and_b64 s[14:15], s[14:15], vcc
	s_add_u32 s10, s10, 4
	s_addc_u32 s11, s11, 0
	s_add_u32 s68, s68, s22
	s_addc_u32 s69, s69, s23
	;; [unrolled: 2-line block ×3, first 2 shown]
	s_mov_b32 s83, s70
	s_and_b64 vcc, exec, s[14:15]
	s_cbranch_vccz .LBB243_99
.LBB243_88:                             ;   Parent Loop BB243_16 Depth=1
                                        ; =>  This Inner Loop Header: Depth=2
	s_load_dword s14, s[10:11], 0x0
                                        ; implicit-def: $sgpr70
	s_waitcnt lgkmcnt(0)
	s_sub_i32 s71, s14, s31
	s_cmp_lt_i32 s71, s19
	s_cselect_b64 s[66:67], -1, 0
	s_cmp_lt_i32 s71, s81
	s_cselect_b64 s[14:15], -1, 0
	s_cmp_ge_i32 s71, s81
	s_cselect_b64 s[72:73], -1, 0
	s_or_b64 s[72:73], s[66:67], s[72:73]
	s_mov_b64 s[66:67], -1
	s_and_b64 vcc, exec, s[72:73]
	s_cbranch_vccz .LBB243_90
; %bb.89:                               ;   in Loop: Header=BB243_88 Depth=2
	s_min_i32 s70, s71, s83
	s_and_b64 s[66:67], s[14:15], exec
	s_cselect_b32 s70, s83, s70
	s_mov_b64 s[66:67], 0
.LBB243_90:                             ;   in Loop: Header=BB243_88 Depth=2
	s_andn2_b64 vcc, exec, s[66:67]
	s_cbranch_vccnz .LBB243_87
; %bb.91:                               ;   in Loop: Header=BB243_88 Depth=2
	s_sub_i32 s14, s71, s19
	v_mov_b32_e32 v46, s14
	ds_write_b8 v46, v98 offset:32768
	v_lshl_or_b32 v46, s14, 10, v76
	s_and_saveexec_b64 s[14:15], s[56:57]
	s_cbranch_execnz .LBB243_95
; %bb.92:                               ;   in Loop: Header=BB243_88 Depth=2
	s_or_b64 exec, exec, s[14:15]
	v_add_lshl_u32 v46, v46, v12, 4
	s_and_saveexec_b64 s[14:15], s[58:59]
	s_cbranch_execnz .LBB243_96
.LBB243_93:                             ;   in Loop: Header=BB243_88 Depth=2
	s_or_b64 exec, exec, s[14:15]
	s_and_saveexec_b64 s[14:15], s[60:61]
	s_cbranch_execnz .LBB243_97
.LBB243_94:                             ;   in Loop: Header=BB243_88 Depth=2
	s_or_b64 exec, exec, s[14:15]
	s_and_saveexec_b64 s[14:15], s[62:63]
	s_cbranch_execz .LBB243_86
	s_branch .LBB243_98
.LBB243_95:                             ;   in Loop: Header=BB243_88 Depth=2
	v_mov_b32_e32 v47, s69
	v_add_co_u32_e32 v48, vcc, s68, v100
	v_addc_co_u32_e32 v49, vcc, v47, v99, vcc
	global_load_dwordx4 v[48:51], v[48:49], off
	v_or_b32_e32 v47, v46, v12
	v_lshlrev_b32_e32 v47, 4, v47
	ds_read_b128 v[52:55], v47
	s_waitcnt vmcnt(0) lgkmcnt(0)
	v_fmac_f64_e32 v[52:53], v[10:11], v[48:49]
	v_fmac_f64_e32 v[54:55], v[6:7], v[48:49]
	v_fma_f64 v[52:53], -v[6:7], v[50:51], v[52:53]
	v_fmac_f64_e32 v[54:55], v[10:11], v[50:51]
	ds_write_b128 v47, v[52:55]
	s_or_b64 exec, exec, s[14:15]
	v_add_lshl_u32 v46, v46, v12, 4
	s_and_saveexec_b64 s[14:15], s[58:59]
	s_cbranch_execz .LBB243_93
.LBB243_96:                             ;   in Loop: Header=BB243_88 Depth=2
	v_mov_b32_e32 v47, s69
	v_add_co_u32_e32 v48, vcc, s68, v74
	v_addc_co_u32_e32 v49, vcc, v47, v75, vcc
	v_add_co_u32_e32 v48, vcc, 0x80, v48
	v_addc_co_u32_e32 v49, vcc, 0, v49, vcc
	;; [unrolled: 2-line block ×3, first 2 shown]
	v_cndmask_b32_e64 v49, v47, v49, s[2:3]
	v_cndmask_b32_e64 v48, v50, v48, s[2:3]
	global_load_dwordx4 v[48:51], v[48:49], off
	ds_read_b128 v[52:55], v46 offset:128
	s_waitcnt vmcnt(0) lgkmcnt(0)
	v_fmac_f64_e32 v[52:53], v[10:11], v[48:49]
	v_fmac_f64_e32 v[54:55], v[6:7], v[48:49]
	v_fma_f64 v[52:53], -v[6:7], v[50:51], v[52:53]
	v_fmac_f64_e32 v[54:55], v[10:11], v[50:51]
	ds_write_b128 v46, v[52:55] offset:128
	s_or_b64 exec, exec, s[14:15]
	s_and_saveexec_b64 s[14:15], s[60:61]
	s_cbranch_execz .LBB243_94
.LBB243_97:                             ;   in Loop: Header=BB243_88 Depth=2
	v_mov_b32_e32 v47, s69
	v_add_co_u32_e32 v48, vcc, s68, v74
	v_addc_co_u32_e32 v49, vcc, v47, v75, vcc
	v_add_co_u32_e32 v48, vcc, 0x100, v48
	v_addc_co_u32_e32 v49, vcc, 0, v49, vcc
	;; [unrolled: 2-line block ×3, first 2 shown]
	v_cndmask_b32_e64 v49, v47, v49, s[2:3]
	v_cndmask_b32_e64 v48, v50, v48, s[2:3]
	global_load_dwordx4 v[48:51], v[48:49], off
	ds_read_b128 v[52:55], v46 offset:256
	s_waitcnt vmcnt(0) lgkmcnt(0)
	v_fmac_f64_e32 v[52:53], v[10:11], v[48:49]
	v_fmac_f64_e32 v[54:55], v[6:7], v[48:49]
	v_fma_f64 v[52:53], -v[6:7], v[50:51], v[52:53]
	v_fmac_f64_e32 v[54:55], v[10:11], v[50:51]
	ds_write_b128 v46, v[52:55] offset:256
	s_or_b64 exec, exec, s[14:15]
	s_and_saveexec_b64 s[14:15], s[62:63]
	s_cbranch_execz .LBB243_86
.LBB243_98:                             ;   in Loop: Header=BB243_88 Depth=2
	v_mov_b32_e32 v47, s69
	v_add_co_u32_e32 v48, vcc, s68, v74
	v_addc_co_u32_e32 v49, vcc, v47, v75, vcc
	v_add_co_u32_e32 v48, vcc, 0x180, v48
	v_addc_co_u32_e32 v49, vcc, 0, v49, vcc
	;; [unrolled: 2-line block ×3, first 2 shown]
	v_cndmask_b32_e64 v49, v47, v49, s[2:3]
	v_cndmask_b32_e64 v48, v50, v48, s[2:3]
	global_load_dwordx4 v[48:51], v[48:49], off
	ds_read_b128 v[52:55], v46 offset:384
	s_waitcnt vmcnt(0) lgkmcnt(0)
	v_fmac_f64_e32 v[52:53], v[10:11], v[48:49]
	v_fmac_f64_e32 v[54:55], v[6:7], v[48:49]
	v_fma_f64 v[52:53], -v[6:7], v[50:51], v[52:53]
	v_fmac_f64_e32 v[54:55], v[10:11], v[50:51]
	ds_write_b128 v46, v[52:55] offset:384
	s_branch .LBB243_86
.LBB243_99:                             ;   in Loop: Header=BB243_16 Depth=1
	s_barrier
	ds_read_u8 v46, v15 offset:32768
	s_add_i32 s8, s19, s30
	s_mov_b32 s9, 0
	s_waitcnt lgkmcnt(0)
	v_cmp_eq_u32_e32 vcc, 0, v46
	s_cbranch_vccnz .LBB243_106
; %bb.100:                              ;   in Loop: Header=BB243_16 Depth=1
	v_lshlrev_b64 v[46:47], 2, v[44:45]
	v_mov_b32_e32 v48, s41
	v_add_co_u32_e32 v46, vcc, s40, v46
	v_addc_co_u32_e32 v47, vcc, v48, v47, vcc
	v_mov_b32_e32 v48, s8
	global_store_dword v[46:47], v48, off
	v_mad_u64_u32 v[46:47], s[6:7], v44, s18, 0
	v_mov_b32_e32 v48, v47
	v_mad_u64_u32 v[48:49], s[6:7], v45, s18, v[48:49]
	v_mov_b32_e32 v47, v48
	v_lshlrev_b64 v[48:49], 4, v[46:47]
	v_add_co_u32_e32 v46, vcc, v77, v48
	v_addc_co_u32_e32 v47, vcc, v78, v49, vcc
	v_add_co_u32_e32 v48, vcc, v79, v48
	v_addc_co_u32_e32 v49, vcc, v80, v49, vcc
	s_and_saveexec_b64 s[6:7], s[56:57]
	s_cbranch_execnz .LBB243_113
; %bb.101:                              ;   in Loop: Header=BB243_16 Depth=1
	s_or_b64 exec, exec, s[6:7]
	s_and_saveexec_b64 s[6:7], s[58:59]
	s_cbranch_execnz .LBB243_114
.LBB243_102:                            ;   in Loop: Header=BB243_16 Depth=1
	s_or_b64 exec, exec, s[6:7]
	s_and_saveexec_b64 s[6:7], s[60:61]
	s_cbranch_execnz .LBB243_115
.LBB243_103:                            ;   in Loop: Header=BB243_16 Depth=1
	s_or_b64 exec, exec, s[6:7]
	s_and_saveexec_b64 s[6:7], s[62:63]
	s_cbranch_execz .LBB243_105
.LBB243_104:                            ;   in Loop: Header=BB243_16 Depth=1
	v_lshlrev_b32_e32 v50, 4, v12
	v_add_co_u32_e32 v48, vcc, v48, v50
	v_addc_co_u32_e32 v49, vcc, 0, v49, vcc
	v_add_co_u32_e32 v52, vcc, 0x180, v48
	v_addc_co_u32_e32 v53, vcc, 0, v49, vcc
	ds_read2_b64 v[48:51], v83 offset1:1
	v_add_co_u32_e32 v46, vcc, v46, v38
	v_addc_co_u32_e32 v47, vcc, v47, v39, vcc
	v_cndmask_b32_e64 v47, v47, v53, s[2:3]
	v_cndmask_b32_e64 v46, v46, v52, s[2:3]
	s_waitcnt lgkmcnt(0)
	global_store_dwordx4 v[46:47], v[48:51], off
.LBB243_105:                            ;   in Loop: Header=BB243_16 Depth=1
	s_or_b64 exec, exec, s[6:7]
	s_mov_b32 s9, 1
.LBB243_106:                            ;   in Loop: Header=BB243_16 Depth=1
	ds_read_u8 v46, v15 offset:32769
	s_waitcnt lgkmcnt(0)
	v_readfirstlane_b32 s6, v46
	s_bitcmp1_b32 s6, 0
	s_cselect_b64 s[6:7], -1, 0
	s_and_b64 vcc, exec, s[6:7]
	s_cbranch_vccnz .LBB243_108
; %bb.107:                              ;   in Loop: Header=BB243_16 Depth=1
	v_add_co_u32_e32 v46, vcc, s9, v44
	v_addc_co_u32_e32 v47, vcc, 0, v45, vcc
	s_cbranch_execnz .LBB243_15
	s_branch .LBB243_109
.LBB243_108:                            ;   in Loop: Header=BB243_16 Depth=1
                                        ; implicit-def: $vgpr46_vgpr47
.LBB243_109:                            ;   in Loop: Header=BB243_16 Depth=1
	s_add_i32 s6, s9, 1
	v_add_co_u32_e32 v46, vcc, s6, v44
	v_addc_co_u32_e32 v47, vcc, 0, v45, vcc
	v_add_co_u32_e32 v48, vcc, -1, v46
	v_addc_co_u32_e32 v49, vcc, -1, v47, vcc
	v_lshlrev_b64 v[44:45], 2, v[46:47]
	s_add_i32 s6, s8, 1
	v_mov_b32_e32 v50, s78
	v_add_co_u32_e32 v44, vcc, s77, v44
	v_addc_co_u32_e32 v45, vcc, v50, v45, vcc
	v_mov_b32_e32 v50, s6
	global_store_dword v[44:45], v50, off
	v_mad_u64_u32 v[44:45], s[6:7], v48, s18, 0
	v_mov_b32_e32 v48, v45
	v_mad_u64_u32 v[48:49], s[6:7], v49, s18, v[48:49]
	v_mov_b32_e32 v45, v48
	v_lshlrev_b64 v[44:45], 4, v[44:45]
	v_add_co_u32_e32 v48, vcc, v77, v44
	v_addc_co_u32_e32 v49, vcc, v78, v45, vcc
	v_add_co_u32_e32 v44, vcc, v79, v44
	v_addc_co_u32_e32 v45, vcc, v80, v45, vcc
	s_and_saveexec_b64 s[6:7], s[56:57]
	s_cbranch_execnz .LBB243_116
; %bb.110:                              ;   in Loop: Header=BB243_16 Depth=1
	s_or_b64 exec, exec, s[6:7]
	s_and_saveexec_b64 s[6:7], s[58:59]
	s_cbranch_execnz .LBB243_117
.LBB243_111:                            ;   in Loop: Header=BB243_16 Depth=1
	s_or_b64 exec, exec, s[6:7]
	s_and_saveexec_b64 s[6:7], s[60:61]
	s_cbranch_execnz .LBB243_118
.LBB243_112:                            ;   in Loop: Header=BB243_16 Depth=1
	s_or_b64 exec, exec, s[6:7]
	s_and_saveexec_b64 s[6:7], s[62:63]
	s_cbranch_execz .LBB243_14
	s_branch .LBB243_119
.LBB243_113:                            ;   in Loop: Header=BB243_16 Depth=1
	v_add_co_u32_e32 v54, vcc, v46, v16
	ds_read2_b64 v[50:53], v14 offset1:1
	v_addc_co_u32_e32 v55, vcc, v47, v17, vcc
	v_lshlrev_b32_e32 v56, 4, v12
	v_add_co_u32_e32 v56, vcc, v48, v56
	v_addc_co_u32_e32 v57, vcc, 0, v49, vcc
	v_cndmask_b32_e64 v55, v55, v57, s[2:3]
	v_cndmask_b32_e64 v54, v54, v56, s[2:3]
	s_waitcnt lgkmcnt(0)
	global_store_dwordx4 v[54:55], v[50:53], off
	s_or_b64 exec, exec, s[6:7]
	s_and_saveexec_b64 s[6:7], s[58:59]
	s_cbranch_execz .LBB243_102
.LBB243_114:                            ;   in Loop: Header=BB243_16 Depth=1
	v_lshlrev_b32_e32 v50, 4, v12
	v_add_co_u32_e32 v50, vcc, v48, v50
	v_addc_co_u32_e32 v51, vcc, 0, v49, vcc
	v_add_co_u32_e32 v54, vcc, 0x80, v50
	v_addc_co_u32_e32 v55, vcc, 0, v51, vcc
	ds_read2_b64 v[50:53], v81 offset1:1
	v_add_co_u32_e32 v56, vcc, v46, v26
	v_addc_co_u32_e32 v57, vcc, v47, v27, vcc
	v_cndmask_b32_e64 v55, v57, v55, s[2:3]
	v_cndmask_b32_e64 v54, v56, v54, s[2:3]
	s_waitcnt lgkmcnt(0)
	global_store_dwordx4 v[54:55], v[50:53], off
	s_or_b64 exec, exec, s[6:7]
	s_and_saveexec_b64 s[6:7], s[60:61]
	s_cbranch_execz .LBB243_103
.LBB243_115:                            ;   in Loop: Header=BB243_16 Depth=1
	v_lshlrev_b32_e32 v50, 4, v12
	v_add_co_u32_e32 v50, vcc, v48, v50
	v_addc_co_u32_e32 v51, vcc, 0, v49, vcc
	v_add_co_u32_e32 v54, vcc, 0x100, v50
	v_addc_co_u32_e32 v55, vcc, 0, v51, vcc
	ds_read2_b64 v[50:53], v82 offset1:1
	v_add_co_u32_e32 v56, vcc, v46, v32
	v_addc_co_u32_e32 v57, vcc, v47, v33, vcc
	v_cndmask_b32_e64 v55, v57, v55, s[2:3]
	v_cndmask_b32_e64 v54, v56, v54, s[2:3]
	s_waitcnt lgkmcnt(0)
	global_store_dwordx4 v[54:55], v[50:53], off
	s_or_b64 exec, exec, s[6:7]
	s_and_saveexec_b64 s[6:7], s[62:63]
	s_cbranch_execnz .LBB243_104
	s_branch .LBB243_105
.LBB243_116:                            ;   in Loop: Header=BB243_16 Depth=1
	v_lshlrev_b32_e32 v50, 4, v12
	v_add_co_u32_e32 v54, vcc, v44, v50
	ds_read2_b64 v[50:53], v84 offset1:1
	v_addc_co_u32_e32 v55, vcc, 0, v45, vcc
	v_add_co_u32_e32 v56, vcc, v48, v16
	v_addc_co_u32_e32 v57, vcc, v49, v17, vcc
	v_cndmask_b32_e64 v55, v57, v55, s[2:3]
	v_cndmask_b32_e64 v54, v56, v54, s[2:3]
	s_waitcnt lgkmcnt(0)
	global_store_dwordx4 v[54:55], v[50:53], off
	s_or_b64 exec, exec, s[6:7]
	s_and_saveexec_b64 s[6:7], s[58:59]
	s_cbranch_execz .LBB243_111
.LBB243_117:                            ;   in Loop: Header=BB243_16 Depth=1
	v_lshlrev_b32_e32 v50, 4, v12
	v_add_co_u32_e32 v50, vcc, v44, v50
	v_addc_co_u32_e32 v51, vcc, 0, v45, vcc
	v_add_co_u32_e32 v54, vcc, 0x80, v50
	v_addc_co_u32_e32 v55, vcc, 0, v51, vcc
	ds_read2_b64 v[50:53], v85 offset1:1
	v_add_co_u32_e32 v56, vcc, v48, v26
	v_addc_co_u32_e32 v57, vcc, v49, v27, vcc
	v_cndmask_b32_e64 v55, v57, v55, s[2:3]
	v_cndmask_b32_e64 v54, v56, v54, s[2:3]
	s_waitcnt lgkmcnt(0)
	global_store_dwordx4 v[54:55], v[50:53], off
	s_or_b64 exec, exec, s[6:7]
	s_and_saveexec_b64 s[6:7], s[60:61]
	s_cbranch_execz .LBB243_112
.LBB243_118:                            ;   in Loop: Header=BB243_16 Depth=1
	v_lshlrev_b32_e32 v50, 4, v12
	v_add_co_u32_e32 v50, vcc, v44, v50
	v_addc_co_u32_e32 v51, vcc, 0, v45, vcc
	v_add_co_u32_e32 v54, vcc, 0x100, v50
	v_addc_co_u32_e32 v55, vcc, 0, v51, vcc
	ds_read2_b64 v[50:53], v86 offset1:1
	v_add_co_u32_e32 v56, vcc, v48, v32
	v_addc_co_u32_e32 v57, vcc, v49, v33, vcc
	v_cndmask_b32_e64 v55, v57, v55, s[2:3]
	v_cndmask_b32_e64 v54, v56, v54, s[2:3]
	s_waitcnt lgkmcnt(0)
	global_store_dwordx4 v[54:55], v[50:53], off
	s_or_b64 exec, exec, s[6:7]
	s_and_saveexec_b64 s[6:7], s[62:63]
	s_cbranch_execz .LBB243_14
.LBB243_119:                            ;   in Loop: Header=BB243_16 Depth=1
	s_andn2_b64 vcc, exec, s[50:51]
	s_cbranch_vccnz .LBB243_121
; %bb.120:                              ;   in Loop: Header=BB243_16 Depth=1
	ds_read2_b64 v[50:53], v87 offset1:1
	v_add_co_u32_e32 v48, vcc, v48, v38
	v_addc_co_u32_e32 v49, vcc, v49, v39, vcc
	s_waitcnt lgkmcnt(0)
	global_store_dwordx4 v[48:49], v[50:53], off
	s_cbranch_execnz .LBB243_14
	s_branch .LBB243_122
.LBB243_121:                            ;   in Loop: Header=BB243_16 Depth=1
.LBB243_122:                            ;   in Loop: Header=BB243_16 Depth=1
	ds_read2_b64 v[48:51], v87 offset1:1
	v_lshlrev_b32_e32 v52, 4, v12
	v_add_co_u32_e32 v44, vcc, v44, v52
	v_addc_co_u32_e32 v45, vcc, 0, v45, vcc
	s_waitcnt lgkmcnt(0)
	global_store_dwordx4 v[44:45], v[48:51], off offset:384
	s_branch .LBB243_14
.LBB243_123:
	s_endpgm
	.section	.rodata,"a",@progbits
	.p2align	6, 0x0
	.amdhsa_kernel _ZN9rocsparseL31bsrgemm_block_per_row_multipassILj256ELj2ELj32Eli21rocsparse_complex_numIdEEEv20rocsparse_direction_T3_S4_PKS4_S6_NS_24const_host_device_scalarIT4_EEPKT2_S6_PKS8_SC_S6_SE_S9_SC_S6_SE_SC_PS4_PS8_PSA_21rocsparse_index_base_SI_SI_SI_bbb
		.amdhsa_group_segment_fixed_size 36872
		.amdhsa_private_segment_fixed_size 0
		.amdhsa_kernarg_size 188
		.amdhsa_user_sgpr_count 8
		.amdhsa_user_sgpr_private_segment_buffer 1
		.amdhsa_user_sgpr_dispatch_ptr 1
		.amdhsa_user_sgpr_queue_ptr 0
		.amdhsa_user_sgpr_kernarg_segment_ptr 1
		.amdhsa_user_sgpr_dispatch_id 0
		.amdhsa_user_sgpr_flat_scratch_init 0
		.amdhsa_user_sgpr_kernarg_preload_length 0
		.amdhsa_user_sgpr_kernarg_preload_offset 0
		.amdhsa_user_sgpr_private_segment_size 0
		.amdhsa_uses_dynamic_stack 0
		.amdhsa_system_sgpr_private_segment_wavefront_offset 0
		.amdhsa_system_sgpr_workgroup_id_x 1
		.amdhsa_system_sgpr_workgroup_id_y 0
		.amdhsa_system_sgpr_workgroup_id_z 0
		.amdhsa_system_sgpr_workgroup_info 0
		.amdhsa_system_vgpr_workitem_id 2
		.amdhsa_next_free_vgpr 111
		.amdhsa_next_free_sgpr 85
		.amdhsa_accum_offset 112
		.amdhsa_reserve_vcc 1
		.amdhsa_reserve_flat_scratch 0
		.amdhsa_float_round_mode_32 0
		.amdhsa_float_round_mode_16_64 0
		.amdhsa_float_denorm_mode_32 3
		.amdhsa_float_denorm_mode_16_64 3
		.amdhsa_dx10_clamp 1
		.amdhsa_ieee_mode 1
		.amdhsa_fp16_overflow 0
		.amdhsa_tg_split 0
		.amdhsa_exception_fp_ieee_invalid_op 0
		.amdhsa_exception_fp_denorm_src 0
		.amdhsa_exception_fp_ieee_div_zero 0
		.amdhsa_exception_fp_ieee_overflow 0
		.amdhsa_exception_fp_ieee_underflow 0
		.amdhsa_exception_fp_ieee_inexact 0
		.amdhsa_exception_int_div_zero 0
	.end_amdhsa_kernel
	.section	.text._ZN9rocsparseL31bsrgemm_block_per_row_multipassILj256ELj2ELj32Eli21rocsparse_complex_numIdEEEv20rocsparse_direction_T3_S4_PKS4_S6_NS_24const_host_device_scalarIT4_EEPKT2_S6_PKS8_SC_S6_SE_S9_SC_S6_SE_SC_PS4_PS8_PSA_21rocsparse_index_base_SI_SI_SI_bbb,"axG",@progbits,_ZN9rocsparseL31bsrgemm_block_per_row_multipassILj256ELj2ELj32Eli21rocsparse_complex_numIdEEEv20rocsparse_direction_T3_S4_PKS4_S6_NS_24const_host_device_scalarIT4_EEPKT2_S6_PKS8_SC_S6_SE_S9_SC_S6_SE_SC_PS4_PS8_PSA_21rocsparse_index_base_SI_SI_SI_bbb,comdat
.Lfunc_end243:
	.size	_ZN9rocsparseL31bsrgemm_block_per_row_multipassILj256ELj2ELj32Eli21rocsparse_complex_numIdEEEv20rocsparse_direction_T3_S4_PKS4_S6_NS_24const_host_device_scalarIT4_EEPKT2_S6_PKS8_SC_S6_SE_S9_SC_S6_SE_SC_PS4_PS8_PSA_21rocsparse_index_base_SI_SI_SI_bbb, .Lfunc_end243-_ZN9rocsparseL31bsrgemm_block_per_row_multipassILj256ELj2ELj32Eli21rocsparse_complex_numIdEEEv20rocsparse_direction_T3_S4_PKS4_S6_NS_24const_host_device_scalarIT4_EEPKT2_S6_PKS8_SC_S6_SE_S9_SC_S6_SE_SC_PS4_PS8_PSA_21rocsparse_index_base_SI_SI_SI_bbb
                                        ; -- End function
	.section	.AMDGPU.csdata,"",@progbits
; Kernel info:
; codeLenInByte = 5436
; NumSgprs: 89
; NumVgprs: 111
; NumAgprs: 0
; TotalNumVgprs: 111
; ScratchSize: 0
; MemoryBound: 1
; FloatMode: 240
; IeeeMode: 1
; LDSByteSize: 36872 bytes/workgroup (compile time only)
; SGPRBlocks: 11
; VGPRBlocks: 13
; NumSGPRsForWavesPerEU: 89
; NumVGPRsForWavesPerEU: 111
; AccumOffset: 112
; Occupancy: 1
; WaveLimiterHint : 1
; COMPUTE_PGM_RSRC2:SCRATCH_EN: 0
; COMPUTE_PGM_RSRC2:USER_SGPR: 8
; COMPUTE_PGM_RSRC2:TRAP_HANDLER: 0
; COMPUTE_PGM_RSRC2:TGID_X_EN: 1
; COMPUTE_PGM_RSRC2:TGID_Y_EN: 0
; COMPUTE_PGM_RSRC2:TGID_Z_EN: 0
; COMPUTE_PGM_RSRC2:TIDIG_COMP_CNT: 2
; COMPUTE_PGM_RSRC3_GFX90A:ACCUM_OFFSET: 27
; COMPUTE_PGM_RSRC3_GFX90A:TG_SPLIT: 0
	.text
	.p2alignl 6, 3212836864
	.fill 256, 4, 3212836864
	.type	__hip_cuid_3d748560ce49dd26,@object ; @__hip_cuid_3d748560ce49dd26
	.section	.bss,"aw",@nobits
	.globl	__hip_cuid_3d748560ce49dd26
__hip_cuid_3d748560ce49dd26:
	.byte	0                               ; 0x0
	.size	__hip_cuid_3d748560ce49dd26, 1

	.ident	"AMD clang version 19.0.0git (https://github.com/RadeonOpenCompute/llvm-project roc-6.4.0 25133 c7fe45cf4b819c5991fe208aaa96edf142730f1d)"
	.section	".note.GNU-stack","",@progbits
	.addrsig
	.addrsig_sym _ZN9rocsparse13shared_memoryE
	.addrsig_sym __hip_cuid_3d748560ce49dd26
	.amdgpu_metadata
---
amdhsa.kernels:
  - .agpr_count:     0
    .args:
      - .offset:         0
        .size:           4
        .value_kind:     by_value
      - .actual_access:  read_only
        .address_space:  global
        .offset:         8
        .size:           8
        .value_kind:     global_buffer
      - .actual_access:  write_only
        .address_space:  global
        .offset:         16
        .size:           8
        .value_kind:     global_buffer
      - .offset:         24
        .size:           4
        .value_kind:     hidden_block_count_x
      - .offset:         28
        .size:           4
        .value_kind:     hidden_block_count_y
      - .offset:         32
        .size:           4
        .value_kind:     hidden_block_count_z
      - .offset:         36
        .size:           2
        .value_kind:     hidden_group_size_x
      - .offset:         38
        .size:           2
        .value_kind:     hidden_group_size_y
      - .offset:         40
        .size:           2
        .value_kind:     hidden_group_size_z
      - .offset:         42
        .size:           2
        .value_kind:     hidden_remainder_x
      - .offset:         44
        .size:           2
        .value_kind:     hidden_remainder_y
      - .offset:         46
        .size:           2
        .value_kind:     hidden_remainder_z
      - .offset:         64
        .size:           8
        .value_kind:     hidden_global_offset_x
      - .offset:         72
        .size:           8
        .value_kind:     hidden_global_offset_y
      - .offset:         80
        .size:           8
        .value_kind:     hidden_global_offset_z
      - .offset:         88
        .size:           2
        .value_kind:     hidden_grid_dims
    .group_segment_fixed_size: 1024
    .kernarg_segment_align: 8
    .kernarg_segment_size: 280
    .language:       OpenCL C
    .language_version:
      - 2
      - 0
    .max_flat_workgroup_size: 256
    .name:           _ZN9rocsparseL25csrgemm_max_row_nnz_part1ILj256EiiEEvT1_PKT0_PS1_
    .private_segment_fixed_size: 0
    .sgpr_count:     15
    .sgpr_spill_count: 0
    .symbol:         _ZN9rocsparseL25csrgemm_max_row_nnz_part1ILj256EiiEEvT1_PKT0_PS1_.kd
    .uniform_work_group_size: 1
    .uses_dynamic_stack: false
    .vgpr_count:     8
    .vgpr_spill_count: 0
    .wavefront_size: 64
  - .agpr_count:     0
    .args:
      - .address_space:  global
        .offset:         0
        .size:           8
        .value_kind:     global_buffer
    .group_segment_fixed_size: 1024
    .kernarg_segment_align: 8
    .kernarg_segment_size: 8
    .language:       OpenCL C
    .language_version:
      - 2
      - 0
    .max_flat_workgroup_size: 256
    .name:           _ZN9rocsparseL25csrgemm_max_row_nnz_part2ILj256EiEEvPT0_
    .private_segment_fixed_size: 0
    .sgpr_count:     10
    .sgpr_spill_count: 0
    .symbol:         _ZN9rocsparseL25csrgemm_max_row_nnz_part2ILj256EiEEvPT0_.kd
    .uniform_work_group_size: 1
    .uses_dynamic_stack: false
    .vgpr_count:     4
    .vgpr_spill_count: 0
    .wavefront_size: 64
  - .agpr_count:     0
    .args:
      - .offset:         0
        .size:           4
        .value_kind:     by_value
      - .actual_access:  read_only
        .address_space:  global
        .offset:         8
        .size:           8
        .value_kind:     global_buffer
      - .actual_access:  write_only
        .address_space:  global
        .offset:         16
        .size:           8
        .value_kind:     global_buffer
      - .actual_access:  write_only
        .address_space:  global
        .offset:         24
        .size:           8
        .value_kind:     global_buffer
      - .offset:         32
        .size:           4
        .value_kind:     hidden_block_count_x
      - .offset:         36
        .size:           4
        .value_kind:     hidden_block_count_y
      - .offset:         40
        .size:           4
        .value_kind:     hidden_block_count_z
      - .offset:         44
        .size:           2
        .value_kind:     hidden_group_size_x
      - .offset:         46
        .size:           2
        .value_kind:     hidden_group_size_y
      - .offset:         48
        .size:           2
        .value_kind:     hidden_group_size_z
      - .offset:         50
        .size:           2
        .value_kind:     hidden_remainder_x
      - .offset:         52
        .size:           2
        .value_kind:     hidden_remainder_y
      - .offset:         54
        .size:           2
        .value_kind:     hidden_remainder_z
      - .offset:         72
        .size:           8
        .value_kind:     hidden_global_offset_x
      - .offset:         80
        .size:           8
        .value_kind:     hidden_global_offset_y
      - .offset:         88
        .size:           8
        .value_kind:     hidden_global_offset_z
      - .offset:         96
        .size:           2
        .value_kind:     hidden_grid_dims
    .group_segment_fixed_size: 8192
    .kernarg_segment_align: 8
    .kernarg_segment_size: 288
    .language:       OpenCL C
    .language_version:
      - 2
      - 0
    .max_flat_workgroup_size: 256
    .name:           _ZN9rocsparseL26bsrgemm_group_reduce_part2ILj256ELj8ELj2EfiiEEvT4_PKT3_PS1_Pi
    .private_segment_fixed_size: 0
    .sgpr_count:     33
    .sgpr_spill_count: 0
    .symbol:         _ZN9rocsparseL26bsrgemm_group_reduce_part2ILj256ELj8ELj2EfiiEEvT4_PKT3_PS1_Pi.kd
    .uniform_work_group_size: 1
    .uses_dynamic_stack: false
    .vgpr_count:     18
    .vgpr_spill_count: 0
    .wavefront_size: 64
  - .agpr_count:     0
    .args:
      - .offset:         0
        .size:           4
        .value_kind:     by_value
      - .actual_access:  read_only
        .address_space:  global
        .offset:         8
        .size:           8
        .value_kind:     global_buffer
      - .actual_access:  write_only
        .address_space:  global
        .offset:         16
        .size:           8
        .value_kind:     global_buffer
      - .actual_access:  write_only
        .address_space:  global
        .offset:         24
        .size:           8
        .value_kind:     global_buffer
      - .offset:         32
        .size:           4
        .value_kind:     hidden_block_count_x
      - .offset:         36
        .size:           4
        .value_kind:     hidden_block_count_y
      - .offset:         40
        .size:           4
        .value_kind:     hidden_block_count_z
      - .offset:         44
        .size:           2
        .value_kind:     hidden_group_size_x
      - .offset:         46
        .size:           2
        .value_kind:     hidden_group_size_y
      - .offset:         48
        .size:           2
        .value_kind:     hidden_group_size_z
      - .offset:         50
        .size:           2
        .value_kind:     hidden_remainder_x
      - .offset:         52
        .size:           2
        .value_kind:     hidden_remainder_y
      - .offset:         54
        .size:           2
        .value_kind:     hidden_remainder_z
      - .offset:         72
        .size:           8
        .value_kind:     hidden_global_offset_x
      - .offset:         80
        .size:           8
        .value_kind:     hidden_global_offset_y
      - .offset:         88
        .size:           8
        .value_kind:     hidden_global_offset_z
      - .offset:         96
        .size:           2
        .value_kind:     hidden_grid_dims
    .group_segment_fixed_size: 8192
    .kernarg_segment_align: 8
    .kernarg_segment_size: 288
    .language:       OpenCL C
    .language_version:
      - 2
      - 0
    .max_flat_workgroup_size: 256
    .name:           _ZN9rocsparseL26bsrgemm_group_reduce_part2ILj256ELj8ELj8EfiiEEvT4_PKT3_PS1_Pi
    .private_segment_fixed_size: 0
    .sgpr_count:     33
    .sgpr_spill_count: 0
    .symbol:         _ZN9rocsparseL26bsrgemm_group_reduce_part2ILj256ELj8ELj8EfiiEEvT4_PKT3_PS1_Pi.kd
    .uniform_work_group_size: 1
    .uses_dynamic_stack: false
    .vgpr_count:     18
    .vgpr_spill_count: 0
    .wavefront_size: 64
  - .agpr_count:     0
    .args:
      - .address_space:  global
        .offset:         0
        .size:           8
        .value_kind:     global_buffer
    .group_segment_fixed_size: 8192
    .kernarg_segment_align: 8
    .kernarg_segment_size: 8
    .language:       OpenCL C
    .language_version:
      - 2
      - 0
    .max_flat_workgroup_size: 256
    .name:           _ZN9rocsparseL26bsrgemm_group_reduce_part3ILj256ELj8EiEEvPT1_
    .private_segment_fixed_size: 0
    .sgpr_count:     10
    .sgpr_spill_count: 0
    .symbol:         _ZN9rocsparseL26bsrgemm_group_reduce_part3ILj256ELj8EiEEvPT1_.kd
    .uniform_work_group_size: 1
    .uses_dynamic_stack: false
    .vgpr_count:     22
    .vgpr_spill_count: 0
    .wavefront_size: 64
  - .agpr_count:     0
    .args:
      - .offset:         0
        .size:           4
        .value_kind:     by_value
      - .offset:         4
        .size:           4
        .value_kind:     by_value
      - .offset:         8
        .size:           4
        .value_kind:     by_value
      - .actual_access:  read_only
        .address_space:  global
        .offset:         16
        .size:           8
        .value_kind:     global_buffer
      - .actual_access:  read_only
        .address_space:  global
        .offset:         24
        .size:           8
        .value_kind:     global_buffer
      - .offset:         32
        .size:           8
        .value_kind:     by_value
      - .actual_access:  read_only
        .address_space:  global
        .offset:         40
        .size:           8
        .value_kind:     global_buffer
      - .actual_access:  read_only
        .address_space:  global
        .offset:         48
        .size:           8
        .value_kind:     global_buffer
      - .actual_access:  read_only
        .address_space:  global
        .offset:         56
        .size:           8
        .value_kind:     global_buffer
      - .actual_access:  read_only
        .address_space:  global
        .offset:         64
        .size:           8
        .value_kind:     global_buffer
      - .actual_access:  read_only
        .address_space:  global
        .offset:         72
        .size:           8
        .value_kind:     global_buffer
      - .actual_access:  read_only
        .address_space:  global
        .offset:         80
        .size:           8
        .value_kind:     global_buffer
      - .offset:         88
        .size:           8
        .value_kind:     by_value
      - .actual_access:  read_only
        .address_space:  global
        .offset:         96
        .size:           8
        .value_kind:     global_buffer
      - .actual_access:  read_only
        .address_space:  global
        .offset:         104
        .size:           8
        .value_kind:     global_buffer
      - .actual_access:  read_only
        .address_space:  global
        .offset:         112
        .size:           8
        .value_kind:     global_buffer
      - .actual_access:  read_only
        .address_space:  global
        .offset:         120
        .size:           8
        .value_kind:     global_buffer
      - .actual_access:  write_only
        .address_space:  global
        .offset:         128
        .size:           8
        .value_kind:     global_buffer
      - .actual_access:  write_only
        .address_space:  global
        .offset:         136
        .size:           8
        .value_kind:     global_buffer
      - .offset:         144
        .size:           4
        .value_kind:     by_value
      - .offset:         148
        .size:           4
        .value_kind:     by_value
      - .offset:         152
        .size:           4
        .value_kind:     by_value
      - .offset:         156
        .size:           4
        .value_kind:     by_value
      - .offset:         160
        .size:           1
        .value_kind:     by_value
      - .offset:         161
        .size:           1
        .value_kind:     by_value
      - .offset:         162
        .size:           1
        .value_kind:     by_value
    .group_segment_fixed_size: 2560
    .kernarg_segment_align: 8
    .kernarg_segment_size: 164
    .language:       OpenCL C
    .language_version:
      - 2
      - 0
    .max_flat_workgroup_size: 256
    .name:           _ZN9rocsparseL27bsrgemm_fill_wf_per_row_2x2ILj256ELj16ELj8ELj137EiifEEv20rocsparse_direction_T4_S2_PKS2_S4_NS_24const_host_device_scalarIT5_EEPKT3_S4_PKS6_SA_S4_SC_S7_SA_S4_SC_SA_PS2_PS6_21rocsparse_index_base_SF_SF_SF_bbb
    .private_segment_fixed_size: 0
    .sgpr_count:     50
    .sgpr_spill_count: 0
    .symbol:         _ZN9rocsparseL27bsrgemm_fill_wf_per_row_2x2ILj256ELj16ELj8ELj137EiifEEv20rocsparse_direction_T4_S2_PKS2_S4_NS_24const_host_device_scalarIT5_EEPKT3_S4_PKS6_SA_S4_SC_S7_SA_S4_SC_SA_PS2_PS6_21rocsparse_index_base_SF_SF_SF_bbb.kd
    .uniform_work_group_size: 1
    .uses_dynamic_stack: false
    .vgpr_count:     32
    .vgpr_spill_count: 0
    .wavefront_size: 64
  - .agpr_count:     0
    .args:
      - .offset:         0
        .size:           4
        .value_kind:     by_value
      - .offset:         4
        .size:           4
        .value_kind:     by_value
      - .offset:         8
        .size:           4
        .value_kind:     by_value
      - .actual_access:  read_only
        .address_space:  global
        .offset:         16
        .size:           8
        .value_kind:     global_buffer
      - .actual_access:  read_only
        .address_space:  global
        .offset:         24
        .size:           8
        .value_kind:     global_buffer
      - .offset:         32
        .size:           8
        .value_kind:     by_value
      - .actual_access:  read_only
        .address_space:  global
        .offset:         40
        .size:           8
        .value_kind:     global_buffer
      - .actual_access:  read_only
        .address_space:  global
        .offset:         48
        .size:           8
        .value_kind:     global_buffer
      - .actual_access:  read_only
        .address_space:  global
        .offset:         56
        .size:           8
        .value_kind:     global_buffer
      - .actual_access:  read_only
        .address_space:  global
        .offset:         64
        .size:           8
        .value_kind:     global_buffer
      - .actual_access:  read_only
        .address_space:  global
        .offset:         72
        .size:           8
        .value_kind:     global_buffer
      - .actual_access:  read_only
        .address_space:  global
        .offset:         80
        .size:           8
        .value_kind:     global_buffer
      - .offset:         88
        .size:           8
        .value_kind:     by_value
      - .actual_access:  read_only
        .address_space:  global
        .offset:         96
        .size:           8
        .value_kind:     global_buffer
      - .actual_access:  read_only
        .address_space:  global
        .offset:         104
        .size:           8
        .value_kind:     global_buffer
      - .actual_access:  read_only
        .address_space:  global
        .offset:         112
        .size:           8
        .value_kind:     global_buffer
      - .actual_access:  read_only
        .address_space:  global
        .offset:         120
        .size:           8
        .value_kind:     global_buffer
      - .actual_access:  write_only
        .address_space:  global
        .offset:         128
        .size:           8
        .value_kind:     global_buffer
      - .actual_access:  write_only
        .address_space:  global
        .offset:         136
        .size:           8
        .value_kind:     global_buffer
      - .offset:         144
        .size:           4
        .value_kind:     by_value
      - .offset:         148
        .size:           4
        .value_kind:     by_value
      - .offset:         152
        .size:           4
        .value_kind:     by_value
      - .offset:         156
        .size:           4
        .value_kind:     by_value
      - .offset:         160
        .size:           1
        .value_kind:     by_value
      - .offset:         161
        .size:           1
        .value_kind:     by_value
      - .offset:         162
        .size:           1
        .value_kind:     by_value
    .group_segment_fixed_size: 5120
    .kernarg_segment_align: 8
    .kernarg_segment_size: 164
    .language:       OpenCL C
    .language_version:
      - 2
      - 0
    .max_flat_workgroup_size: 256
    .name:           _ZN9rocsparseL27bsrgemm_fill_wf_per_row_2x2ILj256ELj16ELj16ELj137EiifEEv20rocsparse_direction_T4_S2_PKS2_S4_NS_24const_host_device_scalarIT5_EEPKT3_S4_PKS6_SA_S4_SC_S7_SA_S4_SC_SA_PS2_PS6_21rocsparse_index_base_SF_SF_SF_bbb
    .private_segment_fixed_size: 0
    .sgpr_count:     48
    .sgpr_spill_count: 0
    .symbol:         _ZN9rocsparseL27bsrgemm_fill_wf_per_row_2x2ILj256ELj16ELj16ELj137EiifEEv20rocsparse_direction_T4_S2_PKS2_S4_NS_24const_host_device_scalarIT5_EEPKT3_S4_PKS6_SA_S4_SC_S7_SA_S4_SC_SA_PS2_PS6_21rocsparse_index_base_SF_SF_SF_bbb.kd
    .uniform_work_group_size: 1
    .uses_dynamic_stack: false
    .vgpr_count:     34
    .vgpr_spill_count: 0
    .wavefront_size: 64
  - .agpr_count:     0
    .args:
      - .offset:         0
        .size:           4
        .value_kind:     by_value
      - .offset:         4
        .size:           4
        .value_kind:     by_value
      - .offset:         8
        .size:           4
        .value_kind:     by_value
      - .actual_access:  read_only
        .address_space:  global
        .offset:         16
        .size:           8
        .value_kind:     global_buffer
      - .actual_access:  read_only
        .address_space:  global
        .offset:         24
        .size:           8
        .value_kind:     global_buffer
      - .offset:         32
        .size:           8
        .value_kind:     by_value
      - .actual_access:  read_only
        .address_space:  global
        .offset:         40
        .size:           8
        .value_kind:     global_buffer
      - .actual_access:  read_only
        .address_space:  global
        .offset:         48
        .size:           8
        .value_kind:     global_buffer
      - .actual_access:  read_only
        .address_space:  global
        .offset:         56
        .size:           8
        .value_kind:     global_buffer
      - .actual_access:  read_only
        .address_space:  global
        .offset:         64
        .size:           8
        .value_kind:     global_buffer
      - .actual_access:  read_only
        .address_space:  global
        .offset:         72
        .size:           8
        .value_kind:     global_buffer
      - .actual_access:  read_only
        .address_space:  global
        .offset:         80
        .size:           8
        .value_kind:     global_buffer
      - .offset:         88
        .size:           8
        .value_kind:     by_value
      - .actual_access:  read_only
        .address_space:  global
        .offset:         96
        .size:           8
        .value_kind:     global_buffer
      - .actual_access:  read_only
        .address_space:  global
        .offset:         104
        .size:           8
        .value_kind:     global_buffer
      - .actual_access:  read_only
        .address_space:  global
        .offset:         112
        .size:           8
        .value_kind:     global_buffer
      - .actual_access:  read_only
        .address_space:  global
        .offset:         120
        .size:           8
        .value_kind:     global_buffer
      - .actual_access:  write_only
        .address_space:  global
        .offset:         128
        .size:           8
        .value_kind:     global_buffer
      - .actual_access:  write_only
        .address_space:  global
        .offset:         136
        .size:           8
        .value_kind:     global_buffer
      - .offset:         144
        .size:           4
        .value_kind:     by_value
      - .offset:         148
        .size:           4
        .value_kind:     by_value
      - .offset:         152
        .size:           4
        .value_kind:     by_value
      - .offset:         156
        .size:           4
        .value_kind:     by_value
      - .offset:         160
        .size:           1
        .value_kind:     by_value
      - .offset:         161
        .size:           1
        .value_kind:     by_value
      - .offset:         162
        .size:           1
        .value_kind:     by_value
    .group_segment_fixed_size: 10240
    .kernarg_segment_align: 8
    .kernarg_segment_size: 164
    .language:       OpenCL C
    .language_version:
      - 2
      - 0
    .max_flat_workgroup_size: 256
    .name:           _ZN9rocsparseL27bsrgemm_fill_wf_per_row_2x2ILj256ELj16ELj32ELj137EiifEEv20rocsparse_direction_T4_S2_PKS2_S4_NS_24const_host_device_scalarIT5_EEPKT3_S4_PKS6_SA_S4_SC_S7_SA_S4_SC_SA_PS2_PS6_21rocsparse_index_base_SF_SF_SF_bbb
    .private_segment_fixed_size: 0
    .sgpr_count:     50
    .sgpr_spill_count: 0
    .symbol:         _ZN9rocsparseL27bsrgemm_fill_wf_per_row_2x2ILj256ELj16ELj32ELj137EiifEEv20rocsparse_direction_T4_S2_PKS2_S4_NS_24const_host_device_scalarIT5_EEPKT3_S4_PKS6_SA_S4_SC_S7_SA_S4_SC_SA_PS2_PS6_21rocsparse_index_base_SF_SF_SF_bbb.kd
    .uniform_work_group_size: 1
    .uses_dynamic_stack: false
    .vgpr_count:     34
    .vgpr_spill_count: 0
    .wavefront_size: 64
  - .agpr_count:     0
    .args:
      - .offset:         0
        .size:           4
        .value_kind:     by_value
      - .offset:         4
        .size:           4
        .value_kind:     by_value
      - .offset:         8
        .size:           4
        .value_kind:     by_value
      - .actual_access:  read_only
        .address_space:  global
        .offset:         16
        .size:           8
        .value_kind:     global_buffer
      - .actual_access:  read_only
        .address_space:  global
        .offset:         24
        .size:           8
        .value_kind:     global_buffer
      - .offset:         32
        .size:           8
        .value_kind:     by_value
      - .actual_access:  read_only
        .address_space:  global
        .offset:         40
        .size:           8
        .value_kind:     global_buffer
      - .actual_access:  read_only
        .address_space:  global
        .offset:         48
        .size:           8
        .value_kind:     global_buffer
      - .actual_access:  read_only
        .address_space:  global
        .offset:         56
        .size:           8
        .value_kind:     global_buffer
      - .actual_access:  read_only
        .address_space:  global
        .offset:         64
        .size:           8
        .value_kind:     global_buffer
      - .actual_access:  read_only
        .address_space:  global
        .offset:         72
        .size:           8
        .value_kind:     global_buffer
      - .actual_access:  read_only
        .address_space:  global
        .offset:         80
        .size:           8
        .value_kind:     global_buffer
      - .offset:         88
        .size:           8
        .value_kind:     by_value
      - .actual_access:  read_only
        .address_space:  global
        .offset:         96
        .size:           8
        .value_kind:     global_buffer
      - .actual_access:  read_only
        .address_space:  global
        .offset:         104
        .size:           8
        .value_kind:     global_buffer
      - .actual_access:  read_only
        .address_space:  global
        .offset:         112
        .size:           8
        .value_kind:     global_buffer
      - .actual_access:  read_only
        .address_space:  global
        .offset:         120
        .size:           8
        .value_kind:     global_buffer
      - .actual_access:  write_only
        .address_space:  global
        .offset:         128
        .size:           8
        .value_kind:     global_buffer
      - .actual_access:  write_only
        .address_space:  global
        .offset:         136
        .size:           8
        .value_kind:     global_buffer
      - .offset:         144
        .size:           4
        .value_kind:     by_value
      - .offset:         148
        .size:           4
        .value_kind:     by_value
      - .offset:         152
        .size:           4
        .value_kind:     by_value
      - .offset:         156
        .size:           4
        .value_kind:     by_value
      - .offset:         160
        .size:           1
        .value_kind:     by_value
      - .offset:         161
        .size:           1
        .value_kind:     by_value
      - .offset:         162
        .size:           1
        .value_kind:     by_value
    .group_segment_fixed_size: 0
    .kernarg_segment_align: 8
    .kernarg_segment_size: 164
    .language:       OpenCL C
    .language_version:
      - 2
      - 0
    .max_flat_workgroup_size: 256
    .name:           _ZN9rocsparseL30bsrgemm_fill_block_per_row_2x2ILj256ELj16ELj64ELj137EiifEEv20rocsparse_direction_T4_S2_PKS2_S4_NS_24const_host_device_scalarIT5_EEPKT3_S4_PKS6_SA_S4_SC_S7_SA_S4_SC_SA_PS2_PS6_21rocsparse_index_base_SF_SF_SF_bbb
    .private_segment_fixed_size: 0
    .sgpr_count:     52
    .sgpr_spill_count: 0
    .symbol:         _ZN9rocsparseL30bsrgemm_fill_block_per_row_2x2ILj256ELj16ELj64ELj137EiifEEv20rocsparse_direction_T4_S2_PKS2_S4_NS_24const_host_device_scalarIT5_EEPKT3_S4_PKS6_SA_S4_SC_S7_SA_S4_SC_SA_PS2_PS6_21rocsparse_index_base_SF_SF_SF_bbb.kd
    .uniform_work_group_size: 1
    .uses_dynamic_stack: false
    .vgpr_count:     26
    .vgpr_spill_count: 0
    .wavefront_size: 64
  - .agpr_count:     0
    .args:
      - .offset:         0
        .size:           4
        .value_kind:     by_value
      - .offset:         4
        .size:           4
        .value_kind:     by_value
      - .offset:         8
        .size:           4
        .value_kind:     by_value
      - .actual_access:  read_only
        .address_space:  global
        .offset:         16
        .size:           8
        .value_kind:     global_buffer
      - .actual_access:  read_only
        .address_space:  global
        .offset:         24
        .size:           8
        .value_kind:     global_buffer
      - .offset:         32
        .size:           8
        .value_kind:     by_value
      - .actual_access:  read_only
        .address_space:  global
        .offset:         40
        .size:           8
        .value_kind:     global_buffer
      - .actual_access:  read_only
        .address_space:  global
        .offset:         48
        .size:           8
        .value_kind:     global_buffer
      - .actual_access:  read_only
        .address_space:  global
        .offset:         56
        .size:           8
        .value_kind:     global_buffer
      - .actual_access:  read_only
        .address_space:  global
        .offset:         64
        .size:           8
        .value_kind:     global_buffer
      - .actual_access:  read_only
        .address_space:  global
        .offset:         72
        .size:           8
        .value_kind:     global_buffer
      - .actual_access:  read_only
        .address_space:  global
        .offset:         80
        .size:           8
        .value_kind:     global_buffer
      - .offset:         88
        .size:           8
        .value_kind:     by_value
      - .actual_access:  read_only
        .address_space:  global
        .offset:         96
        .size:           8
        .value_kind:     global_buffer
      - .actual_access:  read_only
        .address_space:  global
        .offset:         104
        .size:           8
        .value_kind:     global_buffer
      - .actual_access:  read_only
        .address_space:  global
        .offset:         112
        .size:           8
        .value_kind:     global_buffer
      - .actual_access:  read_only
        .address_space:  global
        .offset:         120
        .size:           8
        .value_kind:     global_buffer
      - .actual_access:  write_only
        .address_space:  global
        .offset:         128
        .size:           8
        .value_kind:     global_buffer
      - .actual_access:  write_only
        .address_space:  global
        .offset:         136
        .size:           8
        .value_kind:     global_buffer
      - .offset:         144
        .size:           4
        .value_kind:     by_value
      - .offset:         148
        .size:           4
        .value_kind:     by_value
      - .offset:         152
        .size:           4
        .value_kind:     by_value
      - .offset:         156
        .size:           4
        .value_kind:     by_value
      - .offset:         160
        .size:           1
        .value_kind:     by_value
      - .offset:         161
        .size:           1
        .value_kind:     by_value
      - .offset:         162
        .size:           1
        .value_kind:     by_value
    .group_segment_fixed_size: 0
    .kernarg_segment_align: 8
    .kernarg_segment_size: 164
    .language:       OpenCL C
    .language_version:
      - 2
      - 0
    .max_flat_workgroup_size: 256
    .name:           _ZN9rocsparseL30bsrgemm_fill_block_per_row_2x2ILj256ELj16ELj128ELj137EiifEEv20rocsparse_direction_T4_S2_PKS2_S4_NS_24const_host_device_scalarIT5_EEPKT3_S4_PKS6_SA_S4_SC_S7_SA_S4_SC_SA_PS2_PS6_21rocsparse_index_base_SF_SF_SF_bbb
    .private_segment_fixed_size: 0
    .sgpr_count:     62
    .sgpr_spill_count: 0
    .symbol:         _ZN9rocsparseL30bsrgemm_fill_block_per_row_2x2ILj256ELj16ELj128ELj137EiifEEv20rocsparse_direction_T4_S2_PKS2_S4_NS_24const_host_device_scalarIT5_EEPKT3_S4_PKS6_SA_S4_SC_S7_SA_S4_SC_SA_PS2_PS6_21rocsparse_index_base_SF_SF_SF_bbb.kd
    .uniform_work_group_size: 1
    .uses_dynamic_stack: false
    .vgpr_count:     26
    .vgpr_spill_count: 0
    .wavefront_size: 64
  - .agpr_count:     0
    .args:
      - .offset:         0
        .size:           4
        .value_kind:     by_value
      - .offset:         4
        .size:           4
        .value_kind:     by_value
      - .offset:         8
        .size:           4
        .value_kind:     by_value
      - .actual_access:  read_only
        .address_space:  global
        .offset:         16
        .size:           8
        .value_kind:     global_buffer
      - .actual_access:  read_only
        .address_space:  global
        .offset:         24
        .size:           8
        .value_kind:     global_buffer
      - .offset:         32
        .size:           8
        .value_kind:     by_value
      - .actual_access:  read_only
        .address_space:  global
        .offset:         40
        .size:           8
        .value_kind:     global_buffer
      - .actual_access:  read_only
        .address_space:  global
        .offset:         48
        .size:           8
        .value_kind:     global_buffer
      - .actual_access:  read_only
        .address_space:  global
        .offset:         56
        .size:           8
        .value_kind:     global_buffer
      - .actual_access:  read_only
        .address_space:  global
        .offset:         64
        .size:           8
        .value_kind:     global_buffer
      - .actual_access:  read_only
        .address_space:  global
        .offset:         72
        .size:           8
        .value_kind:     global_buffer
      - .actual_access:  read_only
        .address_space:  global
        .offset:         80
        .size:           8
        .value_kind:     global_buffer
      - .offset:         88
        .size:           8
        .value_kind:     by_value
      - .actual_access:  read_only
        .address_space:  global
        .offset:         96
        .size:           8
        .value_kind:     global_buffer
      - .actual_access:  read_only
        .address_space:  global
        .offset:         104
        .size:           8
        .value_kind:     global_buffer
      - .actual_access:  read_only
        .address_space:  global
        .offset:         112
        .size:           8
        .value_kind:     global_buffer
      - .actual_access:  read_only
        .address_space:  global
        .offset:         120
        .size:           8
        .value_kind:     global_buffer
      - .actual_access:  write_only
        .address_space:  global
        .offset:         128
        .size:           8
        .value_kind:     global_buffer
      - .actual_access:  write_only
        .address_space:  global
        .offset:         136
        .size:           8
        .value_kind:     global_buffer
      - .offset:         144
        .size:           4
        .value_kind:     by_value
      - .offset:         148
        .size:           4
        .value_kind:     by_value
      - .offset:         152
        .size:           4
        .value_kind:     by_value
      - .offset:         156
        .size:           4
        .value_kind:     by_value
      - .offset:         160
        .size:           1
        .value_kind:     by_value
      - .offset:         161
        .size:           1
        .value_kind:     by_value
      - .offset:         162
        .size:           1
        .value_kind:     by_value
    .group_segment_fixed_size: 0
    .kernarg_segment_align: 8
    .kernarg_segment_size: 164
    .language:       OpenCL C
    .language_version:
      - 2
      - 0
    .max_flat_workgroup_size: 256
    .name:           _ZN9rocsparseL30bsrgemm_fill_block_per_row_2x2ILj256ELj16ELj256ELj137EiifEEv20rocsparse_direction_T4_S2_PKS2_S4_NS_24const_host_device_scalarIT5_EEPKT3_S4_PKS6_SA_S4_SC_S7_SA_S4_SC_SA_PS2_PS6_21rocsparse_index_base_SF_SF_SF_bbb
    .private_segment_fixed_size: 0
    .sgpr_count:     62
    .sgpr_spill_count: 0
    .symbol:         _ZN9rocsparseL30bsrgemm_fill_block_per_row_2x2ILj256ELj16ELj256ELj137EiifEEv20rocsparse_direction_T4_S2_PKS2_S4_NS_24const_host_device_scalarIT5_EEPKT3_S4_PKS6_SA_S4_SC_S7_SA_S4_SC_SA_PS2_PS6_21rocsparse_index_base_SF_SF_SF_bbb.kd
    .uniform_work_group_size: 1
    .uses_dynamic_stack: false
    .vgpr_count:     42
    .vgpr_spill_count: 0
    .wavefront_size: 64
  - .agpr_count:     0
    .args:
      - .offset:         0
        .size:           4
        .value_kind:     by_value
      - .offset:         4
        .size:           4
        .value_kind:     by_value
      - .offset:         8
        .size:           4
        .value_kind:     by_value
      - .actual_access:  read_only
        .address_space:  global
        .offset:         16
        .size:           8
        .value_kind:     global_buffer
      - .actual_access:  read_only
        .address_space:  global
        .offset:         24
        .size:           8
        .value_kind:     global_buffer
      - .offset:         32
        .size:           8
        .value_kind:     by_value
      - .actual_access:  read_only
        .address_space:  global
        .offset:         40
        .size:           8
        .value_kind:     global_buffer
      - .actual_access:  read_only
        .address_space:  global
        .offset:         48
        .size:           8
        .value_kind:     global_buffer
      - .actual_access:  read_only
        .address_space:  global
        .offset:         56
        .size:           8
        .value_kind:     global_buffer
      - .actual_access:  read_only
        .address_space:  global
        .offset:         64
        .size:           8
        .value_kind:     global_buffer
      - .actual_access:  read_only
        .address_space:  global
        .offset:         72
        .size:           8
        .value_kind:     global_buffer
      - .actual_access:  read_only
        .address_space:  global
        .offset:         80
        .size:           8
        .value_kind:     global_buffer
      - .offset:         88
        .size:           8
        .value_kind:     by_value
      - .actual_access:  read_only
        .address_space:  global
        .offset:         96
        .size:           8
        .value_kind:     global_buffer
      - .actual_access:  read_only
        .address_space:  global
        .offset:         104
        .size:           8
        .value_kind:     global_buffer
      - .actual_access:  read_only
        .address_space:  global
        .offset:         112
        .size:           8
        .value_kind:     global_buffer
      - .actual_access:  read_only
        .address_space:  global
        .offset:         120
        .size:           8
        .value_kind:     global_buffer
      - .actual_access:  write_only
        .address_space:  global
        .offset:         128
        .size:           8
        .value_kind:     global_buffer
      - .actual_access:  write_only
        .address_space:  global
        .offset:         136
        .size:           8
        .value_kind:     global_buffer
      - .offset:         144
        .size:           4
        .value_kind:     by_value
      - .offset:         148
        .size:           4
        .value_kind:     by_value
      - .offset:         152
        .size:           4
        .value_kind:     by_value
      - .offset:         156
        .size:           4
        .value_kind:     by_value
      - .offset:         160
        .size:           1
        .value_kind:     by_value
      - .offset:         161
        .size:           1
        .value_kind:     by_value
      - .offset:         162
        .size:           1
        .value_kind:     by_value
    .group_segment_fixed_size: 0
    .kernarg_segment_align: 8
    .kernarg_segment_size: 164
    .language:       OpenCL C
    .language_version:
      - 2
      - 0
    .max_flat_workgroup_size: 256
    .name:           _ZN9rocsparseL30bsrgemm_fill_block_per_row_2x2ILj256ELj16ELj512ELj137EiifEEv20rocsparse_direction_T4_S2_PKS2_S4_NS_24const_host_device_scalarIT5_EEPKT3_S4_PKS6_SA_S4_SC_S7_SA_S4_SC_SA_PS2_PS6_21rocsparse_index_base_SF_SF_SF_bbb
    .private_segment_fixed_size: 0
    .sgpr_count:     62
    .sgpr_spill_count: 0
    .symbol:         _ZN9rocsparseL30bsrgemm_fill_block_per_row_2x2ILj256ELj16ELj512ELj137EiifEEv20rocsparse_direction_T4_S2_PKS2_S4_NS_24const_host_device_scalarIT5_EEPKT3_S4_PKS6_SA_S4_SC_S7_SA_S4_SC_SA_PS2_PS6_21rocsparse_index_base_SF_SF_SF_bbb.kd
    .uniform_work_group_size: 1
    .uses_dynamic_stack: false
    .vgpr_count:     38
    .vgpr_spill_count: 0
    .wavefront_size: 64
  - .agpr_count:     0
    .args:
      - .offset:         0
        .size:           4
        .value_kind:     by_value
      - .offset:         4
        .size:           4
        .value_kind:     by_value
      - .offset:         8
        .size:           4
        .value_kind:     by_value
      - .actual_access:  read_only
        .address_space:  global
        .offset:         16
        .size:           8
        .value_kind:     global_buffer
      - .actual_access:  read_only
        .address_space:  global
        .offset:         24
        .size:           8
        .value_kind:     global_buffer
      - .offset:         32
        .size:           8
        .value_kind:     by_value
      - .actual_access:  read_only
        .address_space:  global
        .offset:         40
        .size:           8
        .value_kind:     global_buffer
      - .actual_access:  read_only
        .address_space:  global
        .offset:         48
        .size:           8
        .value_kind:     global_buffer
      - .actual_access:  read_only
        .address_space:  global
        .offset:         56
        .size:           8
        .value_kind:     global_buffer
      - .actual_access:  read_only
        .address_space:  global
        .offset:         64
        .size:           8
        .value_kind:     global_buffer
      - .actual_access:  read_only
        .address_space:  global
        .offset:         72
        .size:           8
        .value_kind:     global_buffer
      - .actual_access:  read_only
        .address_space:  global
        .offset:         80
        .size:           8
        .value_kind:     global_buffer
      - .offset:         88
        .size:           8
        .value_kind:     by_value
      - .actual_access:  read_only
        .address_space:  global
        .offset:         96
        .size:           8
        .value_kind:     global_buffer
      - .actual_access:  read_only
        .address_space:  global
        .offset:         104
        .size:           8
        .value_kind:     global_buffer
      - .actual_access:  read_only
        .address_space:  global
        .offset:         112
        .size:           8
        .value_kind:     global_buffer
      - .actual_access:  read_only
        .address_space:  global
        .offset:         120
        .size:           8
        .value_kind:     global_buffer
      - .actual_access:  write_only
        .address_space:  global
        .offset:         128
        .size:           8
        .value_kind:     global_buffer
      - .actual_access:  write_only
        .address_space:  global
        .offset:         136
        .size:           8
        .value_kind:     global_buffer
      - .address_space:  global
        .offset:         144
        .size:           8
        .value_kind:     global_buffer
      - .offset:         152
        .size:           4
        .value_kind:     by_value
      - .offset:         156
        .size:           4
        .value_kind:     by_value
      - .offset:         160
        .size:           4
        .value_kind:     by_value
      - .offset:         164
        .size:           4
        .value_kind:     by_value
      - .offset:         168
        .size:           1
        .value_kind:     by_value
      - .offset:         169
        .size:           1
        .value_kind:     by_value
      - .offset:         170
        .size:           1
        .value_kind:     by_value
    .group_segment_fixed_size: 6148
    .kernarg_segment_align: 8
    .kernarg_segment_size: 172
    .language:       OpenCL C
    .language_version:
      - 2
      - 0
    .max_flat_workgroup_size: 256
    .name:           _ZN9rocsparseL38bsrgemm_block_per_row_atomic_multipassILj256ELj256ELj2EiifEEv20rocsparse_direction_T3_S2_PKS2_S4_NS_24const_host_device_scalarIT4_EEPKT2_S4_PKS6_SA_S4_SC_S7_SA_S4_SC_SA_PS2_PS6_PS8_21rocsparse_index_base_SG_SG_SG_bbb
    .private_segment_fixed_size: 0
    .sgpr_count:     96
    .sgpr_spill_count: 0
    .symbol:         _ZN9rocsparseL38bsrgemm_block_per_row_atomic_multipassILj256ELj256ELj2EiifEEv20rocsparse_direction_T3_S2_PKS2_S4_NS_24const_host_device_scalarIT4_EEPKT2_S4_PKS6_SA_S4_SC_S7_SA_S4_SC_SA_PS2_PS6_PS8_21rocsparse_index_base_SG_SG_SG_bbb.kd
    .uniform_work_group_size: 1
    .uses_dynamic_stack: false
    .vgpr_count:     43
    .vgpr_spill_count: 0
    .wavefront_size: 64
  - .agpr_count:     0
    .args:
      - .offset:         0
        .size:           4
        .value_kind:     by_value
      - .offset:         4
        .size:           4
        .value_kind:     by_value
      - .offset:         8
        .size:           4
        .value_kind:     by_value
      - .offset:         12
        .size:           4
        .value_kind:     by_value
      - .actual_access:  read_only
        .address_space:  global
        .offset:         16
        .size:           8
        .value_kind:     global_buffer
      - .actual_access:  read_only
        .address_space:  global
        .offset:         24
        .size:           8
        .value_kind:     global_buffer
      - .offset:         32
        .size:           8
        .value_kind:     by_value
      - .actual_access:  read_only
        .address_space:  global
        .offset:         40
        .size:           8
        .value_kind:     global_buffer
      - .actual_access:  read_only
        .address_space:  global
        .offset:         48
        .size:           8
        .value_kind:     global_buffer
      - .actual_access:  read_only
        .address_space:  global
        .offset:         56
        .size:           8
        .value_kind:     global_buffer
      - .actual_access:  read_only
        .address_space:  global
        .offset:         64
        .size:           8
        .value_kind:     global_buffer
      - .actual_access:  read_only
        .address_space:  global
        .offset:         72
        .size:           8
        .value_kind:     global_buffer
      - .actual_access:  read_only
        .address_space:  global
        .offset:         80
        .size:           8
        .value_kind:     global_buffer
      - .offset:         88
        .size:           8
        .value_kind:     by_value
      - .actual_access:  read_only
        .address_space:  global
        .offset:         96
        .size:           8
        .value_kind:     global_buffer
      - .actual_access:  read_only
        .address_space:  global
        .offset:         104
        .size:           8
        .value_kind:     global_buffer
      - .actual_access:  read_only
        .address_space:  global
        .offset:         112
        .size:           8
        .value_kind:     global_buffer
      - .actual_access:  read_only
        .address_space:  global
        .offset:         120
        .size:           8
        .value_kind:     global_buffer
      - .actual_access:  write_only
        .address_space:  global
        .offset:         128
        .size:           8
        .value_kind:     global_buffer
      - .actual_access:  write_only
        .address_space:  global
        .offset:         136
        .size:           8
        .value_kind:     global_buffer
      - .offset:         144
        .size:           4
        .value_kind:     by_value
      - .offset:         148
        .size:           4
        .value_kind:     by_value
      - .offset:         152
        .size:           4
        .value_kind:     by_value
      - .offset:         156
        .size:           4
        .value_kind:     by_value
      - .offset:         160
        .size:           1
        .value_kind:     by_value
      - .offset:         161
        .size:           1
        .value_kind:     by_value
      - .offset:         162
        .size:           1
        .value_kind:     by_value
    .group_segment_fixed_size: 2176
    .kernarg_segment_align: 8
    .kernarg_segment_size: 164
    .language:       OpenCL C
    .language_version:
      - 2
      - 0
    .max_flat_workgroup_size: 256
    .name:           _ZN9rocsparseL23bsrgemm_fill_wf_per_rowILj256ELj64ELj8ELj137ELj4EiifEEv20rocsparse_direction_T5_S2_S2_PKS2_S4_NS_24const_host_device_scalarIT6_EEPKT4_S4_PKS6_SA_S4_SC_S7_SA_S4_SC_SA_PS2_PS6_21rocsparse_index_base_SF_SF_SF_bbb
    .private_segment_fixed_size: 0
    .sgpr_count:     58
    .sgpr_spill_count: 0
    .symbol:         _ZN9rocsparseL23bsrgemm_fill_wf_per_rowILj256ELj64ELj8ELj137ELj4EiifEEv20rocsparse_direction_T5_S2_S2_PKS2_S4_NS_24const_host_device_scalarIT6_EEPKT4_S4_PKS6_SA_S4_SC_S7_SA_S4_SC_SA_PS2_PS6_21rocsparse_index_base_SF_SF_SF_bbb.kd
    .uniform_work_group_size: 1
    .uses_dynamic_stack: false
    .vgpr_count:     34
    .vgpr_spill_count: 0
    .wavefront_size: 64
  - .agpr_count:     0
    .args:
      - .offset:         0
        .size:           4
        .value_kind:     by_value
      - .offset:         4
        .size:           4
        .value_kind:     by_value
      - .offset:         8
        .size:           4
        .value_kind:     by_value
      - .offset:         12
        .size:           4
        .value_kind:     by_value
      - .actual_access:  read_only
        .address_space:  global
        .offset:         16
        .size:           8
        .value_kind:     global_buffer
      - .actual_access:  read_only
        .address_space:  global
        .offset:         24
        .size:           8
        .value_kind:     global_buffer
      - .offset:         32
        .size:           8
        .value_kind:     by_value
      - .actual_access:  read_only
        .address_space:  global
        .offset:         40
        .size:           8
        .value_kind:     global_buffer
      - .actual_access:  read_only
        .address_space:  global
        .offset:         48
        .size:           8
        .value_kind:     global_buffer
      - .actual_access:  read_only
        .address_space:  global
        .offset:         56
        .size:           8
        .value_kind:     global_buffer
      - .actual_access:  read_only
        .address_space:  global
        .offset:         64
        .size:           8
        .value_kind:     global_buffer
      - .actual_access:  read_only
        .address_space:  global
        .offset:         72
        .size:           8
        .value_kind:     global_buffer
      - .actual_access:  read_only
        .address_space:  global
        .offset:         80
        .size:           8
        .value_kind:     global_buffer
      - .offset:         88
        .size:           8
        .value_kind:     by_value
      - .actual_access:  read_only
        .address_space:  global
        .offset:         96
        .size:           8
        .value_kind:     global_buffer
      - .actual_access:  read_only
        .address_space:  global
        .offset:         104
        .size:           8
        .value_kind:     global_buffer
      - .actual_access:  read_only
        .address_space:  global
        .offset:         112
        .size:           8
        .value_kind:     global_buffer
      - .actual_access:  read_only
        .address_space:  global
        .offset:         120
        .size:           8
        .value_kind:     global_buffer
      - .actual_access:  write_only
        .address_space:  global
        .offset:         128
        .size:           8
        .value_kind:     global_buffer
      - .actual_access:  write_only
        .address_space:  global
        .offset:         136
        .size:           8
        .value_kind:     global_buffer
      - .offset:         144
        .size:           4
        .value_kind:     by_value
      - .offset:         148
        .size:           4
        .value_kind:     by_value
      - .offset:         152
        .size:           4
        .value_kind:     by_value
      - .offset:         156
        .size:           4
        .value_kind:     by_value
      - .offset:         160
        .size:           1
        .value_kind:     by_value
      - .offset:         161
        .size:           1
        .value_kind:     by_value
      - .offset:         162
        .size:           1
        .value_kind:     by_value
    .group_segment_fixed_size: 4352
    .kernarg_segment_align: 8
    .kernarg_segment_size: 164
    .language:       OpenCL C
    .language_version:
      - 2
      - 0
    .max_flat_workgroup_size: 256
    .name:           _ZN9rocsparseL23bsrgemm_fill_wf_per_rowILj256ELj64ELj16ELj137ELj4EiifEEv20rocsparse_direction_T5_S2_S2_PKS2_S4_NS_24const_host_device_scalarIT6_EEPKT4_S4_PKS6_SA_S4_SC_S7_SA_S4_SC_SA_PS2_PS6_21rocsparse_index_base_SF_SF_SF_bbb
    .private_segment_fixed_size: 0
    .sgpr_count:     58
    .sgpr_spill_count: 0
    .symbol:         _ZN9rocsparseL23bsrgemm_fill_wf_per_rowILj256ELj64ELj16ELj137ELj4EiifEEv20rocsparse_direction_T5_S2_S2_PKS2_S4_NS_24const_host_device_scalarIT6_EEPKT4_S4_PKS6_SA_S4_SC_S7_SA_S4_SC_SA_PS2_PS6_21rocsparse_index_base_SF_SF_SF_bbb.kd
    .uniform_work_group_size: 1
    .uses_dynamic_stack: false
    .vgpr_count:     34
    .vgpr_spill_count: 0
    .wavefront_size: 64
  - .agpr_count:     0
    .args:
      - .offset:         0
        .size:           4
        .value_kind:     by_value
      - .offset:         4
        .size:           4
        .value_kind:     by_value
      - .offset:         8
        .size:           4
        .value_kind:     by_value
      - .actual_access:  read_only
        .address_space:  global
        .offset:         16
        .size:           8
        .value_kind:     global_buffer
      - .actual_access:  read_only
        .address_space:  global
        .offset:         24
        .size:           8
        .value_kind:     global_buffer
      - .offset:         32
        .size:           8
        .value_kind:     by_value
      - .actual_access:  read_only
        .address_space:  global
        .offset:         40
        .size:           8
        .value_kind:     global_buffer
      - .actual_access:  read_only
        .address_space:  global
        .offset:         48
        .size:           8
        .value_kind:     global_buffer
      - .actual_access:  read_only
        .address_space:  global
        .offset:         56
        .size:           8
        .value_kind:     global_buffer
      - .actual_access:  read_only
        .address_space:  global
        .offset:         64
        .size:           8
        .value_kind:     global_buffer
      - .actual_access:  read_only
        .address_space:  global
        .offset:         72
        .size:           8
        .value_kind:     global_buffer
      - .actual_access:  read_only
        .address_space:  global
        .offset:         80
        .size:           8
        .value_kind:     global_buffer
      - .offset:         88
        .size:           8
        .value_kind:     by_value
      - .actual_access:  read_only
        .address_space:  global
        .offset:         96
        .size:           8
        .value_kind:     global_buffer
      - .actual_access:  read_only
        .address_space:  global
        .offset:         104
        .size:           8
        .value_kind:     global_buffer
      - .actual_access:  read_only
        .address_space:  global
        .offset:         112
        .size:           8
        .value_kind:     global_buffer
      - .actual_access:  read_only
        .address_space:  global
        .offset:         120
        .size:           8
        .value_kind:     global_buffer
      - .actual_access:  write_only
        .address_space:  global
        .offset:         128
        .size:           8
        .value_kind:     global_buffer
      - .actual_access:  write_only
        .address_space:  global
        .offset:         136
        .size:           8
        .value_kind:     global_buffer
      - .address_space:  global
        .offset:         144
        .size:           8
        .value_kind:     global_buffer
      - .offset:         152
        .size:           4
        .value_kind:     by_value
      - .offset:         156
        .size:           4
        .value_kind:     by_value
      - .offset:         160
        .size:           4
        .value_kind:     by_value
      - .offset:         164
        .size:           4
        .value_kind:     by_value
      - .offset:         168
        .size:           1
        .value_kind:     by_value
      - .offset:         169
        .size:           1
        .value_kind:     by_value
      - .offset:         170
        .size:           1
        .value_kind:     by_value
    .group_segment_fixed_size: 3204
    .kernarg_segment_align: 8
    .kernarg_segment_size: 172
    .language:       OpenCL C
    .language_version:
      - 2
      - 0
    .max_flat_workgroup_size: 256
    .name:           _ZN9rocsparseL38bsrgemm_block_per_row_atomic_multipassILj256ELj32ELj4EiifEEv20rocsparse_direction_T3_S2_PKS2_S4_NS_24const_host_device_scalarIT4_EEPKT2_S4_PKS6_SA_S4_SC_S7_SA_S4_SC_SA_PS2_PS6_PS8_21rocsparse_index_base_SG_SG_SG_bbb
    .private_segment_fixed_size: 0
    .sgpr_count:     91
    .sgpr_spill_count: 0
    .symbol:         _ZN9rocsparseL38bsrgemm_block_per_row_atomic_multipassILj256ELj32ELj4EiifEEv20rocsparse_direction_T3_S2_PKS2_S4_NS_24const_host_device_scalarIT4_EEPKT2_S4_PKS6_SA_S4_SC_S7_SA_S4_SC_SA_PS2_PS6_PS8_21rocsparse_index_base_SG_SG_SG_bbb.kd
    .uniform_work_group_size: 1
    .uses_dynamic_stack: false
    .vgpr_count:     40
    .vgpr_spill_count: 0
    .wavefront_size: 64
  - .agpr_count:     0
    .args:
      - .offset:         0
        .size:           4
        .value_kind:     by_value
      - .offset:         4
        .size:           4
        .value_kind:     by_value
      - .offset:         8
        .size:           4
        .value_kind:     by_value
      - .actual_access:  read_only
        .address_space:  global
        .offset:         16
        .size:           8
        .value_kind:     global_buffer
      - .actual_access:  read_only
        .address_space:  global
        .offset:         24
        .size:           8
        .value_kind:     global_buffer
      - .offset:         32
        .size:           8
        .value_kind:     by_value
      - .actual_access:  read_only
        .address_space:  global
        .offset:         40
        .size:           8
        .value_kind:     global_buffer
      - .actual_access:  read_only
        .address_space:  global
        .offset:         48
        .size:           8
        .value_kind:     global_buffer
      - .actual_access:  read_only
        .address_space:  global
        .offset:         56
        .size:           8
        .value_kind:     global_buffer
      - .actual_access:  read_only
        .address_space:  global
        .offset:         64
        .size:           8
        .value_kind:     global_buffer
      - .actual_access:  read_only
        .address_space:  global
        .offset:         72
        .size:           8
        .value_kind:     global_buffer
      - .actual_access:  read_only
        .address_space:  global
        .offset:         80
        .size:           8
        .value_kind:     global_buffer
      - .offset:         88
        .size:           8
        .value_kind:     by_value
      - .actual_access:  read_only
        .address_space:  global
        .offset:         96
        .size:           8
        .value_kind:     global_buffer
      - .actual_access:  read_only
        .address_space:  global
        .offset:         104
        .size:           8
        .value_kind:     global_buffer
      - .actual_access:  read_only
        .address_space:  global
        .offset:         112
        .size:           8
        .value_kind:     global_buffer
      - .actual_access:  read_only
        .address_space:  global
        .offset:         120
        .size:           8
        .value_kind:     global_buffer
      - .actual_access:  write_only
        .address_space:  global
        .offset:         128
        .size:           8
        .value_kind:     global_buffer
      - .actual_access:  write_only
        .address_space:  global
        .offset:         136
        .size:           8
        .value_kind:     global_buffer
      - .address_space:  global
        .offset:         144
        .size:           8
        .value_kind:     global_buffer
      - .offset:         152
        .size:           4
        .value_kind:     by_value
      - .offset:         156
        .size:           4
        .value_kind:     by_value
      - .offset:         160
        .size:           4
        .value_kind:     by_value
      - .offset:         164
        .size:           4
        .value_kind:     by_value
      - .offset:         168
        .size:           1
        .value_kind:     by_value
      - .offset:         169
        .size:           1
        .value_kind:     by_value
      - .offset:         170
        .size:           1
        .value_kind:     by_value
    .group_segment_fixed_size: 5380
    .kernarg_segment_align: 8
    .kernarg_segment_size: 172
    .language:       OpenCL C
    .language_version:
      - 2
      - 0
    .max_flat_workgroup_size: 256
    .name:           _ZN9rocsparseL38bsrgemm_block_per_row_atomic_multipassILj256ELj64ELj4EiifEEv20rocsparse_direction_T3_S2_PKS2_S4_NS_24const_host_device_scalarIT4_EEPKT2_S4_PKS6_SA_S4_SC_S7_SA_S4_SC_SA_PS2_PS6_PS8_21rocsparse_index_base_SG_SG_SG_bbb
    .private_segment_fixed_size: 0
    .sgpr_count:     91
    .sgpr_spill_count: 0
    .symbol:         _ZN9rocsparseL38bsrgemm_block_per_row_atomic_multipassILj256ELj64ELj4EiifEEv20rocsparse_direction_T3_S2_PKS2_S4_NS_24const_host_device_scalarIT4_EEPKT2_S4_PKS6_SA_S4_SC_S7_SA_S4_SC_SA_PS2_PS6_PS8_21rocsparse_index_base_SG_SG_SG_bbb.kd
    .uniform_work_group_size: 1
    .uses_dynamic_stack: false
    .vgpr_count:     41
    .vgpr_spill_count: 0
    .wavefront_size: 64
  - .agpr_count:     0
    .args:
      - .offset:         0
        .size:           4
        .value_kind:     by_value
      - .offset:         4
        .size:           4
        .value_kind:     by_value
      - .offset:         8
        .size:           4
        .value_kind:     by_value
      - .actual_access:  read_only
        .address_space:  global
        .offset:         16
        .size:           8
        .value_kind:     global_buffer
      - .actual_access:  read_only
        .address_space:  global
        .offset:         24
        .size:           8
        .value_kind:     global_buffer
      - .offset:         32
        .size:           8
        .value_kind:     by_value
      - .actual_access:  read_only
        .address_space:  global
        .offset:         40
        .size:           8
        .value_kind:     global_buffer
      - .actual_access:  read_only
        .address_space:  global
        .offset:         48
        .size:           8
        .value_kind:     global_buffer
      - .actual_access:  read_only
        .address_space:  global
        .offset:         56
        .size:           8
        .value_kind:     global_buffer
      - .actual_access:  read_only
        .address_space:  global
        .offset:         64
        .size:           8
        .value_kind:     global_buffer
      - .actual_access:  read_only
        .address_space:  global
        .offset:         72
        .size:           8
        .value_kind:     global_buffer
      - .actual_access:  read_only
        .address_space:  global
        .offset:         80
        .size:           8
        .value_kind:     global_buffer
      - .offset:         88
        .size:           8
        .value_kind:     by_value
      - .actual_access:  read_only
        .address_space:  global
        .offset:         96
        .size:           8
        .value_kind:     global_buffer
      - .actual_access:  read_only
        .address_space:  global
        .offset:         104
        .size:           8
        .value_kind:     global_buffer
      - .actual_access:  read_only
        .address_space:  global
        .offset:         112
        .size:           8
        .value_kind:     global_buffer
      - .actual_access:  read_only
        .address_space:  global
        .offset:         120
        .size:           8
        .value_kind:     global_buffer
      - .actual_access:  write_only
        .address_space:  global
        .offset:         128
        .size:           8
        .value_kind:     global_buffer
      - .actual_access:  write_only
        .address_space:  global
        .offset:         136
        .size:           8
        .value_kind:     global_buffer
      - .address_space:  global
        .offset:         144
        .size:           8
        .value_kind:     global_buffer
      - .offset:         152
        .size:           4
        .value_kind:     by_value
      - .offset:         156
        .size:           4
        .value_kind:     by_value
      - .offset:         160
        .size:           4
        .value_kind:     by_value
      - .offset:         164
        .size:           4
        .value_kind:     by_value
      - .offset:         168
        .size:           1
        .value_kind:     by_value
      - .offset:         169
        .size:           1
        .value_kind:     by_value
      - .offset:         170
        .size:           1
        .value_kind:     by_value
    .group_segment_fixed_size: 9732
    .kernarg_segment_align: 8
    .kernarg_segment_size: 172
    .language:       OpenCL C
    .language_version:
      - 2
      - 0
    .max_flat_workgroup_size: 256
    .name:           _ZN9rocsparseL38bsrgemm_block_per_row_atomic_multipassILj256ELj128ELj4EiifEEv20rocsparse_direction_T3_S2_PKS2_S4_NS_24const_host_device_scalarIT4_EEPKT2_S4_PKS6_SA_S4_SC_S7_SA_S4_SC_SA_PS2_PS6_PS8_21rocsparse_index_base_SG_SG_SG_bbb
    .private_segment_fixed_size: 0
    .sgpr_count:     94
    .sgpr_spill_count: 0
    .symbol:         _ZN9rocsparseL38bsrgemm_block_per_row_atomic_multipassILj256ELj128ELj4EiifEEv20rocsparse_direction_T3_S2_PKS2_S4_NS_24const_host_device_scalarIT4_EEPKT2_S4_PKS6_SA_S4_SC_S7_SA_S4_SC_SA_PS2_PS6_PS8_21rocsparse_index_base_SG_SG_SG_bbb.kd
    .uniform_work_group_size: 1
    .uses_dynamic_stack: false
    .vgpr_count:     42
    .vgpr_spill_count: 0
    .wavefront_size: 64
  - .agpr_count:     0
    .args:
      - .offset:         0
        .size:           4
        .value_kind:     by_value
      - .offset:         4
        .size:           4
        .value_kind:     by_value
      - .offset:         8
        .size:           4
        .value_kind:     by_value
      - .offset:         12
        .size:           4
        .value_kind:     by_value
      - .actual_access:  read_only
        .address_space:  global
        .offset:         16
        .size:           8
        .value_kind:     global_buffer
      - .actual_access:  read_only
        .address_space:  global
        .offset:         24
        .size:           8
        .value_kind:     global_buffer
      - .offset:         32
        .size:           8
        .value_kind:     by_value
      - .actual_access:  read_only
        .address_space:  global
        .offset:         40
        .size:           8
        .value_kind:     global_buffer
      - .actual_access:  read_only
        .address_space:  global
        .offset:         48
        .size:           8
        .value_kind:     global_buffer
      - .actual_access:  read_only
        .address_space:  global
        .offset:         56
        .size:           8
        .value_kind:     global_buffer
      - .actual_access:  read_only
        .address_space:  global
        .offset:         64
        .size:           8
        .value_kind:     global_buffer
      - .actual_access:  read_only
        .address_space:  global
        .offset:         72
        .size:           8
        .value_kind:     global_buffer
      - .actual_access:  read_only
        .address_space:  global
        .offset:         80
        .size:           8
        .value_kind:     global_buffer
      - .offset:         88
        .size:           8
        .value_kind:     by_value
      - .actual_access:  read_only
        .address_space:  global
        .offset:         96
        .size:           8
        .value_kind:     global_buffer
      - .actual_access:  read_only
        .address_space:  global
        .offset:         104
        .size:           8
        .value_kind:     global_buffer
      - .actual_access:  read_only
        .address_space:  global
        .offset:         112
        .size:           8
        .value_kind:     global_buffer
      - .actual_access:  read_only
        .address_space:  global
        .offset:         120
        .size:           8
        .value_kind:     global_buffer
      - .actual_access:  write_only
        .address_space:  global
        .offset:         128
        .size:           8
        .value_kind:     global_buffer
      - .actual_access:  write_only
        .address_space:  global
        .offset:         136
        .size:           8
        .value_kind:     global_buffer
      - .offset:         144
        .size:           4
        .value_kind:     by_value
      - .offset:         148
        .size:           4
        .value_kind:     by_value
      - .offset:         152
        .size:           4
        .value_kind:     by_value
      - .offset:         156
        .size:           4
        .value_kind:     by_value
      - .offset:         160
        .size:           1
        .value_kind:     by_value
      - .offset:         161
        .size:           1
        .value_kind:     by_value
      - .offset:         162
        .size:           1
        .value_kind:     by_value
    .group_segment_fixed_size: 8320
    .kernarg_segment_align: 8
    .kernarg_segment_size: 164
    .language:       OpenCL C
    .language_version:
      - 2
      - 0
    .max_flat_workgroup_size: 256
    .name:           _ZN9rocsparseL23bsrgemm_fill_wf_per_rowILj256ELj64ELj8ELj137ELj8EiifEEv20rocsparse_direction_T5_S2_S2_PKS2_S4_NS_24const_host_device_scalarIT6_EEPKT4_S4_PKS6_SA_S4_SC_S7_SA_S4_SC_SA_PS2_PS6_21rocsparse_index_base_SF_SF_SF_bbb
    .private_segment_fixed_size: 0
    .sgpr_count:     58
    .sgpr_spill_count: 0
    .symbol:         _ZN9rocsparseL23bsrgemm_fill_wf_per_rowILj256ELj64ELj8ELj137ELj8EiifEEv20rocsparse_direction_T5_S2_S2_PKS2_S4_NS_24const_host_device_scalarIT6_EEPKT4_S4_PKS6_SA_S4_SC_S7_SA_S4_SC_SA_PS2_PS6_21rocsparse_index_base_SF_SF_SF_bbb.kd
    .uniform_work_group_size: 1
    .uses_dynamic_stack: false
    .vgpr_count:     32
    .vgpr_spill_count: 0
    .wavefront_size: 64
  - .agpr_count:     0
    .args:
      - .offset:         0
        .size:           4
        .value_kind:     by_value
      - .offset:         4
        .size:           4
        .value_kind:     by_value
      - .offset:         8
        .size:           4
        .value_kind:     by_value
      - .actual_access:  read_only
        .address_space:  global
        .offset:         16
        .size:           8
        .value_kind:     global_buffer
      - .actual_access:  read_only
        .address_space:  global
        .offset:         24
        .size:           8
        .value_kind:     global_buffer
      - .offset:         32
        .size:           8
        .value_kind:     by_value
      - .actual_access:  read_only
        .address_space:  global
        .offset:         40
        .size:           8
        .value_kind:     global_buffer
      - .actual_access:  read_only
        .address_space:  global
        .offset:         48
        .size:           8
        .value_kind:     global_buffer
      - .actual_access:  read_only
        .address_space:  global
        .offset:         56
        .size:           8
        .value_kind:     global_buffer
      - .actual_access:  read_only
        .address_space:  global
        .offset:         64
        .size:           8
        .value_kind:     global_buffer
      - .actual_access:  read_only
        .address_space:  global
        .offset:         72
        .size:           8
        .value_kind:     global_buffer
      - .actual_access:  read_only
        .address_space:  global
        .offset:         80
        .size:           8
        .value_kind:     global_buffer
      - .offset:         88
        .size:           8
        .value_kind:     by_value
      - .actual_access:  read_only
        .address_space:  global
        .offset:         96
        .size:           8
        .value_kind:     global_buffer
      - .actual_access:  read_only
        .address_space:  global
        .offset:         104
        .size:           8
        .value_kind:     global_buffer
      - .actual_access:  read_only
        .address_space:  global
        .offset:         112
        .size:           8
        .value_kind:     global_buffer
      - .actual_access:  read_only
        .address_space:  global
        .offset:         120
        .size:           8
        .value_kind:     global_buffer
      - .actual_access:  write_only
        .address_space:  global
        .offset:         128
        .size:           8
        .value_kind:     global_buffer
      - .actual_access:  write_only
        .address_space:  global
        .offset:         136
        .size:           8
        .value_kind:     global_buffer
      - .address_space:  global
        .offset:         144
        .size:           8
        .value_kind:     global_buffer
      - .offset:         152
        .size:           4
        .value_kind:     by_value
      - .offset:         156
        .size:           4
        .value_kind:     by_value
      - .offset:         160
        .size:           4
        .value_kind:     by_value
      - .offset:         164
        .size:           4
        .value_kind:     by_value
      - .offset:         168
        .size:           1
        .value_kind:     by_value
      - .offset:         169
        .size:           1
        .value_kind:     by_value
      - .offset:         170
        .size:           1
        .value_kind:     by_value
    .group_segment_fixed_size: 5188
    .kernarg_segment_align: 8
    .kernarg_segment_size: 172
    .language:       OpenCL C
    .language_version:
      - 2
      - 0
    .max_flat_workgroup_size: 256
    .name:           _ZN9rocsparseL38bsrgemm_block_per_row_atomic_multipassILj256ELj16ELj8EiifEEv20rocsparse_direction_T3_S2_PKS2_S4_NS_24const_host_device_scalarIT4_EEPKT2_S4_PKS6_SA_S4_SC_S7_SA_S4_SC_SA_PS2_PS6_PS8_21rocsparse_index_base_SG_SG_SG_bbb
    .private_segment_fixed_size: 0
    .sgpr_count:     87
    .sgpr_spill_count: 0
    .symbol:         _ZN9rocsparseL38bsrgemm_block_per_row_atomic_multipassILj256ELj16ELj8EiifEEv20rocsparse_direction_T3_S2_PKS2_S4_NS_24const_host_device_scalarIT4_EEPKT2_S4_PKS6_SA_S4_SC_S7_SA_S4_SC_SA_PS2_PS6_PS8_21rocsparse_index_base_SG_SG_SG_bbb.kd
    .uniform_work_group_size: 1
    .uses_dynamic_stack: false
    .vgpr_count:     39
    .vgpr_spill_count: 0
    .wavefront_size: 64
  - .agpr_count:     0
    .args:
      - .offset:         0
        .size:           4
        .value_kind:     by_value
      - .offset:         4
        .size:           4
        .value_kind:     by_value
      - .offset:         8
        .size:           4
        .value_kind:     by_value
      - .actual_access:  read_only
        .address_space:  global
        .offset:         16
        .size:           8
        .value_kind:     global_buffer
      - .actual_access:  read_only
        .address_space:  global
        .offset:         24
        .size:           8
        .value_kind:     global_buffer
      - .offset:         32
        .size:           8
        .value_kind:     by_value
      - .actual_access:  read_only
        .address_space:  global
        .offset:         40
        .size:           8
        .value_kind:     global_buffer
      - .actual_access:  read_only
        .address_space:  global
        .offset:         48
        .size:           8
        .value_kind:     global_buffer
      - .actual_access:  read_only
        .address_space:  global
        .offset:         56
        .size:           8
        .value_kind:     global_buffer
      - .actual_access:  read_only
        .address_space:  global
        .offset:         64
        .size:           8
        .value_kind:     global_buffer
      - .actual_access:  read_only
        .address_space:  global
        .offset:         72
        .size:           8
        .value_kind:     global_buffer
      - .actual_access:  read_only
        .address_space:  global
        .offset:         80
        .size:           8
        .value_kind:     global_buffer
      - .offset:         88
        .size:           8
        .value_kind:     by_value
      - .actual_access:  read_only
        .address_space:  global
        .offset:         96
        .size:           8
        .value_kind:     global_buffer
      - .actual_access:  read_only
        .address_space:  global
        .offset:         104
        .size:           8
        .value_kind:     global_buffer
      - .actual_access:  read_only
        .address_space:  global
        .offset:         112
        .size:           8
        .value_kind:     global_buffer
      - .actual_access:  read_only
        .address_space:  global
        .offset:         120
        .size:           8
        .value_kind:     global_buffer
      - .actual_access:  write_only
        .address_space:  global
        .offset:         128
        .size:           8
        .value_kind:     global_buffer
      - .actual_access:  write_only
        .address_space:  global
        .offset:         136
        .size:           8
        .value_kind:     global_buffer
      - .address_space:  global
        .offset:         144
        .size:           8
        .value_kind:     global_buffer
      - .offset:         152
        .size:           4
        .value_kind:     by_value
      - .offset:         156
        .size:           4
        .value_kind:     by_value
      - .offset:         160
        .size:           4
        .value_kind:     by_value
      - .offset:         164
        .size:           4
        .value_kind:     by_value
      - .offset:         168
        .size:           1
        .value_kind:     by_value
      - .offset:         169
        .size:           1
        .value_kind:     by_value
      - .offset:         170
        .size:           1
        .value_kind:     by_value
    .group_segment_fixed_size: 9348
    .kernarg_segment_align: 8
    .kernarg_segment_size: 172
    .language:       OpenCL C
    .language_version:
      - 2
      - 0
    .max_flat_workgroup_size: 256
    .name:           _ZN9rocsparseL38bsrgemm_block_per_row_atomic_multipassILj256ELj32ELj8EiifEEv20rocsparse_direction_T3_S2_PKS2_S4_NS_24const_host_device_scalarIT4_EEPKT2_S4_PKS6_SA_S4_SC_S7_SA_S4_SC_SA_PS2_PS6_PS8_21rocsparse_index_base_SG_SG_SG_bbb
    .private_segment_fixed_size: 0
    .sgpr_count:     89
    .sgpr_spill_count: 0
    .symbol:         _ZN9rocsparseL38bsrgemm_block_per_row_atomic_multipassILj256ELj32ELj8EiifEEv20rocsparse_direction_T3_S2_PKS2_S4_NS_24const_host_device_scalarIT4_EEPKT2_S4_PKS6_SA_S4_SC_S7_SA_S4_SC_SA_PS2_PS6_PS8_21rocsparse_index_base_SG_SG_SG_bbb.kd
    .uniform_work_group_size: 1
    .uses_dynamic_stack: false
    .vgpr_count:     40
    .vgpr_spill_count: 0
    .wavefront_size: 64
  - .agpr_count:     0
    .args:
      - .offset:         0
        .size:           4
        .value_kind:     by_value
      - .offset:         4
        .size:           4
        .value_kind:     by_value
      - .offset:         8
        .size:           4
        .value_kind:     by_value
      - .actual_access:  read_only
        .address_space:  global
        .offset:         16
        .size:           8
        .value_kind:     global_buffer
      - .actual_access:  read_only
        .address_space:  global
        .offset:         24
        .size:           8
        .value_kind:     global_buffer
      - .offset:         32
        .size:           8
        .value_kind:     by_value
      - .actual_access:  read_only
        .address_space:  global
        .offset:         40
        .size:           8
        .value_kind:     global_buffer
      - .actual_access:  read_only
        .address_space:  global
        .offset:         48
        .size:           8
        .value_kind:     global_buffer
      - .actual_access:  read_only
        .address_space:  global
        .offset:         56
        .size:           8
        .value_kind:     global_buffer
      - .actual_access:  read_only
        .address_space:  global
        .offset:         64
        .size:           8
        .value_kind:     global_buffer
      - .actual_access:  read_only
        .address_space:  global
        .offset:         72
        .size:           8
        .value_kind:     global_buffer
      - .actual_access:  read_only
        .address_space:  global
        .offset:         80
        .size:           8
        .value_kind:     global_buffer
      - .offset:         88
        .size:           8
        .value_kind:     by_value
      - .actual_access:  read_only
        .address_space:  global
        .offset:         96
        .size:           8
        .value_kind:     global_buffer
      - .actual_access:  read_only
        .address_space:  global
        .offset:         104
        .size:           8
        .value_kind:     global_buffer
      - .actual_access:  read_only
        .address_space:  global
        .offset:         112
        .size:           8
        .value_kind:     global_buffer
      - .actual_access:  read_only
        .address_space:  global
        .offset:         120
        .size:           8
        .value_kind:     global_buffer
      - .actual_access:  write_only
        .address_space:  global
        .offset:         128
        .size:           8
        .value_kind:     global_buffer
      - .actual_access:  write_only
        .address_space:  global
        .offset:         136
        .size:           8
        .value_kind:     global_buffer
      - .address_space:  global
        .offset:         144
        .size:           8
        .value_kind:     global_buffer
      - .offset:         152
        .size:           4
        .value_kind:     by_value
      - .offset:         156
        .size:           4
        .value_kind:     by_value
      - .offset:         160
        .size:           4
        .value_kind:     by_value
      - .offset:         164
        .size:           4
        .value_kind:     by_value
      - .offset:         168
        .size:           1
        .value_kind:     by_value
      - .offset:         169
        .size:           1
        .value_kind:     by_value
      - .offset:         170
        .size:           1
        .value_kind:     by_value
    .group_segment_fixed_size: 8200
    .kernarg_segment_align: 8
    .kernarg_segment_size: 172
    .language:       OpenCL C
    .language_version:
      - 2
      - 0
    .max_flat_workgroup_size: 256
    .name:           _ZN9rocsparseL31bsrgemm_block_per_row_multipassILj256ELj8ELj16EiifEEv20rocsparse_direction_T3_S2_PKS2_S4_NS_24const_host_device_scalarIT4_EEPKT2_S4_PKS6_SA_S4_SC_S7_SA_S4_SC_SA_PS2_PS6_PS8_21rocsparse_index_base_SG_SG_SG_bbb
    .private_segment_fixed_size: 0
    .sgpr_count:     69
    .sgpr_spill_count: 0
    .symbol:         _ZN9rocsparseL31bsrgemm_block_per_row_multipassILj256ELj8ELj16EiifEEv20rocsparse_direction_T3_S2_PKS2_S4_NS_24const_host_device_scalarIT4_EEPKT2_S4_PKS6_SA_S4_SC_S7_SA_S4_SC_SA_PS2_PS6_PS8_21rocsparse_index_base_SG_SG_SG_bbb.kd
    .uniform_work_group_size: 1
    .uses_dynamic_stack: false
    .vgpr_count:     30
    .vgpr_spill_count: 0
    .wavefront_size: 64
  - .agpr_count:     0
    .args:
      - .offset:         0
        .size:           4
        .value_kind:     by_value
      - .offset:         4
        .size:           4
        .value_kind:     by_value
      - .offset:         8
        .size:           4
        .value_kind:     by_value
      - .actual_access:  read_only
        .address_space:  global
        .offset:         16
        .size:           8
        .value_kind:     global_buffer
      - .actual_access:  read_only
        .address_space:  global
        .offset:         24
        .size:           8
        .value_kind:     global_buffer
      - .offset:         32
        .size:           8
        .value_kind:     by_value
      - .actual_access:  read_only
        .address_space:  global
        .offset:         40
        .size:           8
        .value_kind:     global_buffer
      - .actual_access:  read_only
        .address_space:  global
        .offset:         48
        .size:           8
        .value_kind:     global_buffer
      - .actual_access:  read_only
        .address_space:  global
        .offset:         56
        .size:           8
        .value_kind:     global_buffer
      - .actual_access:  read_only
        .address_space:  global
        .offset:         64
        .size:           8
        .value_kind:     global_buffer
      - .actual_access:  read_only
        .address_space:  global
        .offset:         72
        .size:           8
        .value_kind:     global_buffer
      - .actual_access:  read_only
        .address_space:  global
        .offset:         80
        .size:           8
        .value_kind:     global_buffer
      - .offset:         88
        .size:           8
        .value_kind:     by_value
      - .actual_access:  read_only
        .address_space:  global
        .offset:         96
        .size:           8
        .value_kind:     global_buffer
      - .actual_access:  read_only
        .address_space:  global
        .offset:         104
        .size:           8
        .value_kind:     global_buffer
      - .actual_access:  read_only
        .address_space:  global
        .offset:         112
        .size:           8
        .value_kind:     global_buffer
      - .actual_access:  read_only
        .address_space:  global
        .offset:         120
        .size:           8
        .value_kind:     global_buffer
      - .actual_access:  write_only
        .address_space:  global
        .offset:         128
        .size:           8
        .value_kind:     global_buffer
      - .actual_access:  write_only
        .address_space:  global
        .offset:         136
        .size:           8
        .value_kind:     global_buffer
      - .address_space:  global
        .offset:         144
        .size:           8
        .value_kind:     global_buffer
      - .offset:         152
        .size:           4
        .value_kind:     by_value
      - .offset:         156
        .size:           4
        .value_kind:     by_value
      - .offset:         160
        .size:           4
        .value_kind:     by_value
      - .offset:         164
        .size:           4
        .value_kind:     by_value
      - .offset:         168
        .size:           1
        .value_kind:     by_value
      - .offset:         169
        .size:           1
        .value_kind:     by_value
      - .offset:         170
        .size:           1
        .value_kind:     by_value
    .group_segment_fixed_size: 8196
    .kernarg_segment_align: 8
    .kernarg_segment_size: 172
    .language:       OpenCL C
    .language_version:
      - 2
      - 0
    .max_flat_workgroup_size: 256
    .name:           _ZN9rocsparseL31bsrgemm_block_per_row_multipassILj256ELj2ELj32EiifEEv20rocsparse_direction_T3_S2_PKS2_S4_NS_24const_host_device_scalarIT4_EEPKT2_S4_PKS6_SA_S4_SC_S7_SA_S4_SC_SA_PS2_PS6_PS8_21rocsparse_index_base_SG_SG_SG_bbb
    .private_segment_fixed_size: 0
    .sgpr_count:     78
    .sgpr_spill_count: 0
    .symbol:         _ZN9rocsparseL31bsrgemm_block_per_row_multipassILj256ELj2ELj32EiifEEv20rocsparse_direction_T3_S2_PKS2_S4_NS_24const_host_device_scalarIT4_EEPKT2_S4_PKS6_SA_S4_SC_S7_SA_S4_SC_SA_PS2_PS6_PS8_21rocsparse_index_base_SG_SG_SG_bbb.kd
    .uniform_work_group_size: 1
    .uses_dynamic_stack: false
    .vgpr_count:     44
    .vgpr_spill_count: 0
    .wavefront_size: 64
  - .agpr_count:     0
    .args:
      - .offset:         0
        .size:           4
        .value_kind:     by_value
      - .actual_access:  read_only
        .address_space:  global
        .offset:         8
        .size:           8
        .value_kind:     global_buffer
      - .actual_access:  write_only
        .address_space:  global
        .offset:         16
        .size:           8
        .value_kind:     global_buffer
      - .actual_access:  write_only
        .address_space:  global
        .offset:         24
        .size:           8
        .value_kind:     global_buffer
      - .offset:         32
        .size:           4
        .value_kind:     hidden_block_count_x
      - .offset:         36
        .size:           4
        .value_kind:     hidden_block_count_y
      - .offset:         40
        .size:           4
        .value_kind:     hidden_block_count_z
      - .offset:         44
        .size:           2
        .value_kind:     hidden_group_size_x
      - .offset:         46
        .size:           2
        .value_kind:     hidden_group_size_y
      - .offset:         48
        .size:           2
        .value_kind:     hidden_group_size_z
      - .offset:         50
        .size:           2
        .value_kind:     hidden_remainder_x
      - .offset:         52
        .size:           2
        .value_kind:     hidden_remainder_y
      - .offset:         54
        .size:           2
        .value_kind:     hidden_remainder_z
      - .offset:         72
        .size:           8
        .value_kind:     hidden_global_offset_x
      - .offset:         80
        .size:           8
        .value_kind:     hidden_global_offset_y
      - .offset:         88
        .size:           8
        .value_kind:     hidden_global_offset_z
      - .offset:         96
        .size:           2
        .value_kind:     hidden_grid_dims
    .group_segment_fixed_size: 8192
    .kernarg_segment_align: 8
    .kernarg_segment_size: 288
    .language:       OpenCL C
    .language_version:
      - 2
      - 0
    .max_flat_workgroup_size: 256
    .name:           _ZN9rocsparseL26bsrgemm_group_reduce_part2ILj256ELj8ELj2EdiiEEvT4_PKT3_PS1_Pi
    .private_segment_fixed_size: 0
    .sgpr_count:     33
    .sgpr_spill_count: 0
    .symbol:         _ZN9rocsparseL26bsrgemm_group_reduce_part2ILj256ELj8ELj2EdiiEEvT4_PKT3_PS1_Pi.kd
    .uniform_work_group_size: 1
    .uses_dynamic_stack: false
    .vgpr_count:     18
    .vgpr_spill_count: 0
    .wavefront_size: 64
  - .agpr_count:     0
    .args:
      - .offset:         0
        .size:           4
        .value_kind:     by_value
      - .actual_access:  read_only
        .address_space:  global
        .offset:         8
        .size:           8
        .value_kind:     global_buffer
      - .actual_access:  write_only
        .address_space:  global
        .offset:         16
        .size:           8
        .value_kind:     global_buffer
      - .actual_access:  write_only
        .address_space:  global
        .offset:         24
        .size:           8
        .value_kind:     global_buffer
      - .offset:         32
        .size:           4
        .value_kind:     hidden_block_count_x
      - .offset:         36
        .size:           4
        .value_kind:     hidden_block_count_y
      - .offset:         40
        .size:           4
        .value_kind:     hidden_block_count_z
      - .offset:         44
        .size:           2
        .value_kind:     hidden_group_size_x
      - .offset:         46
        .size:           2
        .value_kind:     hidden_group_size_y
      - .offset:         48
        .size:           2
        .value_kind:     hidden_group_size_z
      - .offset:         50
        .size:           2
        .value_kind:     hidden_remainder_x
      - .offset:         52
        .size:           2
        .value_kind:     hidden_remainder_y
      - .offset:         54
        .size:           2
        .value_kind:     hidden_remainder_z
      - .offset:         72
        .size:           8
        .value_kind:     hidden_global_offset_x
      - .offset:         80
        .size:           8
        .value_kind:     hidden_global_offset_y
      - .offset:         88
        .size:           8
        .value_kind:     hidden_global_offset_z
      - .offset:         96
        .size:           2
        .value_kind:     hidden_grid_dims
    .group_segment_fixed_size: 8192
    .kernarg_segment_align: 8
    .kernarg_segment_size: 288
    .language:       OpenCL C
    .language_version:
      - 2
      - 0
    .max_flat_workgroup_size: 256
    .name:           _ZN9rocsparseL26bsrgemm_group_reduce_part2ILj256ELj8ELj8EdiiEEvT4_PKT3_PS1_Pi
    .private_segment_fixed_size: 0
    .sgpr_count:     33
    .sgpr_spill_count: 0
    .symbol:         _ZN9rocsparseL26bsrgemm_group_reduce_part2ILj256ELj8ELj8EdiiEEvT4_PKT3_PS1_Pi.kd
    .uniform_work_group_size: 1
    .uses_dynamic_stack: false
    .vgpr_count:     18
    .vgpr_spill_count: 0
    .wavefront_size: 64
  - .agpr_count:     0
    .args:
      - .offset:         0
        .size:           4
        .value_kind:     by_value
      - .offset:         4
        .size:           4
        .value_kind:     by_value
      - .offset:         8
        .size:           4
        .value_kind:     by_value
      - .actual_access:  read_only
        .address_space:  global
        .offset:         16
        .size:           8
        .value_kind:     global_buffer
      - .actual_access:  read_only
        .address_space:  global
        .offset:         24
        .size:           8
        .value_kind:     global_buffer
      - .offset:         32
        .size:           8
        .value_kind:     by_value
      - .actual_access:  read_only
        .address_space:  global
        .offset:         40
        .size:           8
        .value_kind:     global_buffer
      - .actual_access:  read_only
        .address_space:  global
        .offset:         48
        .size:           8
        .value_kind:     global_buffer
      - .actual_access:  read_only
        .address_space:  global
        .offset:         56
        .size:           8
        .value_kind:     global_buffer
      - .actual_access:  read_only
        .address_space:  global
        .offset:         64
        .size:           8
        .value_kind:     global_buffer
      - .actual_access:  read_only
        .address_space:  global
        .offset:         72
        .size:           8
        .value_kind:     global_buffer
      - .actual_access:  read_only
        .address_space:  global
        .offset:         80
        .size:           8
        .value_kind:     global_buffer
      - .offset:         88
        .size:           8
        .value_kind:     by_value
      - .actual_access:  read_only
        .address_space:  global
        .offset:         96
        .size:           8
        .value_kind:     global_buffer
      - .actual_access:  read_only
        .address_space:  global
        .offset:         104
        .size:           8
        .value_kind:     global_buffer
      - .actual_access:  read_only
        .address_space:  global
        .offset:         112
        .size:           8
        .value_kind:     global_buffer
      - .actual_access:  read_only
        .address_space:  global
        .offset:         120
        .size:           8
        .value_kind:     global_buffer
      - .actual_access:  write_only
        .address_space:  global
        .offset:         128
        .size:           8
        .value_kind:     global_buffer
      - .actual_access:  write_only
        .address_space:  global
        .offset:         136
        .size:           8
        .value_kind:     global_buffer
      - .offset:         144
        .size:           4
        .value_kind:     by_value
      - .offset:         148
        .size:           4
        .value_kind:     by_value
      - .offset:         152
        .size:           4
        .value_kind:     by_value
      - .offset:         156
        .size:           4
        .value_kind:     by_value
      - .offset:         160
        .size:           1
        .value_kind:     by_value
      - .offset:         161
        .size:           1
        .value_kind:     by_value
      - .offset:         162
        .size:           1
        .value_kind:     by_value
    .group_segment_fixed_size: 4608
    .kernarg_segment_align: 8
    .kernarg_segment_size: 164
    .language:       OpenCL C
    .language_version:
      - 2
      - 0
    .max_flat_workgroup_size: 256
    .name:           _ZN9rocsparseL27bsrgemm_fill_wf_per_row_2x2ILj256ELj16ELj8ELj137EiidEEv20rocsparse_direction_T4_S2_PKS2_S4_NS_24const_host_device_scalarIT5_EEPKT3_S4_PKS6_SA_S4_SC_S7_SA_S4_SC_SA_PS2_PS6_21rocsparse_index_base_SF_SF_SF_bbb
    .private_segment_fixed_size: 0
    .sgpr_count:     60
    .sgpr_spill_count: 0
    .symbol:         _ZN9rocsparseL27bsrgemm_fill_wf_per_row_2x2ILj256ELj16ELj8ELj137EiidEEv20rocsparse_direction_T4_S2_PKS2_S4_NS_24const_host_device_scalarIT5_EEPKT3_S4_PKS6_SA_S4_SC_S7_SA_S4_SC_SA_PS2_PS6_21rocsparse_index_base_SF_SF_SF_bbb.kd
    .uniform_work_group_size: 1
    .uses_dynamic_stack: false
    .vgpr_count:     41
    .vgpr_spill_count: 0
    .wavefront_size: 64
  - .agpr_count:     0
    .args:
      - .offset:         0
        .size:           4
        .value_kind:     by_value
      - .offset:         4
        .size:           4
        .value_kind:     by_value
      - .offset:         8
        .size:           4
        .value_kind:     by_value
      - .actual_access:  read_only
        .address_space:  global
        .offset:         16
        .size:           8
        .value_kind:     global_buffer
      - .actual_access:  read_only
        .address_space:  global
        .offset:         24
        .size:           8
        .value_kind:     global_buffer
      - .offset:         32
        .size:           8
        .value_kind:     by_value
      - .actual_access:  read_only
        .address_space:  global
        .offset:         40
        .size:           8
        .value_kind:     global_buffer
      - .actual_access:  read_only
        .address_space:  global
        .offset:         48
        .size:           8
        .value_kind:     global_buffer
      - .actual_access:  read_only
        .address_space:  global
        .offset:         56
        .size:           8
        .value_kind:     global_buffer
      - .actual_access:  read_only
        .address_space:  global
        .offset:         64
        .size:           8
        .value_kind:     global_buffer
      - .actual_access:  read_only
        .address_space:  global
        .offset:         72
        .size:           8
        .value_kind:     global_buffer
      - .actual_access:  read_only
        .address_space:  global
        .offset:         80
        .size:           8
        .value_kind:     global_buffer
      - .offset:         88
        .size:           8
        .value_kind:     by_value
      - .actual_access:  read_only
        .address_space:  global
        .offset:         96
        .size:           8
        .value_kind:     global_buffer
      - .actual_access:  read_only
        .address_space:  global
        .offset:         104
        .size:           8
        .value_kind:     global_buffer
      - .actual_access:  read_only
        .address_space:  global
        .offset:         112
        .size:           8
        .value_kind:     global_buffer
      - .actual_access:  read_only
        .address_space:  global
        .offset:         120
        .size:           8
        .value_kind:     global_buffer
      - .actual_access:  write_only
        .address_space:  global
        .offset:         128
        .size:           8
        .value_kind:     global_buffer
      - .actual_access:  write_only
        .address_space:  global
        .offset:         136
        .size:           8
        .value_kind:     global_buffer
      - .offset:         144
        .size:           4
        .value_kind:     by_value
      - .offset:         148
        .size:           4
        .value_kind:     by_value
      - .offset:         152
        .size:           4
        .value_kind:     by_value
      - .offset:         156
        .size:           4
        .value_kind:     by_value
      - .offset:         160
        .size:           1
        .value_kind:     by_value
      - .offset:         161
        .size:           1
        .value_kind:     by_value
      - .offset:         162
        .size:           1
        .value_kind:     by_value
    .group_segment_fixed_size: 9216
    .kernarg_segment_align: 8
    .kernarg_segment_size: 164
    .language:       OpenCL C
    .language_version:
      - 2
      - 0
    .max_flat_workgroup_size: 256
    .name:           _ZN9rocsparseL27bsrgemm_fill_wf_per_row_2x2ILj256ELj16ELj16ELj137EiidEEv20rocsparse_direction_T4_S2_PKS2_S4_NS_24const_host_device_scalarIT5_EEPKT3_S4_PKS6_SA_S4_SC_S7_SA_S4_SC_SA_PS2_PS6_21rocsparse_index_base_SF_SF_SF_bbb
    .private_segment_fixed_size: 0
    .sgpr_count:     58
    .sgpr_spill_count: 0
    .symbol:         _ZN9rocsparseL27bsrgemm_fill_wf_per_row_2x2ILj256ELj16ELj16ELj137EiidEEv20rocsparse_direction_T4_S2_PKS2_S4_NS_24const_host_device_scalarIT5_EEPKT3_S4_PKS6_SA_S4_SC_S7_SA_S4_SC_SA_PS2_PS6_21rocsparse_index_base_SF_SF_SF_bbb.kd
    .uniform_work_group_size: 1
    .uses_dynamic_stack: false
    .vgpr_count:     42
    .vgpr_spill_count: 0
    .wavefront_size: 64
  - .agpr_count:     0
    .args:
      - .offset:         0
        .size:           4
        .value_kind:     by_value
      - .offset:         4
        .size:           4
        .value_kind:     by_value
      - .offset:         8
        .size:           4
        .value_kind:     by_value
      - .actual_access:  read_only
        .address_space:  global
        .offset:         16
        .size:           8
        .value_kind:     global_buffer
      - .actual_access:  read_only
        .address_space:  global
        .offset:         24
        .size:           8
        .value_kind:     global_buffer
      - .offset:         32
        .size:           8
        .value_kind:     by_value
      - .actual_access:  read_only
        .address_space:  global
        .offset:         40
        .size:           8
        .value_kind:     global_buffer
      - .actual_access:  read_only
        .address_space:  global
        .offset:         48
        .size:           8
        .value_kind:     global_buffer
      - .actual_access:  read_only
        .address_space:  global
        .offset:         56
        .size:           8
        .value_kind:     global_buffer
      - .actual_access:  read_only
        .address_space:  global
        .offset:         64
        .size:           8
        .value_kind:     global_buffer
      - .actual_access:  read_only
        .address_space:  global
        .offset:         72
        .size:           8
        .value_kind:     global_buffer
      - .actual_access:  read_only
        .address_space:  global
        .offset:         80
        .size:           8
        .value_kind:     global_buffer
      - .offset:         88
        .size:           8
        .value_kind:     by_value
      - .actual_access:  read_only
        .address_space:  global
        .offset:         96
        .size:           8
        .value_kind:     global_buffer
      - .actual_access:  read_only
        .address_space:  global
        .offset:         104
        .size:           8
        .value_kind:     global_buffer
      - .actual_access:  read_only
        .address_space:  global
        .offset:         112
        .size:           8
        .value_kind:     global_buffer
      - .actual_access:  read_only
        .address_space:  global
        .offset:         120
        .size:           8
        .value_kind:     global_buffer
      - .actual_access:  write_only
        .address_space:  global
        .offset:         128
        .size:           8
        .value_kind:     global_buffer
      - .actual_access:  write_only
        .address_space:  global
        .offset:         136
        .size:           8
        .value_kind:     global_buffer
      - .offset:         144
        .size:           4
        .value_kind:     by_value
      - .offset:         148
        .size:           4
        .value_kind:     by_value
      - .offset:         152
        .size:           4
        .value_kind:     by_value
      - .offset:         156
        .size:           4
        .value_kind:     by_value
      - .offset:         160
        .size:           1
        .value_kind:     by_value
      - .offset:         161
        .size:           1
        .value_kind:     by_value
      - .offset:         162
        .size:           1
        .value_kind:     by_value
    .group_segment_fixed_size: 18432
    .kernarg_segment_align: 8
    .kernarg_segment_size: 164
    .language:       OpenCL C
    .language_version:
      - 2
      - 0
    .max_flat_workgroup_size: 256
    .name:           _ZN9rocsparseL27bsrgemm_fill_wf_per_row_2x2ILj256ELj16ELj32ELj137EiidEEv20rocsparse_direction_T4_S2_PKS2_S4_NS_24const_host_device_scalarIT5_EEPKT3_S4_PKS6_SA_S4_SC_S7_SA_S4_SC_SA_PS2_PS6_21rocsparse_index_base_SF_SF_SF_bbb
    .private_segment_fixed_size: 0
    .sgpr_count:     58
    .sgpr_spill_count: 0
    .symbol:         _ZN9rocsparseL27bsrgemm_fill_wf_per_row_2x2ILj256ELj16ELj32ELj137EiidEEv20rocsparse_direction_T4_S2_PKS2_S4_NS_24const_host_device_scalarIT5_EEPKT3_S4_PKS6_SA_S4_SC_S7_SA_S4_SC_SA_PS2_PS6_21rocsparse_index_base_SF_SF_SF_bbb.kd
    .uniform_work_group_size: 1
    .uses_dynamic_stack: false
    .vgpr_count:     43
    .vgpr_spill_count: 0
    .wavefront_size: 64
  - .agpr_count:     0
    .args:
      - .offset:         0
        .size:           4
        .value_kind:     by_value
      - .offset:         4
        .size:           4
        .value_kind:     by_value
      - .offset:         8
        .size:           4
        .value_kind:     by_value
      - .actual_access:  read_only
        .address_space:  global
        .offset:         16
        .size:           8
        .value_kind:     global_buffer
      - .actual_access:  read_only
        .address_space:  global
        .offset:         24
        .size:           8
        .value_kind:     global_buffer
      - .offset:         32
        .size:           8
        .value_kind:     by_value
      - .actual_access:  read_only
        .address_space:  global
        .offset:         40
        .size:           8
        .value_kind:     global_buffer
      - .actual_access:  read_only
        .address_space:  global
        .offset:         48
        .size:           8
        .value_kind:     global_buffer
      - .actual_access:  read_only
        .address_space:  global
        .offset:         56
        .size:           8
        .value_kind:     global_buffer
      - .actual_access:  read_only
        .address_space:  global
        .offset:         64
        .size:           8
        .value_kind:     global_buffer
      - .actual_access:  read_only
        .address_space:  global
        .offset:         72
        .size:           8
        .value_kind:     global_buffer
      - .actual_access:  read_only
        .address_space:  global
        .offset:         80
        .size:           8
        .value_kind:     global_buffer
      - .offset:         88
        .size:           8
        .value_kind:     by_value
      - .actual_access:  read_only
        .address_space:  global
        .offset:         96
        .size:           8
        .value_kind:     global_buffer
      - .actual_access:  read_only
        .address_space:  global
        .offset:         104
        .size:           8
        .value_kind:     global_buffer
      - .actual_access:  read_only
        .address_space:  global
        .offset:         112
        .size:           8
        .value_kind:     global_buffer
      - .actual_access:  read_only
        .address_space:  global
        .offset:         120
        .size:           8
        .value_kind:     global_buffer
      - .actual_access:  write_only
        .address_space:  global
        .offset:         128
        .size:           8
        .value_kind:     global_buffer
      - .actual_access:  write_only
        .address_space:  global
        .offset:         136
        .size:           8
        .value_kind:     global_buffer
      - .offset:         144
        .size:           4
        .value_kind:     by_value
      - .offset:         148
        .size:           4
        .value_kind:     by_value
      - .offset:         152
        .size:           4
        .value_kind:     by_value
      - .offset:         156
        .size:           4
        .value_kind:     by_value
      - .offset:         160
        .size:           1
        .value_kind:     by_value
      - .offset:         161
        .size:           1
        .value_kind:     by_value
      - .offset:         162
        .size:           1
        .value_kind:     by_value
    .group_segment_fixed_size: 0
    .kernarg_segment_align: 8
    .kernarg_segment_size: 164
    .language:       OpenCL C
    .language_version:
      - 2
      - 0
    .max_flat_workgroup_size: 256
    .name:           _ZN9rocsparseL30bsrgemm_fill_block_per_row_2x2ILj256ELj16ELj64ELj137EiidEEv20rocsparse_direction_T4_S2_PKS2_S4_NS_24const_host_device_scalarIT5_EEPKT3_S4_PKS6_SA_S4_SC_S7_SA_S4_SC_SA_PS2_PS6_21rocsparse_index_base_SF_SF_SF_bbb
    .private_segment_fixed_size: 0
    .sgpr_count:     52
    .sgpr_spill_count: 0
    .symbol:         _ZN9rocsparseL30bsrgemm_fill_block_per_row_2x2ILj256ELj16ELj64ELj137EiidEEv20rocsparse_direction_T4_S2_PKS2_S4_NS_24const_host_device_scalarIT5_EEPKT3_S4_PKS6_SA_S4_SC_S7_SA_S4_SC_SA_PS2_PS6_21rocsparse_index_base_SF_SF_SF_bbb.kd
    .uniform_work_group_size: 1
    .uses_dynamic_stack: false
    .vgpr_count:     36
    .vgpr_spill_count: 0
    .wavefront_size: 64
  - .agpr_count:     0
    .args:
      - .offset:         0
        .size:           4
        .value_kind:     by_value
      - .offset:         4
        .size:           4
        .value_kind:     by_value
      - .offset:         8
        .size:           4
        .value_kind:     by_value
      - .actual_access:  read_only
        .address_space:  global
        .offset:         16
        .size:           8
        .value_kind:     global_buffer
      - .actual_access:  read_only
        .address_space:  global
        .offset:         24
        .size:           8
        .value_kind:     global_buffer
      - .offset:         32
        .size:           8
        .value_kind:     by_value
      - .actual_access:  read_only
        .address_space:  global
        .offset:         40
        .size:           8
        .value_kind:     global_buffer
      - .actual_access:  read_only
        .address_space:  global
        .offset:         48
        .size:           8
        .value_kind:     global_buffer
      - .actual_access:  read_only
        .address_space:  global
        .offset:         56
        .size:           8
        .value_kind:     global_buffer
      - .actual_access:  read_only
        .address_space:  global
        .offset:         64
        .size:           8
        .value_kind:     global_buffer
      - .actual_access:  read_only
        .address_space:  global
        .offset:         72
        .size:           8
        .value_kind:     global_buffer
      - .actual_access:  read_only
        .address_space:  global
        .offset:         80
        .size:           8
        .value_kind:     global_buffer
      - .offset:         88
        .size:           8
        .value_kind:     by_value
      - .actual_access:  read_only
        .address_space:  global
        .offset:         96
        .size:           8
        .value_kind:     global_buffer
      - .actual_access:  read_only
        .address_space:  global
        .offset:         104
        .size:           8
        .value_kind:     global_buffer
      - .actual_access:  read_only
        .address_space:  global
        .offset:         112
        .size:           8
        .value_kind:     global_buffer
      - .actual_access:  read_only
        .address_space:  global
        .offset:         120
        .size:           8
        .value_kind:     global_buffer
      - .actual_access:  write_only
        .address_space:  global
        .offset:         128
        .size:           8
        .value_kind:     global_buffer
      - .actual_access:  write_only
        .address_space:  global
        .offset:         136
        .size:           8
        .value_kind:     global_buffer
      - .offset:         144
        .size:           4
        .value_kind:     by_value
      - .offset:         148
        .size:           4
        .value_kind:     by_value
      - .offset:         152
        .size:           4
        .value_kind:     by_value
      - .offset:         156
        .size:           4
        .value_kind:     by_value
      - .offset:         160
        .size:           1
        .value_kind:     by_value
      - .offset:         161
        .size:           1
        .value_kind:     by_value
      - .offset:         162
        .size:           1
        .value_kind:     by_value
    .group_segment_fixed_size: 0
    .kernarg_segment_align: 8
    .kernarg_segment_size: 164
    .language:       OpenCL C
    .language_version:
      - 2
      - 0
    .max_flat_workgroup_size: 256
    .name:           _ZN9rocsparseL30bsrgemm_fill_block_per_row_2x2ILj256ELj16ELj128ELj137EiidEEv20rocsparse_direction_T4_S2_PKS2_S4_NS_24const_host_device_scalarIT5_EEPKT3_S4_PKS6_SA_S4_SC_S7_SA_S4_SC_SA_PS2_PS6_21rocsparse_index_base_SF_SF_SF_bbb
    .private_segment_fixed_size: 0
    .sgpr_count:     62
    .sgpr_spill_count: 0
    .symbol:         _ZN9rocsparseL30bsrgemm_fill_block_per_row_2x2ILj256ELj16ELj128ELj137EiidEEv20rocsparse_direction_T4_S2_PKS2_S4_NS_24const_host_device_scalarIT5_EEPKT3_S4_PKS6_SA_S4_SC_S7_SA_S4_SC_SA_PS2_PS6_21rocsparse_index_base_SF_SF_SF_bbb.kd
    .uniform_work_group_size: 1
    .uses_dynamic_stack: false
    .vgpr_count:     36
    .vgpr_spill_count: 0
    .wavefront_size: 64
  - .agpr_count:     0
    .args:
      - .offset:         0
        .size:           4
        .value_kind:     by_value
      - .offset:         4
        .size:           4
        .value_kind:     by_value
      - .offset:         8
        .size:           4
        .value_kind:     by_value
      - .actual_access:  read_only
        .address_space:  global
        .offset:         16
        .size:           8
        .value_kind:     global_buffer
      - .actual_access:  read_only
        .address_space:  global
        .offset:         24
        .size:           8
        .value_kind:     global_buffer
      - .offset:         32
        .size:           8
        .value_kind:     by_value
      - .actual_access:  read_only
        .address_space:  global
        .offset:         40
        .size:           8
        .value_kind:     global_buffer
      - .actual_access:  read_only
        .address_space:  global
        .offset:         48
        .size:           8
        .value_kind:     global_buffer
      - .actual_access:  read_only
        .address_space:  global
        .offset:         56
        .size:           8
        .value_kind:     global_buffer
      - .actual_access:  read_only
        .address_space:  global
        .offset:         64
        .size:           8
        .value_kind:     global_buffer
      - .actual_access:  read_only
        .address_space:  global
        .offset:         72
        .size:           8
        .value_kind:     global_buffer
      - .actual_access:  read_only
        .address_space:  global
        .offset:         80
        .size:           8
        .value_kind:     global_buffer
      - .offset:         88
        .size:           8
        .value_kind:     by_value
      - .actual_access:  read_only
        .address_space:  global
        .offset:         96
        .size:           8
        .value_kind:     global_buffer
      - .actual_access:  read_only
        .address_space:  global
        .offset:         104
        .size:           8
        .value_kind:     global_buffer
      - .actual_access:  read_only
        .address_space:  global
        .offset:         112
        .size:           8
        .value_kind:     global_buffer
      - .actual_access:  read_only
        .address_space:  global
        .offset:         120
        .size:           8
        .value_kind:     global_buffer
      - .actual_access:  write_only
        .address_space:  global
        .offset:         128
        .size:           8
        .value_kind:     global_buffer
      - .actual_access:  write_only
        .address_space:  global
        .offset:         136
        .size:           8
        .value_kind:     global_buffer
      - .offset:         144
        .size:           4
        .value_kind:     by_value
      - .offset:         148
        .size:           4
        .value_kind:     by_value
      - .offset:         152
        .size:           4
        .value_kind:     by_value
      - .offset:         156
        .size:           4
        .value_kind:     by_value
      - .offset:         160
        .size:           1
        .value_kind:     by_value
      - .offset:         161
        .size:           1
        .value_kind:     by_value
      - .offset:         162
        .size:           1
        .value_kind:     by_value
    .group_segment_fixed_size: 0
    .kernarg_segment_align: 8
    .kernarg_segment_size: 164
    .language:       OpenCL C
    .language_version:
      - 2
      - 0
    .max_flat_workgroup_size: 256
    .name:           _ZN9rocsparseL30bsrgemm_fill_block_per_row_2x2ILj256ELj16ELj256ELj137EiidEEv20rocsparse_direction_T4_S2_PKS2_S4_NS_24const_host_device_scalarIT5_EEPKT3_S4_PKS6_SA_S4_SC_S7_SA_S4_SC_SA_PS2_PS6_21rocsparse_index_base_SF_SF_SF_bbb
    .private_segment_fixed_size: 0
    .sgpr_count:     62
    .sgpr_spill_count: 0
    .symbol:         _ZN9rocsparseL30bsrgemm_fill_block_per_row_2x2ILj256ELj16ELj256ELj137EiidEEv20rocsparse_direction_T4_S2_PKS2_S4_NS_24const_host_device_scalarIT5_EEPKT3_S4_PKS6_SA_S4_SC_S7_SA_S4_SC_SA_PS2_PS6_21rocsparse_index_base_SF_SF_SF_bbb.kd
    .uniform_work_group_size: 1
    .uses_dynamic_stack: false
    .vgpr_count:     40
    .vgpr_spill_count: 0
    .wavefront_size: 64
  - .agpr_count:     0
    .args:
      - .offset:         0
        .size:           4
        .value_kind:     by_value
      - .offset:         4
        .size:           4
        .value_kind:     by_value
      - .offset:         8
        .size:           4
        .value_kind:     by_value
      - .actual_access:  read_only
        .address_space:  global
        .offset:         16
        .size:           8
        .value_kind:     global_buffer
      - .actual_access:  read_only
        .address_space:  global
        .offset:         24
        .size:           8
        .value_kind:     global_buffer
      - .offset:         32
        .size:           8
        .value_kind:     by_value
      - .actual_access:  read_only
        .address_space:  global
        .offset:         40
        .size:           8
        .value_kind:     global_buffer
      - .actual_access:  read_only
        .address_space:  global
        .offset:         48
        .size:           8
        .value_kind:     global_buffer
      - .actual_access:  read_only
        .address_space:  global
        .offset:         56
        .size:           8
        .value_kind:     global_buffer
      - .actual_access:  read_only
        .address_space:  global
        .offset:         64
        .size:           8
        .value_kind:     global_buffer
      - .actual_access:  read_only
        .address_space:  global
        .offset:         72
        .size:           8
        .value_kind:     global_buffer
      - .actual_access:  read_only
        .address_space:  global
        .offset:         80
        .size:           8
        .value_kind:     global_buffer
      - .offset:         88
        .size:           8
        .value_kind:     by_value
      - .actual_access:  read_only
        .address_space:  global
        .offset:         96
        .size:           8
        .value_kind:     global_buffer
      - .actual_access:  read_only
        .address_space:  global
        .offset:         104
        .size:           8
        .value_kind:     global_buffer
      - .actual_access:  read_only
        .address_space:  global
        .offset:         112
        .size:           8
        .value_kind:     global_buffer
      - .actual_access:  read_only
        .address_space:  global
        .offset:         120
        .size:           8
        .value_kind:     global_buffer
      - .actual_access:  write_only
        .address_space:  global
        .offset:         128
        .size:           8
        .value_kind:     global_buffer
      - .actual_access:  write_only
        .address_space:  global
        .offset:         136
        .size:           8
        .value_kind:     global_buffer
      - .offset:         144
        .size:           4
        .value_kind:     by_value
      - .offset:         148
        .size:           4
        .value_kind:     by_value
      - .offset:         152
        .size:           4
        .value_kind:     by_value
      - .offset:         156
        .size:           4
        .value_kind:     by_value
      - .offset:         160
        .size:           1
        .value_kind:     by_value
      - .offset:         161
        .size:           1
        .value_kind:     by_value
      - .offset:         162
        .size:           1
        .value_kind:     by_value
    .group_segment_fixed_size: 0
    .kernarg_segment_align: 8
    .kernarg_segment_size: 164
    .language:       OpenCL C
    .language_version:
      - 2
      - 0
    .max_flat_workgroup_size: 256
    .name:           _ZN9rocsparseL30bsrgemm_fill_block_per_row_2x2ILj256ELj16ELj512ELj137EiidEEv20rocsparse_direction_T4_S2_PKS2_S4_NS_24const_host_device_scalarIT5_EEPKT3_S4_PKS6_SA_S4_SC_S7_SA_S4_SC_SA_PS2_PS6_21rocsparse_index_base_SF_SF_SF_bbb
    .private_segment_fixed_size: 0
    .sgpr_count:     62
    .sgpr_spill_count: 0
    .symbol:         _ZN9rocsparseL30bsrgemm_fill_block_per_row_2x2ILj256ELj16ELj512ELj137EiidEEv20rocsparse_direction_T4_S2_PKS2_S4_NS_24const_host_device_scalarIT5_EEPKT3_S4_PKS6_SA_S4_SC_S7_SA_S4_SC_SA_PS2_PS6_21rocsparse_index_base_SF_SF_SF_bbb.kd
    .uniform_work_group_size: 1
    .uses_dynamic_stack: false
    .vgpr_count:     38
    .vgpr_spill_count: 0
    .wavefront_size: 64
  - .agpr_count:     0
    .args:
      - .offset:         0
        .size:           4
        .value_kind:     by_value
      - .offset:         4
        .size:           4
        .value_kind:     by_value
      - .offset:         8
        .size:           4
        .value_kind:     by_value
      - .actual_access:  read_only
        .address_space:  global
        .offset:         16
        .size:           8
        .value_kind:     global_buffer
      - .actual_access:  read_only
        .address_space:  global
        .offset:         24
        .size:           8
        .value_kind:     global_buffer
      - .offset:         32
        .size:           8
        .value_kind:     by_value
      - .actual_access:  read_only
        .address_space:  global
        .offset:         40
        .size:           8
        .value_kind:     global_buffer
      - .actual_access:  read_only
        .address_space:  global
        .offset:         48
        .size:           8
        .value_kind:     global_buffer
      - .actual_access:  read_only
        .address_space:  global
        .offset:         56
        .size:           8
        .value_kind:     global_buffer
      - .actual_access:  read_only
        .address_space:  global
        .offset:         64
        .size:           8
        .value_kind:     global_buffer
      - .actual_access:  read_only
        .address_space:  global
        .offset:         72
        .size:           8
        .value_kind:     global_buffer
      - .actual_access:  read_only
        .address_space:  global
        .offset:         80
        .size:           8
        .value_kind:     global_buffer
      - .offset:         88
        .size:           8
        .value_kind:     by_value
      - .actual_access:  read_only
        .address_space:  global
        .offset:         96
        .size:           8
        .value_kind:     global_buffer
      - .actual_access:  read_only
        .address_space:  global
        .offset:         104
        .size:           8
        .value_kind:     global_buffer
      - .actual_access:  read_only
        .address_space:  global
        .offset:         112
        .size:           8
        .value_kind:     global_buffer
      - .actual_access:  read_only
        .address_space:  global
        .offset:         120
        .size:           8
        .value_kind:     global_buffer
      - .actual_access:  write_only
        .address_space:  global
        .offset:         128
        .size:           8
        .value_kind:     global_buffer
      - .actual_access:  write_only
        .address_space:  global
        .offset:         136
        .size:           8
        .value_kind:     global_buffer
      - .address_space:  global
        .offset:         144
        .size:           8
        .value_kind:     global_buffer
      - .offset:         152
        .size:           4
        .value_kind:     by_value
      - .offset:         156
        .size:           4
        .value_kind:     by_value
      - .offset:         160
        .size:           4
        .value_kind:     by_value
      - .offset:         164
        .size:           4
        .value_kind:     by_value
      - .offset:         168
        .size:           1
        .value_kind:     by_value
      - .offset:         169
        .size:           1
        .value_kind:     by_value
      - .offset:         170
        .size:           1
        .value_kind:     by_value
    .group_segment_fixed_size: 11272
    .kernarg_segment_align: 8
    .kernarg_segment_size: 172
    .language:       OpenCL C
    .language_version:
      - 2
      - 0
    .max_flat_workgroup_size: 256
    .name:           _ZN9rocsparseL38bsrgemm_block_per_row_atomic_multipassILj256ELj256ELj2EiidEEv20rocsparse_direction_T3_S2_PKS2_S4_NS_24const_host_device_scalarIT4_EEPKT2_S4_PKS6_SA_S4_SC_S7_SA_S4_SC_SA_PS2_PS6_PS8_21rocsparse_index_base_SG_SG_SG_bbb
    .private_segment_fixed_size: 0
    .sgpr_count:     97
    .sgpr_spill_count: 0
    .symbol:         _ZN9rocsparseL38bsrgemm_block_per_row_atomic_multipassILj256ELj256ELj2EiidEEv20rocsparse_direction_T3_S2_PKS2_S4_NS_24const_host_device_scalarIT4_EEPKT2_S4_PKS6_SA_S4_SC_S7_SA_S4_SC_SA_PS2_PS6_PS8_21rocsparse_index_base_SG_SG_SG_bbb.kd
    .uniform_work_group_size: 1
    .uses_dynamic_stack: false
    .vgpr_count:     50
    .vgpr_spill_count: 0
    .wavefront_size: 64
  - .agpr_count:     0
    .args:
      - .offset:         0
        .size:           4
        .value_kind:     by_value
      - .offset:         4
        .size:           4
        .value_kind:     by_value
      - .offset:         8
        .size:           4
        .value_kind:     by_value
      - .offset:         12
        .size:           4
        .value_kind:     by_value
      - .actual_access:  read_only
        .address_space:  global
        .offset:         16
        .size:           8
        .value_kind:     global_buffer
      - .actual_access:  read_only
        .address_space:  global
        .offset:         24
        .size:           8
        .value_kind:     global_buffer
      - .offset:         32
        .size:           8
        .value_kind:     by_value
      - .actual_access:  read_only
        .address_space:  global
        .offset:         40
        .size:           8
        .value_kind:     global_buffer
      - .actual_access:  read_only
        .address_space:  global
        .offset:         48
        .size:           8
        .value_kind:     global_buffer
      - .actual_access:  read_only
        .address_space:  global
        .offset:         56
        .size:           8
        .value_kind:     global_buffer
      - .actual_access:  read_only
        .address_space:  global
        .offset:         64
        .size:           8
        .value_kind:     global_buffer
      - .actual_access:  read_only
        .address_space:  global
        .offset:         72
        .size:           8
        .value_kind:     global_buffer
      - .actual_access:  read_only
        .address_space:  global
        .offset:         80
        .size:           8
        .value_kind:     global_buffer
      - .offset:         88
        .size:           8
        .value_kind:     by_value
      - .actual_access:  read_only
        .address_space:  global
        .offset:         96
        .size:           8
        .value_kind:     global_buffer
      - .actual_access:  read_only
        .address_space:  global
        .offset:         104
        .size:           8
        .value_kind:     global_buffer
      - .actual_access:  read_only
        .address_space:  global
        .offset:         112
        .size:           8
        .value_kind:     global_buffer
      - .actual_access:  read_only
        .address_space:  global
        .offset:         120
        .size:           8
        .value_kind:     global_buffer
      - .actual_access:  write_only
        .address_space:  global
        .offset:         128
        .size:           8
        .value_kind:     global_buffer
      - .actual_access:  write_only
        .address_space:  global
        .offset:         136
        .size:           8
        .value_kind:     global_buffer
      - .offset:         144
        .size:           4
        .value_kind:     by_value
      - .offset:         148
        .size:           4
        .value_kind:     by_value
      - .offset:         152
        .size:           4
        .value_kind:     by_value
      - .offset:         156
        .size:           4
        .value_kind:     by_value
      - .offset:         160
        .size:           1
        .value_kind:     by_value
      - .offset:         161
        .size:           1
        .value_kind:     by_value
      - .offset:         162
        .size:           1
        .value_kind:     by_value
    .group_segment_fixed_size: 4224
    .kernarg_segment_align: 8
    .kernarg_segment_size: 164
    .language:       OpenCL C
    .language_version:
      - 2
      - 0
    .max_flat_workgroup_size: 256
    .name:           _ZN9rocsparseL23bsrgemm_fill_wf_per_rowILj256ELj64ELj8ELj137ELj4EiidEEv20rocsparse_direction_T5_S2_S2_PKS2_S4_NS_24const_host_device_scalarIT6_EEPKT4_S4_PKS6_SA_S4_SC_S7_SA_S4_SC_SA_PS2_PS6_21rocsparse_index_base_SF_SF_SF_bbb
    .private_segment_fixed_size: 0
    .sgpr_count:     66
    .sgpr_spill_count: 0
    .symbol:         _ZN9rocsparseL23bsrgemm_fill_wf_per_rowILj256ELj64ELj8ELj137ELj4EiidEEv20rocsparse_direction_T5_S2_S2_PKS2_S4_NS_24const_host_device_scalarIT6_EEPKT4_S4_PKS6_SA_S4_SC_S7_SA_S4_SC_SA_PS2_PS6_21rocsparse_index_base_SF_SF_SF_bbb.kd
    .uniform_work_group_size: 1
    .uses_dynamic_stack: false
    .vgpr_count:     40
    .vgpr_spill_count: 0
    .wavefront_size: 64
  - .agpr_count:     0
    .args:
      - .offset:         0
        .size:           4
        .value_kind:     by_value
      - .offset:         4
        .size:           4
        .value_kind:     by_value
      - .offset:         8
        .size:           4
        .value_kind:     by_value
      - .offset:         12
        .size:           4
        .value_kind:     by_value
      - .actual_access:  read_only
        .address_space:  global
        .offset:         16
        .size:           8
        .value_kind:     global_buffer
      - .actual_access:  read_only
        .address_space:  global
        .offset:         24
        .size:           8
        .value_kind:     global_buffer
      - .offset:         32
        .size:           8
        .value_kind:     by_value
      - .actual_access:  read_only
        .address_space:  global
        .offset:         40
        .size:           8
        .value_kind:     global_buffer
      - .actual_access:  read_only
        .address_space:  global
        .offset:         48
        .size:           8
        .value_kind:     global_buffer
      - .actual_access:  read_only
        .address_space:  global
        .offset:         56
        .size:           8
        .value_kind:     global_buffer
      - .actual_access:  read_only
        .address_space:  global
        .offset:         64
        .size:           8
        .value_kind:     global_buffer
      - .actual_access:  read_only
        .address_space:  global
        .offset:         72
        .size:           8
        .value_kind:     global_buffer
      - .actual_access:  read_only
        .address_space:  global
        .offset:         80
        .size:           8
        .value_kind:     global_buffer
      - .offset:         88
        .size:           8
        .value_kind:     by_value
      - .actual_access:  read_only
        .address_space:  global
        .offset:         96
        .size:           8
        .value_kind:     global_buffer
      - .actual_access:  read_only
        .address_space:  global
        .offset:         104
        .size:           8
        .value_kind:     global_buffer
      - .actual_access:  read_only
        .address_space:  global
        .offset:         112
        .size:           8
        .value_kind:     global_buffer
      - .actual_access:  read_only
        .address_space:  global
        .offset:         120
        .size:           8
        .value_kind:     global_buffer
      - .actual_access:  write_only
        .address_space:  global
        .offset:         128
        .size:           8
        .value_kind:     global_buffer
      - .actual_access:  write_only
        .address_space:  global
        .offset:         136
        .size:           8
        .value_kind:     global_buffer
      - .offset:         144
        .size:           4
        .value_kind:     by_value
      - .offset:         148
        .size:           4
        .value_kind:     by_value
      - .offset:         152
        .size:           4
        .value_kind:     by_value
      - .offset:         156
        .size:           4
        .value_kind:     by_value
      - .offset:         160
        .size:           1
        .value_kind:     by_value
      - .offset:         161
        .size:           1
        .value_kind:     by_value
      - .offset:         162
        .size:           1
        .value_kind:     by_value
    .group_segment_fixed_size: 8448
    .kernarg_segment_align: 8
    .kernarg_segment_size: 164
    .language:       OpenCL C
    .language_version:
      - 2
      - 0
    .max_flat_workgroup_size: 256
    .name:           _ZN9rocsparseL23bsrgemm_fill_wf_per_rowILj256ELj64ELj16ELj137ELj4EiidEEv20rocsparse_direction_T5_S2_S2_PKS2_S4_NS_24const_host_device_scalarIT6_EEPKT4_S4_PKS6_SA_S4_SC_S7_SA_S4_SC_SA_PS2_PS6_21rocsparse_index_base_SF_SF_SF_bbb
    .private_segment_fixed_size: 0
    .sgpr_count:     66
    .sgpr_spill_count: 0
    .symbol:         _ZN9rocsparseL23bsrgemm_fill_wf_per_rowILj256ELj64ELj16ELj137ELj4EiidEEv20rocsparse_direction_T5_S2_S2_PKS2_S4_NS_24const_host_device_scalarIT6_EEPKT4_S4_PKS6_SA_S4_SC_S7_SA_S4_SC_SA_PS2_PS6_21rocsparse_index_base_SF_SF_SF_bbb.kd
    .uniform_work_group_size: 1
    .uses_dynamic_stack: false
    .vgpr_count:     40
    .vgpr_spill_count: 0
    .wavefront_size: 64
  - .agpr_count:     0
    .args:
      - .offset:         0
        .size:           4
        .value_kind:     by_value
      - .offset:         4
        .size:           4
        .value_kind:     by_value
      - .offset:         8
        .size:           4
        .value_kind:     by_value
      - .actual_access:  read_only
        .address_space:  global
        .offset:         16
        .size:           8
        .value_kind:     global_buffer
      - .actual_access:  read_only
        .address_space:  global
        .offset:         24
        .size:           8
        .value_kind:     global_buffer
      - .offset:         32
        .size:           8
        .value_kind:     by_value
      - .actual_access:  read_only
        .address_space:  global
        .offset:         40
        .size:           8
        .value_kind:     global_buffer
      - .actual_access:  read_only
        .address_space:  global
        .offset:         48
        .size:           8
        .value_kind:     global_buffer
      - .actual_access:  read_only
        .address_space:  global
        .offset:         56
        .size:           8
        .value_kind:     global_buffer
      - .actual_access:  read_only
        .address_space:  global
        .offset:         64
        .size:           8
        .value_kind:     global_buffer
      - .actual_access:  read_only
        .address_space:  global
        .offset:         72
        .size:           8
        .value_kind:     global_buffer
      - .actual_access:  read_only
        .address_space:  global
        .offset:         80
        .size:           8
        .value_kind:     global_buffer
      - .offset:         88
        .size:           8
        .value_kind:     by_value
      - .actual_access:  read_only
        .address_space:  global
        .offset:         96
        .size:           8
        .value_kind:     global_buffer
      - .actual_access:  read_only
        .address_space:  global
        .offset:         104
        .size:           8
        .value_kind:     global_buffer
      - .actual_access:  read_only
        .address_space:  global
        .offset:         112
        .size:           8
        .value_kind:     global_buffer
      - .actual_access:  read_only
        .address_space:  global
        .offset:         120
        .size:           8
        .value_kind:     global_buffer
      - .actual_access:  write_only
        .address_space:  global
        .offset:         128
        .size:           8
        .value_kind:     global_buffer
      - .actual_access:  write_only
        .address_space:  global
        .offset:         136
        .size:           8
        .value_kind:     global_buffer
      - .address_space:  global
        .offset:         144
        .size:           8
        .value_kind:     global_buffer
      - .offset:         152
        .size:           4
        .value_kind:     by_value
      - .offset:         156
        .size:           4
        .value_kind:     by_value
      - .offset:         160
        .size:           4
        .value_kind:     by_value
      - .offset:         164
        .size:           4
        .value_kind:     by_value
      - .offset:         168
        .size:           1
        .value_kind:     by_value
      - .offset:         169
        .size:           1
        .value_kind:     by_value
      - .offset:         170
        .size:           1
        .value_kind:     by_value
    .group_segment_fixed_size: 6280
    .kernarg_segment_align: 8
    .kernarg_segment_size: 172
    .language:       OpenCL C
    .language_version:
      - 2
      - 0
    .max_flat_workgroup_size: 256
    .name:           _ZN9rocsparseL38bsrgemm_block_per_row_atomic_multipassILj256ELj32ELj4EiidEEv20rocsparse_direction_T3_S2_PKS2_S4_NS_24const_host_device_scalarIT4_EEPKT2_S4_PKS6_SA_S4_SC_S7_SA_S4_SC_SA_PS2_PS6_PS8_21rocsparse_index_base_SG_SG_SG_bbb
    .private_segment_fixed_size: 0
    .sgpr_count:     91
    .sgpr_spill_count: 0
    .symbol:         _ZN9rocsparseL38bsrgemm_block_per_row_atomic_multipassILj256ELj32ELj4EiidEEv20rocsparse_direction_T3_S2_PKS2_S4_NS_24const_host_device_scalarIT4_EEPKT2_S4_PKS6_SA_S4_SC_S7_SA_S4_SC_SA_PS2_PS6_PS8_21rocsparse_index_base_SG_SG_SG_bbb.kd
    .uniform_work_group_size: 1
    .uses_dynamic_stack: false
    .vgpr_count:     46
    .vgpr_spill_count: 0
    .wavefront_size: 64
  - .agpr_count:     0
    .args:
      - .offset:         0
        .size:           4
        .value_kind:     by_value
      - .offset:         4
        .size:           4
        .value_kind:     by_value
      - .offset:         8
        .size:           4
        .value_kind:     by_value
      - .actual_access:  read_only
        .address_space:  global
        .offset:         16
        .size:           8
        .value_kind:     global_buffer
      - .actual_access:  read_only
        .address_space:  global
        .offset:         24
        .size:           8
        .value_kind:     global_buffer
      - .offset:         32
        .size:           8
        .value_kind:     by_value
      - .actual_access:  read_only
        .address_space:  global
        .offset:         40
        .size:           8
        .value_kind:     global_buffer
      - .actual_access:  read_only
        .address_space:  global
        .offset:         48
        .size:           8
        .value_kind:     global_buffer
      - .actual_access:  read_only
        .address_space:  global
        .offset:         56
        .size:           8
        .value_kind:     global_buffer
      - .actual_access:  read_only
        .address_space:  global
        .offset:         64
        .size:           8
        .value_kind:     global_buffer
      - .actual_access:  read_only
        .address_space:  global
        .offset:         72
        .size:           8
        .value_kind:     global_buffer
      - .actual_access:  read_only
        .address_space:  global
        .offset:         80
        .size:           8
        .value_kind:     global_buffer
      - .offset:         88
        .size:           8
        .value_kind:     by_value
      - .actual_access:  read_only
        .address_space:  global
        .offset:         96
        .size:           8
        .value_kind:     global_buffer
      - .actual_access:  read_only
        .address_space:  global
        .offset:         104
        .size:           8
        .value_kind:     global_buffer
      - .actual_access:  read_only
        .address_space:  global
        .offset:         112
        .size:           8
        .value_kind:     global_buffer
      - .actual_access:  read_only
        .address_space:  global
        .offset:         120
        .size:           8
        .value_kind:     global_buffer
      - .actual_access:  write_only
        .address_space:  global
        .offset:         128
        .size:           8
        .value_kind:     global_buffer
      - .actual_access:  write_only
        .address_space:  global
        .offset:         136
        .size:           8
        .value_kind:     global_buffer
      - .address_space:  global
        .offset:         144
        .size:           8
        .value_kind:     global_buffer
      - .offset:         152
        .size:           4
        .value_kind:     by_value
      - .offset:         156
        .size:           4
        .value_kind:     by_value
      - .offset:         160
        .size:           4
        .value_kind:     by_value
      - .offset:         164
        .size:           4
        .value_kind:     by_value
      - .offset:         168
        .size:           1
        .value_kind:     by_value
      - .offset:         169
        .size:           1
        .value_kind:     by_value
      - .offset:         170
        .size:           1
        .value_kind:     by_value
    .group_segment_fixed_size: 10504
    .kernarg_segment_align: 8
    .kernarg_segment_size: 172
    .language:       OpenCL C
    .language_version:
      - 2
      - 0
    .max_flat_workgroup_size: 256
    .name:           _ZN9rocsparseL38bsrgemm_block_per_row_atomic_multipassILj256ELj64ELj4EiidEEv20rocsparse_direction_T3_S2_PKS2_S4_NS_24const_host_device_scalarIT4_EEPKT2_S4_PKS6_SA_S4_SC_S7_SA_S4_SC_SA_PS2_PS6_PS8_21rocsparse_index_base_SG_SG_SG_bbb
    .private_segment_fixed_size: 0
    .sgpr_count:     92
    .sgpr_spill_count: 0
    .symbol:         _ZN9rocsparseL38bsrgemm_block_per_row_atomic_multipassILj256ELj64ELj4EiidEEv20rocsparse_direction_T3_S2_PKS2_S4_NS_24const_host_device_scalarIT4_EEPKT2_S4_PKS6_SA_S4_SC_S7_SA_S4_SC_SA_PS2_PS6_PS8_21rocsparse_index_base_SG_SG_SG_bbb.kd
    .uniform_work_group_size: 1
    .uses_dynamic_stack: false
    .vgpr_count:     48
    .vgpr_spill_count: 0
    .wavefront_size: 64
  - .agpr_count:     0
    .args:
      - .offset:         0
        .size:           4
        .value_kind:     by_value
      - .offset:         4
        .size:           4
        .value_kind:     by_value
      - .offset:         8
        .size:           4
        .value_kind:     by_value
      - .actual_access:  read_only
        .address_space:  global
        .offset:         16
        .size:           8
        .value_kind:     global_buffer
      - .actual_access:  read_only
        .address_space:  global
        .offset:         24
        .size:           8
        .value_kind:     global_buffer
      - .offset:         32
        .size:           8
        .value_kind:     by_value
      - .actual_access:  read_only
        .address_space:  global
        .offset:         40
        .size:           8
        .value_kind:     global_buffer
      - .actual_access:  read_only
        .address_space:  global
        .offset:         48
        .size:           8
        .value_kind:     global_buffer
      - .actual_access:  read_only
        .address_space:  global
        .offset:         56
        .size:           8
        .value_kind:     global_buffer
      - .actual_access:  read_only
        .address_space:  global
        .offset:         64
        .size:           8
        .value_kind:     global_buffer
      - .actual_access:  read_only
        .address_space:  global
        .offset:         72
        .size:           8
        .value_kind:     global_buffer
      - .actual_access:  read_only
        .address_space:  global
        .offset:         80
        .size:           8
        .value_kind:     global_buffer
      - .offset:         88
        .size:           8
        .value_kind:     by_value
      - .actual_access:  read_only
        .address_space:  global
        .offset:         96
        .size:           8
        .value_kind:     global_buffer
      - .actual_access:  read_only
        .address_space:  global
        .offset:         104
        .size:           8
        .value_kind:     global_buffer
      - .actual_access:  read_only
        .address_space:  global
        .offset:         112
        .size:           8
        .value_kind:     global_buffer
      - .actual_access:  read_only
        .address_space:  global
        .offset:         120
        .size:           8
        .value_kind:     global_buffer
      - .actual_access:  write_only
        .address_space:  global
        .offset:         128
        .size:           8
        .value_kind:     global_buffer
      - .actual_access:  write_only
        .address_space:  global
        .offset:         136
        .size:           8
        .value_kind:     global_buffer
      - .address_space:  global
        .offset:         144
        .size:           8
        .value_kind:     global_buffer
      - .offset:         152
        .size:           4
        .value_kind:     by_value
      - .offset:         156
        .size:           4
        .value_kind:     by_value
      - .offset:         160
        .size:           4
        .value_kind:     by_value
      - .offset:         164
        .size:           4
        .value_kind:     by_value
      - .offset:         168
        .size:           1
        .value_kind:     by_value
      - .offset:         169
        .size:           1
        .value_kind:     by_value
      - .offset:         170
        .size:           1
        .value_kind:     by_value
    .group_segment_fixed_size: 18952
    .kernarg_segment_align: 8
    .kernarg_segment_size: 172
    .language:       OpenCL C
    .language_version:
      - 2
      - 0
    .max_flat_workgroup_size: 256
    .name:           _ZN9rocsparseL38bsrgemm_block_per_row_atomic_multipassILj256ELj128ELj4EiidEEv20rocsparse_direction_T3_S2_PKS2_S4_NS_24const_host_device_scalarIT4_EEPKT2_S4_PKS6_SA_S4_SC_S7_SA_S4_SC_SA_PS2_PS6_PS8_21rocsparse_index_base_SG_SG_SG_bbb
    .private_segment_fixed_size: 0
    .sgpr_count:     97
    .sgpr_spill_count: 0
    .symbol:         _ZN9rocsparseL38bsrgemm_block_per_row_atomic_multipassILj256ELj128ELj4EiidEEv20rocsparse_direction_T3_S2_PKS2_S4_NS_24const_host_device_scalarIT4_EEPKT2_S4_PKS6_SA_S4_SC_S7_SA_S4_SC_SA_PS2_PS6_PS8_21rocsparse_index_base_SG_SG_SG_bbb.kd
    .uniform_work_group_size: 1
    .uses_dynamic_stack: false
    .vgpr_count:     50
    .vgpr_spill_count: 0
    .wavefront_size: 64
  - .agpr_count:     0
    .args:
      - .offset:         0
        .size:           4
        .value_kind:     by_value
      - .offset:         4
        .size:           4
        .value_kind:     by_value
      - .offset:         8
        .size:           4
        .value_kind:     by_value
      - .offset:         12
        .size:           4
        .value_kind:     by_value
      - .actual_access:  read_only
        .address_space:  global
        .offset:         16
        .size:           8
        .value_kind:     global_buffer
      - .actual_access:  read_only
        .address_space:  global
        .offset:         24
        .size:           8
        .value_kind:     global_buffer
      - .offset:         32
        .size:           8
        .value_kind:     by_value
      - .actual_access:  read_only
        .address_space:  global
        .offset:         40
        .size:           8
        .value_kind:     global_buffer
      - .actual_access:  read_only
        .address_space:  global
        .offset:         48
        .size:           8
        .value_kind:     global_buffer
      - .actual_access:  read_only
        .address_space:  global
        .offset:         56
        .size:           8
        .value_kind:     global_buffer
      - .actual_access:  read_only
        .address_space:  global
        .offset:         64
        .size:           8
        .value_kind:     global_buffer
      - .actual_access:  read_only
        .address_space:  global
        .offset:         72
        .size:           8
        .value_kind:     global_buffer
      - .actual_access:  read_only
        .address_space:  global
        .offset:         80
        .size:           8
        .value_kind:     global_buffer
      - .offset:         88
        .size:           8
        .value_kind:     by_value
      - .actual_access:  read_only
        .address_space:  global
        .offset:         96
        .size:           8
        .value_kind:     global_buffer
      - .actual_access:  read_only
        .address_space:  global
        .offset:         104
        .size:           8
        .value_kind:     global_buffer
      - .actual_access:  read_only
        .address_space:  global
        .offset:         112
        .size:           8
        .value_kind:     global_buffer
      - .actual_access:  read_only
        .address_space:  global
        .offset:         120
        .size:           8
        .value_kind:     global_buffer
      - .actual_access:  write_only
        .address_space:  global
        .offset:         128
        .size:           8
        .value_kind:     global_buffer
      - .actual_access:  write_only
        .address_space:  global
        .offset:         136
        .size:           8
        .value_kind:     global_buffer
      - .offset:         144
        .size:           4
        .value_kind:     by_value
      - .offset:         148
        .size:           4
        .value_kind:     by_value
      - .offset:         152
        .size:           4
        .value_kind:     by_value
      - .offset:         156
        .size:           4
        .value_kind:     by_value
      - .offset:         160
        .size:           1
        .value_kind:     by_value
      - .offset:         161
        .size:           1
        .value_kind:     by_value
      - .offset:         162
        .size:           1
        .value_kind:     by_value
    .group_segment_fixed_size: 16512
    .kernarg_segment_align: 8
    .kernarg_segment_size: 164
    .language:       OpenCL C
    .language_version:
      - 2
      - 0
    .max_flat_workgroup_size: 256
    .name:           _ZN9rocsparseL23bsrgemm_fill_wf_per_rowILj256ELj64ELj8ELj137ELj8EiidEEv20rocsparse_direction_T5_S2_S2_PKS2_S4_NS_24const_host_device_scalarIT6_EEPKT4_S4_PKS6_SA_S4_SC_S7_SA_S4_SC_SA_PS2_PS6_21rocsparse_index_base_SF_SF_SF_bbb
    .private_segment_fixed_size: 0
    .sgpr_count:     66
    .sgpr_spill_count: 0
    .symbol:         _ZN9rocsparseL23bsrgemm_fill_wf_per_rowILj256ELj64ELj8ELj137ELj8EiidEEv20rocsparse_direction_T5_S2_S2_PKS2_S4_NS_24const_host_device_scalarIT6_EEPKT4_S4_PKS6_SA_S4_SC_S7_SA_S4_SC_SA_PS2_PS6_21rocsparse_index_base_SF_SF_SF_bbb.kd
    .uniform_work_group_size: 1
    .uses_dynamic_stack: false
    .vgpr_count:     40
    .vgpr_spill_count: 0
    .wavefront_size: 64
  - .agpr_count:     0
    .args:
      - .offset:         0
        .size:           4
        .value_kind:     by_value
      - .offset:         4
        .size:           4
        .value_kind:     by_value
      - .offset:         8
        .size:           4
        .value_kind:     by_value
      - .actual_access:  read_only
        .address_space:  global
        .offset:         16
        .size:           8
        .value_kind:     global_buffer
      - .actual_access:  read_only
        .address_space:  global
        .offset:         24
        .size:           8
        .value_kind:     global_buffer
      - .offset:         32
        .size:           8
        .value_kind:     by_value
      - .actual_access:  read_only
        .address_space:  global
        .offset:         40
        .size:           8
        .value_kind:     global_buffer
      - .actual_access:  read_only
        .address_space:  global
        .offset:         48
        .size:           8
        .value_kind:     global_buffer
      - .actual_access:  read_only
        .address_space:  global
        .offset:         56
        .size:           8
        .value_kind:     global_buffer
      - .actual_access:  read_only
        .address_space:  global
        .offset:         64
        .size:           8
        .value_kind:     global_buffer
      - .actual_access:  read_only
        .address_space:  global
        .offset:         72
        .size:           8
        .value_kind:     global_buffer
      - .actual_access:  read_only
        .address_space:  global
        .offset:         80
        .size:           8
        .value_kind:     global_buffer
      - .offset:         88
        .size:           8
        .value_kind:     by_value
      - .actual_access:  read_only
        .address_space:  global
        .offset:         96
        .size:           8
        .value_kind:     global_buffer
      - .actual_access:  read_only
        .address_space:  global
        .offset:         104
        .size:           8
        .value_kind:     global_buffer
      - .actual_access:  read_only
        .address_space:  global
        .offset:         112
        .size:           8
        .value_kind:     global_buffer
      - .actual_access:  read_only
        .address_space:  global
        .offset:         120
        .size:           8
        .value_kind:     global_buffer
      - .actual_access:  write_only
        .address_space:  global
        .offset:         128
        .size:           8
        .value_kind:     global_buffer
      - .actual_access:  write_only
        .address_space:  global
        .offset:         136
        .size:           8
        .value_kind:     global_buffer
      - .address_space:  global
        .offset:         144
        .size:           8
        .value_kind:     global_buffer
      - .offset:         152
        .size:           4
        .value_kind:     by_value
      - .offset:         156
        .size:           4
        .value_kind:     by_value
      - .offset:         160
        .size:           4
        .value_kind:     by_value
      - .offset:         164
        .size:           4
        .value_kind:     by_value
      - .offset:         168
        .size:           1
        .value_kind:     by_value
      - .offset:         169
        .size:           1
        .value_kind:     by_value
      - .offset:         170
        .size:           1
        .value_kind:     by_value
    .group_segment_fixed_size: 10312
    .kernarg_segment_align: 8
    .kernarg_segment_size: 172
    .language:       OpenCL C
    .language_version:
      - 2
      - 0
    .max_flat_workgroup_size: 256
    .name:           _ZN9rocsparseL38bsrgemm_block_per_row_atomic_multipassILj256ELj16ELj8EiidEEv20rocsparse_direction_T3_S2_PKS2_S4_NS_24const_host_device_scalarIT4_EEPKT2_S4_PKS6_SA_S4_SC_S7_SA_S4_SC_SA_PS2_PS6_PS8_21rocsparse_index_base_SG_SG_SG_bbb
    .private_segment_fixed_size: 0
    .sgpr_count:     88
    .sgpr_spill_count: 0
    .symbol:         _ZN9rocsparseL38bsrgemm_block_per_row_atomic_multipassILj256ELj16ELj8EiidEEv20rocsparse_direction_T3_S2_PKS2_S4_NS_24const_host_device_scalarIT4_EEPKT2_S4_PKS6_SA_S4_SC_S7_SA_S4_SC_SA_PS2_PS6_PS8_21rocsparse_index_base_SG_SG_SG_bbb.kd
    .uniform_work_group_size: 1
    .uses_dynamic_stack: false
    .vgpr_count:     46
    .vgpr_spill_count: 0
    .wavefront_size: 64
  - .agpr_count:     0
    .args:
      - .offset:         0
        .size:           4
        .value_kind:     by_value
      - .offset:         4
        .size:           4
        .value_kind:     by_value
      - .offset:         8
        .size:           4
        .value_kind:     by_value
      - .actual_access:  read_only
        .address_space:  global
        .offset:         16
        .size:           8
        .value_kind:     global_buffer
      - .actual_access:  read_only
        .address_space:  global
        .offset:         24
        .size:           8
        .value_kind:     global_buffer
      - .offset:         32
        .size:           8
        .value_kind:     by_value
      - .actual_access:  read_only
        .address_space:  global
        .offset:         40
        .size:           8
        .value_kind:     global_buffer
      - .actual_access:  read_only
        .address_space:  global
        .offset:         48
        .size:           8
        .value_kind:     global_buffer
      - .actual_access:  read_only
        .address_space:  global
        .offset:         56
        .size:           8
        .value_kind:     global_buffer
      - .actual_access:  read_only
        .address_space:  global
        .offset:         64
        .size:           8
        .value_kind:     global_buffer
      - .actual_access:  read_only
        .address_space:  global
        .offset:         72
        .size:           8
        .value_kind:     global_buffer
      - .actual_access:  read_only
        .address_space:  global
        .offset:         80
        .size:           8
        .value_kind:     global_buffer
      - .offset:         88
        .size:           8
        .value_kind:     by_value
      - .actual_access:  read_only
        .address_space:  global
        .offset:         96
        .size:           8
        .value_kind:     global_buffer
      - .actual_access:  read_only
        .address_space:  global
        .offset:         104
        .size:           8
        .value_kind:     global_buffer
      - .actual_access:  read_only
        .address_space:  global
        .offset:         112
        .size:           8
        .value_kind:     global_buffer
      - .actual_access:  read_only
        .address_space:  global
        .offset:         120
        .size:           8
        .value_kind:     global_buffer
      - .actual_access:  write_only
        .address_space:  global
        .offset:         128
        .size:           8
        .value_kind:     global_buffer
      - .actual_access:  write_only
        .address_space:  global
        .offset:         136
        .size:           8
        .value_kind:     global_buffer
      - .address_space:  global
        .offset:         144
        .size:           8
        .value_kind:     global_buffer
      - .offset:         152
        .size:           4
        .value_kind:     by_value
      - .offset:         156
        .size:           4
        .value_kind:     by_value
      - .offset:         160
        .size:           4
        .value_kind:     by_value
      - .offset:         164
        .size:           4
        .value_kind:     by_value
      - .offset:         168
        .size:           1
        .value_kind:     by_value
      - .offset:         169
        .size:           1
        .value_kind:     by_value
      - .offset:         170
        .size:           1
        .value_kind:     by_value
    .group_segment_fixed_size: 18568
    .kernarg_segment_align: 8
    .kernarg_segment_size: 172
    .language:       OpenCL C
    .language_version:
      - 2
      - 0
    .max_flat_workgroup_size: 256
    .name:           _ZN9rocsparseL38bsrgemm_block_per_row_atomic_multipassILj256ELj32ELj8EiidEEv20rocsparse_direction_T3_S2_PKS2_S4_NS_24const_host_device_scalarIT4_EEPKT2_S4_PKS6_SA_S4_SC_S7_SA_S4_SC_SA_PS2_PS6_PS8_21rocsparse_index_base_SG_SG_SG_bbb
    .private_segment_fixed_size: 0
    .sgpr_count:     93
    .sgpr_spill_count: 0
    .symbol:         _ZN9rocsparseL38bsrgemm_block_per_row_atomic_multipassILj256ELj32ELj8EiidEEv20rocsparse_direction_T3_S2_PKS2_S4_NS_24const_host_device_scalarIT4_EEPKT2_S4_PKS6_SA_S4_SC_S7_SA_S4_SC_SA_PS2_PS6_PS8_21rocsparse_index_base_SG_SG_SG_bbb.kd
    .uniform_work_group_size: 1
    .uses_dynamic_stack: false
    .vgpr_count:     48
    .vgpr_spill_count: 0
    .wavefront_size: 64
  - .agpr_count:     0
    .args:
      - .offset:         0
        .size:           4
        .value_kind:     by_value
      - .offset:         4
        .size:           4
        .value_kind:     by_value
      - .offset:         8
        .size:           4
        .value_kind:     by_value
      - .actual_access:  read_only
        .address_space:  global
        .offset:         16
        .size:           8
        .value_kind:     global_buffer
      - .actual_access:  read_only
        .address_space:  global
        .offset:         24
        .size:           8
        .value_kind:     global_buffer
      - .offset:         32
        .size:           8
        .value_kind:     by_value
      - .actual_access:  read_only
        .address_space:  global
        .offset:         40
        .size:           8
        .value_kind:     global_buffer
      - .actual_access:  read_only
        .address_space:  global
        .offset:         48
        .size:           8
        .value_kind:     global_buffer
      - .actual_access:  read_only
        .address_space:  global
        .offset:         56
        .size:           8
        .value_kind:     global_buffer
      - .actual_access:  read_only
        .address_space:  global
        .offset:         64
        .size:           8
        .value_kind:     global_buffer
      - .actual_access:  read_only
        .address_space:  global
        .offset:         72
        .size:           8
        .value_kind:     global_buffer
      - .actual_access:  read_only
        .address_space:  global
        .offset:         80
        .size:           8
        .value_kind:     global_buffer
      - .offset:         88
        .size:           8
        .value_kind:     by_value
      - .actual_access:  read_only
        .address_space:  global
        .offset:         96
        .size:           8
        .value_kind:     global_buffer
      - .actual_access:  read_only
        .address_space:  global
        .offset:         104
        .size:           8
        .value_kind:     global_buffer
      - .actual_access:  read_only
        .address_space:  global
        .offset:         112
        .size:           8
        .value_kind:     global_buffer
      - .actual_access:  read_only
        .address_space:  global
        .offset:         120
        .size:           8
        .value_kind:     global_buffer
      - .actual_access:  write_only
        .address_space:  global
        .offset:         128
        .size:           8
        .value_kind:     global_buffer
      - .actual_access:  write_only
        .address_space:  global
        .offset:         136
        .size:           8
        .value_kind:     global_buffer
      - .address_space:  global
        .offset:         144
        .size:           8
        .value_kind:     global_buffer
      - .offset:         152
        .size:           4
        .value_kind:     by_value
      - .offset:         156
        .size:           4
        .value_kind:     by_value
      - .offset:         160
        .size:           4
        .value_kind:     by_value
      - .offset:         164
        .size:           4
        .value_kind:     by_value
      - .offset:         168
        .size:           1
        .value_kind:     by_value
      - .offset:         169
        .size:           1
        .value_kind:     by_value
      - .offset:         170
        .size:           1
        .value_kind:     by_value
    .group_segment_fixed_size: 16392
    .kernarg_segment_align: 8
    .kernarg_segment_size: 172
    .language:       OpenCL C
    .language_version:
      - 2
      - 0
    .max_flat_workgroup_size: 256
    .name:           _ZN9rocsparseL31bsrgemm_block_per_row_multipassILj256ELj8ELj16EiidEEv20rocsparse_direction_T3_S2_PKS2_S4_NS_24const_host_device_scalarIT4_EEPKT2_S4_PKS6_SA_S4_SC_S7_SA_S4_SC_SA_PS2_PS6_PS8_21rocsparse_index_base_SG_SG_SG_bbb
    .private_segment_fixed_size: 0
    .sgpr_count:     75
    .sgpr_spill_count: 0
    .symbol:         _ZN9rocsparseL31bsrgemm_block_per_row_multipassILj256ELj8ELj16EiidEEv20rocsparse_direction_T3_S2_PKS2_S4_NS_24const_host_device_scalarIT4_EEPKT2_S4_PKS6_SA_S4_SC_S7_SA_S4_SC_SA_PS2_PS6_PS8_21rocsparse_index_base_SG_SG_SG_bbb.kd
    .uniform_work_group_size: 1
    .uses_dynamic_stack: false
    .vgpr_count:     35
    .vgpr_spill_count: 0
    .wavefront_size: 64
  - .agpr_count:     0
    .args:
      - .offset:         0
        .size:           4
        .value_kind:     by_value
      - .offset:         4
        .size:           4
        .value_kind:     by_value
      - .offset:         8
        .size:           4
        .value_kind:     by_value
      - .actual_access:  read_only
        .address_space:  global
        .offset:         16
        .size:           8
        .value_kind:     global_buffer
      - .actual_access:  read_only
        .address_space:  global
        .offset:         24
        .size:           8
        .value_kind:     global_buffer
      - .offset:         32
        .size:           8
        .value_kind:     by_value
      - .actual_access:  read_only
        .address_space:  global
        .offset:         40
        .size:           8
        .value_kind:     global_buffer
      - .actual_access:  read_only
        .address_space:  global
        .offset:         48
        .size:           8
        .value_kind:     global_buffer
      - .actual_access:  read_only
        .address_space:  global
        .offset:         56
        .size:           8
        .value_kind:     global_buffer
      - .actual_access:  read_only
        .address_space:  global
        .offset:         64
        .size:           8
        .value_kind:     global_buffer
      - .actual_access:  read_only
        .address_space:  global
        .offset:         72
        .size:           8
        .value_kind:     global_buffer
      - .actual_access:  read_only
        .address_space:  global
        .offset:         80
        .size:           8
        .value_kind:     global_buffer
      - .offset:         88
        .size:           8
        .value_kind:     by_value
      - .actual_access:  read_only
        .address_space:  global
        .offset:         96
        .size:           8
        .value_kind:     global_buffer
      - .actual_access:  read_only
        .address_space:  global
        .offset:         104
        .size:           8
        .value_kind:     global_buffer
      - .actual_access:  read_only
        .address_space:  global
        .offset:         112
        .size:           8
        .value_kind:     global_buffer
      - .actual_access:  read_only
        .address_space:  global
        .offset:         120
        .size:           8
        .value_kind:     global_buffer
      - .actual_access:  write_only
        .address_space:  global
        .offset:         128
        .size:           8
        .value_kind:     global_buffer
      - .actual_access:  write_only
        .address_space:  global
        .offset:         136
        .size:           8
        .value_kind:     global_buffer
      - .address_space:  global
        .offset:         144
        .size:           8
        .value_kind:     global_buffer
      - .offset:         152
        .size:           4
        .value_kind:     by_value
      - .offset:         156
        .size:           4
        .value_kind:     by_value
      - .offset:         160
        .size:           4
        .value_kind:     by_value
      - .offset:         164
        .size:           4
        .value_kind:     by_value
      - .offset:         168
        .size:           1
        .value_kind:     by_value
      - .offset:         169
        .size:           1
        .value_kind:     by_value
      - .offset:         170
        .size:           1
        .value_kind:     by_value
    .group_segment_fixed_size: 16392
    .kernarg_segment_align: 8
    .kernarg_segment_size: 172
    .language:       OpenCL C
    .language_version:
      - 2
      - 0
    .max_flat_workgroup_size: 256
    .name:           _ZN9rocsparseL31bsrgemm_block_per_row_multipassILj256ELj2ELj32EiidEEv20rocsparse_direction_T3_S2_PKS2_S4_NS_24const_host_device_scalarIT4_EEPKT2_S4_PKS6_SA_S4_SC_S7_SA_S4_SC_SA_PS2_PS6_PS8_21rocsparse_index_base_SG_SG_SG_bbb
    .private_segment_fixed_size: 0
    .sgpr_count:     84
    .sgpr_spill_count: 0
    .symbol:         _ZN9rocsparseL31bsrgemm_block_per_row_multipassILj256ELj2ELj32EiidEEv20rocsparse_direction_T3_S2_PKS2_S4_NS_24const_host_device_scalarIT4_EEPKT2_S4_PKS6_SA_S4_SC_S7_SA_S4_SC_SA_PS2_PS6_PS8_21rocsparse_index_base_SG_SG_SG_bbb.kd
    .uniform_work_group_size: 1
    .uses_dynamic_stack: false
    .vgpr_count:     49
    .vgpr_spill_count: 0
    .wavefront_size: 64
  - .agpr_count:     0
    .args:
      - .offset:         0
        .size:           4
        .value_kind:     by_value
      - .actual_access:  read_only
        .address_space:  global
        .offset:         8
        .size:           8
        .value_kind:     global_buffer
      - .actual_access:  write_only
        .address_space:  global
        .offset:         16
        .size:           8
        .value_kind:     global_buffer
      - .actual_access:  write_only
        .address_space:  global
        .offset:         24
        .size:           8
        .value_kind:     global_buffer
      - .offset:         32
        .size:           4
        .value_kind:     hidden_block_count_x
      - .offset:         36
        .size:           4
        .value_kind:     hidden_block_count_y
      - .offset:         40
        .size:           4
        .value_kind:     hidden_block_count_z
      - .offset:         44
        .size:           2
        .value_kind:     hidden_group_size_x
      - .offset:         46
        .size:           2
        .value_kind:     hidden_group_size_y
      - .offset:         48
        .size:           2
        .value_kind:     hidden_group_size_z
      - .offset:         50
        .size:           2
        .value_kind:     hidden_remainder_x
      - .offset:         52
        .size:           2
        .value_kind:     hidden_remainder_y
      - .offset:         54
        .size:           2
        .value_kind:     hidden_remainder_z
      - .offset:         72
        .size:           8
        .value_kind:     hidden_global_offset_x
      - .offset:         80
        .size:           8
        .value_kind:     hidden_global_offset_y
      - .offset:         88
        .size:           8
        .value_kind:     hidden_global_offset_z
      - .offset:         96
        .size:           2
        .value_kind:     hidden_grid_dims
    .group_segment_fixed_size: 8192
    .kernarg_segment_align: 8
    .kernarg_segment_size: 288
    .language:       OpenCL C
    .language_version:
      - 2
      - 0
    .max_flat_workgroup_size: 256
    .name:           _ZN9rocsparseL26bsrgemm_group_reduce_part2ILj256ELj8ELj2E21rocsparse_complex_numIfEiiEEvT4_PKT3_PS3_Pi
    .private_segment_fixed_size: 0
    .sgpr_count:     33
    .sgpr_spill_count: 0
    .symbol:         _ZN9rocsparseL26bsrgemm_group_reduce_part2ILj256ELj8ELj2E21rocsparse_complex_numIfEiiEEvT4_PKT3_PS3_Pi.kd
    .uniform_work_group_size: 1
    .uses_dynamic_stack: false
    .vgpr_count:     18
    .vgpr_spill_count: 0
    .wavefront_size: 64
  - .agpr_count:     0
    .args:
      - .offset:         0
        .size:           4
        .value_kind:     by_value
      - .actual_access:  read_only
        .address_space:  global
        .offset:         8
        .size:           8
        .value_kind:     global_buffer
      - .actual_access:  write_only
        .address_space:  global
        .offset:         16
        .size:           8
        .value_kind:     global_buffer
      - .actual_access:  write_only
        .address_space:  global
        .offset:         24
        .size:           8
        .value_kind:     global_buffer
      - .offset:         32
        .size:           4
        .value_kind:     hidden_block_count_x
      - .offset:         36
        .size:           4
        .value_kind:     hidden_block_count_y
      - .offset:         40
        .size:           4
        .value_kind:     hidden_block_count_z
      - .offset:         44
        .size:           2
        .value_kind:     hidden_group_size_x
      - .offset:         46
        .size:           2
        .value_kind:     hidden_group_size_y
      - .offset:         48
        .size:           2
        .value_kind:     hidden_group_size_z
      - .offset:         50
        .size:           2
        .value_kind:     hidden_remainder_x
      - .offset:         52
        .size:           2
        .value_kind:     hidden_remainder_y
      - .offset:         54
        .size:           2
        .value_kind:     hidden_remainder_z
      - .offset:         72
        .size:           8
        .value_kind:     hidden_global_offset_x
      - .offset:         80
        .size:           8
        .value_kind:     hidden_global_offset_y
      - .offset:         88
        .size:           8
        .value_kind:     hidden_global_offset_z
      - .offset:         96
        .size:           2
        .value_kind:     hidden_grid_dims
    .group_segment_fixed_size: 8192
    .kernarg_segment_align: 8
    .kernarg_segment_size: 288
    .language:       OpenCL C
    .language_version:
      - 2
      - 0
    .max_flat_workgroup_size: 256
    .name:           _ZN9rocsparseL26bsrgemm_group_reduce_part2ILj256ELj8ELj8E21rocsparse_complex_numIfEiiEEvT4_PKT3_PS3_Pi
    .private_segment_fixed_size: 0
    .sgpr_count:     33
    .sgpr_spill_count: 0
    .symbol:         _ZN9rocsparseL26bsrgemm_group_reduce_part2ILj256ELj8ELj8E21rocsparse_complex_numIfEiiEEvT4_PKT3_PS3_Pi.kd
    .uniform_work_group_size: 1
    .uses_dynamic_stack: false
    .vgpr_count:     18
    .vgpr_spill_count: 0
    .wavefront_size: 64
  - .agpr_count:     0
    .args:
      - .offset:         0
        .size:           4
        .value_kind:     by_value
      - .offset:         4
        .size:           4
        .value_kind:     by_value
      - .offset:         8
        .size:           4
        .value_kind:     by_value
      - .actual_access:  read_only
        .address_space:  global
        .offset:         16
        .size:           8
        .value_kind:     global_buffer
      - .actual_access:  read_only
        .address_space:  global
        .offset:         24
        .size:           8
        .value_kind:     global_buffer
      - .offset:         32
        .size:           8
        .value_kind:     by_value
      - .actual_access:  read_only
        .address_space:  global
        .offset:         40
        .size:           8
        .value_kind:     global_buffer
      - .actual_access:  read_only
        .address_space:  global
        .offset:         48
        .size:           8
        .value_kind:     global_buffer
      - .actual_access:  read_only
        .address_space:  global
        .offset:         56
        .size:           8
        .value_kind:     global_buffer
      - .actual_access:  read_only
        .address_space:  global
        .offset:         64
        .size:           8
        .value_kind:     global_buffer
      - .actual_access:  read_only
        .address_space:  global
        .offset:         72
        .size:           8
        .value_kind:     global_buffer
      - .actual_access:  read_only
        .address_space:  global
        .offset:         80
        .size:           8
        .value_kind:     global_buffer
      - .offset:         88
        .size:           8
        .value_kind:     by_value
      - .actual_access:  read_only
        .address_space:  global
        .offset:         96
        .size:           8
        .value_kind:     global_buffer
      - .actual_access:  read_only
        .address_space:  global
        .offset:         104
        .size:           8
        .value_kind:     global_buffer
      - .actual_access:  read_only
        .address_space:  global
        .offset:         112
        .size:           8
        .value_kind:     global_buffer
      - .actual_access:  read_only
        .address_space:  global
        .offset:         120
        .size:           8
        .value_kind:     global_buffer
      - .actual_access:  write_only
        .address_space:  global
        .offset:         128
        .size:           8
        .value_kind:     global_buffer
      - .actual_access:  write_only
        .address_space:  global
        .offset:         136
        .size:           8
        .value_kind:     global_buffer
      - .offset:         144
        .size:           4
        .value_kind:     by_value
      - .offset:         148
        .size:           4
        .value_kind:     by_value
      - .offset:         152
        .size:           4
        .value_kind:     by_value
      - .offset:         156
        .size:           4
        .value_kind:     by_value
      - .offset:         160
        .size:           1
        .value_kind:     by_value
      - .offset:         161
        .size:           1
        .value_kind:     by_value
      - .offset:         162
        .size:           1
        .value_kind:     by_value
    .group_segment_fixed_size: 4608
    .kernarg_segment_align: 8
    .kernarg_segment_size: 164
    .language:       OpenCL C
    .language_version:
      - 2
      - 0
    .max_flat_workgroup_size: 256
    .name:           _ZN9rocsparseL27bsrgemm_fill_wf_per_row_2x2ILj256ELj16ELj8ELj137Eii21rocsparse_complex_numIfEEEv20rocsparse_direction_T4_S4_PKS4_S6_NS_24const_host_device_scalarIT5_EEPKT3_S6_PKS8_SC_S6_SE_S9_SC_S6_SE_SC_PS4_PS8_21rocsparse_index_base_SH_SH_SH_bbb
    .private_segment_fixed_size: 0
    .sgpr_count:     63
    .sgpr_spill_count: 0
    .symbol:         _ZN9rocsparseL27bsrgemm_fill_wf_per_row_2x2ILj256ELj16ELj8ELj137Eii21rocsparse_complex_numIfEEEv20rocsparse_direction_T4_S4_PKS4_S6_NS_24const_host_device_scalarIT5_EEPKT3_S6_PKS8_SC_S6_SE_S9_SC_S6_SE_SC_PS4_PS8_21rocsparse_index_base_SH_SH_SH_bbb.kd
    .uniform_work_group_size: 1
    .uses_dynamic_stack: false
    .vgpr_count:     38
    .vgpr_spill_count: 0
    .wavefront_size: 64
  - .agpr_count:     0
    .args:
      - .offset:         0
        .size:           4
        .value_kind:     by_value
      - .offset:         4
        .size:           4
        .value_kind:     by_value
      - .offset:         8
        .size:           4
        .value_kind:     by_value
      - .actual_access:  read_only
        .address_space:  global
        .offset:         16
        .size:           8
        .value_kind:     global_buffer
      - .actual_access:  read_only
        .address_space:  global
        .offset:         24
        .size:           8
        .value_kind:     global_buffer
      - .offset:         32
        .size:           8
        .value_kind:     by_value
      - .actual_access:  read_only
        .address_space:  global
        .offset:         40
        .size:           8
        .value_kind:     global_buffer
      - .actual_access:  read_only
        .address_space:  global
        .offset:         48
        .size:           8
        .value_kind:     global_buffer
      - .actual_access:  read_only
        .address_space:  global
        .offset:         56
        .size:           8
        .value_kind:     global_buffer
      - .actual_access:  read_only
        .address_space:  global
        .offset:         64
        .size:           8
        .value_kind:     global_buffer
      - .actual_access:  read_only
        .address_space:  global
        .offset:         72
        .size:           8
        .value_kind:     global_buffer
      - .actual_access:  read_only
        .address_space:  global
        .offset:         80
        .size:           8
        .value_kind:     global_buffer
      - .offset:         88
        .size:           8
        .value_kind:     by_value
      - .actual_access:  read_only
        .address_space:  global
        .offset:         96
        .size:           8
        .value_kind:     global_buffer
      - .actual_access:  read_only
        .address_space:  global
        .offset:         104
        .size:           8
        .value_kind:     global_buffer
      - .actual_access:  read_only
        .address_space:  global
        .offset:         112
        .size:           8
        .value_kind:     global_buffer
      - .actual_access:  read_only
        .address_space:  global
        .offset:         120
        .size:           8
        .value_kind:     global_buffer
      - .actual_access:  write_only
        .address_space:  global
        .offset:         128
        .size:           8
        .value_kind:     global_buffer
      - .actual_access:  write_only
        .address_space:  global
        .offset:         136
        .size:           8
        .value_kind:     global_buffer
      - .offset:         144
        .size:           4
        .value_kind:     by_value
      - .offset:         148
        .size:           4
        .value_kind:     by_value
      - .offset:         152
        .size:           4
        .value_kind:     by_value
      - .offset:         156
        .size:           4
        .value_kind:     by_value
      - .offset:         160
        .size:           1
        .value_kind:     by_value
      - .offset:         161
        .size:           1
        .value_kind:     by_value
      - .offset:         162
        .size:           1
        .value_kind:     by_value
    .group_segment_fixed_size: 9216
    .kernarg_segment_align: 8
    .kernarg_segment_size: 164
    .language:       OpenCL C
    .language_version:
      - 2
      - 0
    .max_flat_workgroup_size: 256
    .name:           _ZN9rocsparseL27bsrgemm_fill_wf_per_row_2x2ILj256ELj16ELj16ELj137Eii21rocsparse_complex_numIfEEEv20rocsparse_direction_T4_S4_PKS4_S6_NS_24const_host_device_scalarIT5_EEPKT3_S6_PKS8_SC_S6_SE_S9_SC_S6_SE_SC_PS4_PS8_21rocsparse_index_base_SH_SH_SH_bbb
    .private_segment_fixed_size: 0
    .sgpr_count:     61
    .sgpr_spill_count: 0
    .symbol:         _ZN9rocsparseL27bsrgemm_fill_wf_per_row_2x2ILj256ELj16ELj16ELj137Eii21rocsparse_complex_numIfEEEv20rocsparse_direction_T4_S4_PKS4_S6_NS_24const_host_device_scalarIT5_EEPKT3_S6_PKS8_SC_S6_SE_S9_SC_S6_SE_SC_PS4_PS8_21rocsparse_index_base_SH_SH_SH_bbb.kd
    .uniform_work_group_size: 1
    .uses_dynamic_stack: false
    .vgpr_count:     38
    .vgpr_spill_count: 0
    .wavefront_size: 64
  - .agpr_count:     0
    .args:
      - .offset:         0
        .size:           4
        .value_kind:     by_value
      - .offset:         4
        .size:           4
        .value_kind:     by_value
      - .offset:         8
        .size:           4
        .value_kind:     by_value
      - .actual_access:  read_only
        .address_space:  global
        .offset:         16
        .size:           8
        .value_kind:     global_buffer
      - .actual_access:  read_only
        .address_space:  global
        .offset:         24
        .size:           8
        .value_kind:     global_buffer
      - .offset:         32
        .size:           8
        .value_kind:     by_value
      - .actual_access:  read_only
        .address_space:  global
        .offset:         40
        .size:           8
        .value_kind:     global_buffer
      - .actual_access:  read_only
        .address_space:  global
        .offset:         48
        .size:           8
        .value_kind:     global_buffer
      - .actual_access:  read_only
        .address_space:  global
        .offset:         56
        .size:           8
        .value_kind:     global_buffer
      - .actual_access:  read_only
        .address_space:  global
        .offset:         64
        .size:           8
        .value_kind:     global_buffer
      - .actual_access:  read_only
        .address_space:  global
        .offset:         72
        .size:           8
        .value_kind:     global_buffer
      - .actual_access:  read_only
        .address_space:  global
        .offset:         80
        .size:           8
        .value_kind:     global_buffer
      - .offset:         88
        .size:           8
        .value_kind:     by_value
      - .actual_access:  read_only
        .address_space:  global
        .offset:         96
        .size:           8
        .value_kind:     global_buffer
      - .actual_access:  read_only
        .address_space:  global
        .offset:         104
        .size:           8
        .value_kind:     global_buffer
      - .actual_access:  read_only
        .address_space:  global
        .offset:         112
        .size:           8
        .value_kind:     global_buffer
      - .actual_access:  read_only
        .address_space:  global
        .offset:         120
        .size:           8
        .value_kind:     global_buffer
      - .actual_access:  write_only
        .address_space:  global
        .offset:         128
        .size:           8
        .value_kind:     global_buffer
      - .actual_access:  write_only
        .address_space:  global
        .offset:         136
        .size:           8
        .value_kind:     global_buffer
      - .offset:         144
        .size:           4
        .value_kind:     by_value
      - .offset:         148
        .size:           4
        .value_kind:     by_value
      - .offset:         152
        .size:           4
        .value_kind:     by_value
      - .offset:         156
        .size:           4
        .value_kind:     by_value
      - .offset:         160
        .size:           1
        .value_kind:     by_value
      - .offset:         161
        .size:           1
        .value_kind:     by_value
      - .offset:         162
        .size:           1
        .value_kind:     by_value
    .group_segment_fixed_size: 18432
    .kernarg_segment_align: 8
    .kernarg_segment_size: 164
    .language:       OpenCL C
    .language_version:
      - 2
      - 0
    .max_flat_workgroup_size: 256
    .name:           _ZN9rocsparseL27bsrgemm_fill_wf_per_row_2x2ILj256ELj16ELj32ELj137Eii21rocsparse_complex_numIfEEEv20rocsparse_direction_T4_S4_PKS4_S6_NS_24const_host_device_scalarIT5_EEPKT3_S6_PKS8_SC_S6_SE_S9_SC_S6_SE_SC_PS4_PS8_21rocsparse_index_base_SH_SH_SH_bbb
    .private_segment_fixed_size: 0
    .sgpr_count:     61
    .sgpr_spill_count: 0
    .symbol:         _ZN9rocsparseL27bsrgemm_fill_wf_per_row_2x2ILj256ELj16ELj32ELj137Eii21rocsparse_complex_numIfEEEv20rocsparse_direction_T4_S4_PKS4_S6_NS_24const_host_device_scalarIT5_EEPKT3_S6_PKS8_SC_S6_SE_S9_SC_S6_SE_SC_PS4_PS8_21rocsparse_index_base_SH_SH_SH_bbb.kd
    .uniform_work_group_size: 1
    .uses_dynamic_stack: false
    .vgpr_count:     40
    .vgpr_spill_count: 0
    .wavefront_size: 64
  - .agpr_count:     0
    .args:
      - .offset:         0
        .size:           4
        .value_kind:     by_value
      - .offset:         4
        .size:           4
        .value_kind:     by_value
      - .offset:         8
        .size:           4
        .value_kind:     by_value
      - .actual_access:  read_only
        .address_space:  global
        .offset:         16
        .size:           8
        .value_kind:     global_buffer
      - .actual_access:  read_only
        .address_space:  global
        .offset:         24
        .size:           8
        .value_kind:     global_buffer
      - .offset:         32
        .size:           8
        .value_kind:     by_value
      - .actual_access:  read_only
        .address_space:  global
        .offset:         40
        .size:           8
        .value_kind:     global_buffer
      - .actual_access:  read_only
        .address_space:  global
        .offset:         48
        .size:           8
        .value_kind:     global_buffer
      - .actual_access:  read_only
        .address_space:  global
        .offset:         56
        .size:           8
        .value_kind:     global_buffer
      - .actual_access:  read_only
        .address_space:  global
        .offset:         64
        .size:           8
        .value_kind:     global_buffer
      - .actual_access:  read_only
        .address_space:  global
        .offset:         72
        .size:           8
        .value_kind:     global_buffer
      - .actual_access:  read_only
        .address_space:  global
        .offset:         80
        .size:           8
        .value_kind:     global_buffer
      - .offset:         88
        .size:           8
        .value_kind:     by_value
      - .actual_access:  read_only
        .address_space:  global
        .offset:         96
        .size:           8
        .value_kind:     global_buffer
      - .actual_access:  read_only
        .address_space:  global
        .offset:         104
        .size:           8
        .value_kind:     global_buffer
      - .actual_access:  read_only
        .address_space:  global
        .offset:         112
        .size:           8
        .value_kind:     global_buffer
      - .actual_access:  read_only
        .address_space:  global
        .offset:         120
        .size:           8
        .value_kind:     global_buffer
      - .actual_access:  write_only
        .address_space:  global
        .offset:         128
        .size:           8
        .value_kind:     global_buffer
      - .actual_access:  write_only
        .address_space:  global
        .offset:         136
        .size:           8
        .value_kind:     global_buffer
      - .offset:         144
        .size:           4
        .value_kind:     by_value
      - .offset:         148
        .size:           4
        .value_kind:     by_value
      - .offset:         152
        .size:           4
        .value_kind:     by_value
      - .offset:         156
        .size:           4
        .value_kind:     by_value
      - .offset:         160
        .size:           1
        .value_kind:     by_value
      - .offset:         161
        .size:           1
        .value_kind:     by_value
      - .offset:         162
        .size:           1
        .value_kind:     by_value
    .group_segment_fixed_size: 0
    .kernarg_segment_align: 8
    .kernarg_segment_size: 164
    .language:       OpenCL C
    .language_version:
      - 2
      - 0
    .max_flat_workgroup_size: 256
    .name:           _ZN9rocsparseL30bsrgemm_fill_block_per_row_2x2ILj256ELj16ELj64ELj137Eii21rocsparse_complex_numIfEEEv20rocsparse_direction_T4_S4_PKS4_S6_NS_24const_host_device_scalarIT5_EEPKT3_S6_PKS8_SC_S6_SE_S9_SC_S6_SE_SC_PS4_PS8_21rocsparse_index_base_SH_SH_SH_bbb
    .private_segment_fixed_size: 0
    .sgpr_count:     66
    .sgpr_spill_count: 0
    .symbol:         _ZN9rocsparseL30bsrgemm_fill_block_per_row_2x2ILj256ELj16ELj64ELj137Eii21rocsparse_complex_numIfEEEv20rocsparse_direction_T4_S4_PKS4_S6_NS_24const_host_device_scalarIT5_EEPKT3_S6_PKS8_SC_S6_SE_S9_SC_S6_SE_SC_PS4_PS8_21rocsparse_index_base_SH_SH_SH_bbb.kd
    .uniform_work_group_size: 1
    .uses_dynamic_stack: false
    .vgpr_count:     32
    .vgpr_spill_count: 0
    .wavefront_size: 64
  - .agpr_count:     0
    .args:
      - .offset:         0
        .size:           4
        .value_kind:     by_value
      - .offset:         4
        .size:           4
        .value_kind:     by_value
      - .offset:         8
        .size:           4
        .value_kind:     by_value
      - .actual_access:  read_only
        .address_space:  global
        .offset:         16
        .size:           8
        .value_kind:     global_buffer
      - .actual_access:  read_only
        .address_space:  global
        .offset:         24
        .size:           8
        .value_kind:     global_buffer
      - .offset:         32
        .size:           8
        .value_kind:     by_value
      - .actual_access:  read_only
        .address_space:  global
        .offset:         40
        .size:           8
        .value_kind:     global_buffer
      - .actual_access:  read_only
        .address_space:  global
        .offset:         48
        .size:           8
        .value_kind:     global_buffer
      - .actual_access:  read_only
        .address_space:  global
        .offset:         56
        .size:           8
        .value_kind:     global_buffer
      - .actual_access:  read_only
        .address_space:  global
        .offset:         64
        .size:           8
        .value_kind:     global_buffer
      - .actual_access:  read_only
        .address_space:  global
        .offset:         72
        .size:           8
        .value_kind:     global_buffer
      - .actual_access:  read_only
        .address_space:  global
        .offset:         80
        .size:           8
        .value_kind:     global_buffer
      - .offset:         88
        .size:           8
        .value_kind:     by_value
      - .actual_access:  read_only
        .address_space:  global
        .offset:         96
        .size:           8
        .value_kind:     global_buffer
      - .actual_access:  read_only
        .address_space:  global
        .offset:         104
        .size:           8
        .value_kind:     global_buffer
      - .actual_access:  read_only
        .address_space:  global
        .offset:         112
        .size:           8
        .value_kind:     global_buffer
      - .actual_access:  read_only
        .address_space:  global
        .offset:         120
        .size:           8
        .value_kind:     global_buffer
      - .actual_access:  write_only
        .address_space:  global
        .offset:         128
        .size:           8
        .value_kind:     global_buffer
      - .actual_access:  write_only
        .address_space:  global
        .offset:         136
        .size:           8
        .value_kind:     global_buffer
      - .offset:         144
        .size:           4
        .value_kind:     by_value
      - .offset:         148
        .size:           4
        .value_kind:     by_value
      - .offset:         152
        .size:           4
        .value_kind:     by_value
      - .offset:         156
        .size:           4
        .value_kind:     by_value
      - .offset:         160
        .size:           1
        .value_kind:     by_value
      - .offset:         161
        .size:           1
        .value_kind:     by_value
      - .offset:         162
        .size:           1
        .value_kind:     by_value
    .group_segment_fixed_size: 0
    .kernarg_segment_align: 8
    .kernarg_segment_size: 164
    .language:       OpenCL C
    .language_version:
      - 2
      - 0
    .max_flat_workgroup_size: 256
    .name:           _ZN9rocsparseL30bsrgemm_fill_block_per_row_2x2ILj256ELj16ELj128ELj137Eii21rocsparse_complex_numIfEEEv20rocsparse_direction_T4_S4_PKS4_S6_NS_24const_host_device_scalarIT5_EEPKT3_S6_PKS8_SC_S6_SE_S9_SC_S6_SE_SC_PS4_PS8_21rocsparse_index_base_SH_SH_SH_bbb
    .private_segment_fixed_size: 0
    .sgpr_count:     66
    .sgpr_spill_count: 0
    .symbol:         _ZN9rocsparseL30bsrgemm_fill_block_per_row_2x2ILj256ELj16ELj128ELj137Eii21rocsparse_complex_numIfEEEv20rocsparse_direction_T4_S4_PKS4_S6_NS_24const_host_device_scalarIT5_EEPKT3_S6_PKS8_SC_S6_SE_S9_SC_S6_SE_SC_PS4_PS8_21rocsparse_index_base_SH_SH_SH_bbb.kd
    .uniform_work_group_size: 1
    .uses_dynamic_stack: false
    .vgpr_count:     32
    .vgpr_spill_count: 0
    .wavefront_size: 64
  - .agpr_count:     0
    .args:
      - .offset:         0
        .size:           4
        .value_kind:     by_value
      - .offset:         4
        .size:           4
        .value_kind:     by_value
      - .offset:         8
        .size:           4
        .value_kind:     by_value
      - .actual_access:  read_only
        .address_space:  global
        .offset:         16
        .size:           8
        .value_kind:     global_buffer
      - .actual_access:  read_only
        .address_space:  global
        .offset:         24
        .size:           8
        .value_kind:     global_buffer
      - .offset:         32
        .size:           8
        .value_kind:     by_value
      - .actual_access:  read_only
        .address_space:  global
        .offset:         40
        .size:           8
        .value_kind:     global_buffer
      - .actual_access:  read_only
        .address_space:  global
        .offset:         48
        .size:           8
        .value_kind:     global_buffer
      - .actual_access:  read_only
        .address_space:  global
        .offset:         56
        .size:           8
        .value_kind:     global_buffer
      - .actual_access:  read_only
        .address_space:  global
        .offset:         64
        .size:           8
        .value_kind:     global_buffer
      - .actual_access:  read_only
        .address_space:  global
        .offset:         72
        .size:           8
        .value_kind:     global_buffer
      - .actual_access:  read_only
        .address_space:  global
        .offset:         80
        .size:           8
        .value_kind:     global_buffer
      - .offset:         88
        .size:           8
        .value_kind:     by_value
      - .actual_access:  read_only
        .address_space:  global
        .offset:         96
        .size:           8
        .value_kind:     global_buffer
      - .actual_access:  read_only
        .address_space:  global
        .offset:         104
        .size:           8
        .value_kind:     global_buffer
      - .actual_access:  read_only
        .address_space:  global
        .offset:         112
        .size:           8
        .value_kind:     global_buffer
      - .actual_access:  read_only
        .address_space:  global
        .offset:         120
        .size:           8
        .value_kind:     global_buffer
      - .actual_access:  write_only
        .address_space:  global
        .offset:         128
        .size:           8
        .value_kind:     global_buffer
      - .actual_access:  write_only
        .address_space:  global
        .offset:         136
        .size:           8
        .value_kind:     global_buffer
      - .offset:         144
        .size:           4
        .value_kind:     by_value
      - .offset:         148
        .size:           4
        .value_kind:     by_value
      - .offset:         152
        .size:           4
        .value_kind:     by_value
      - .offset:         156
        .size:           4
        .value_kind:     by_value
      - .offset:         160
        .size:           1
        .value_kind:     by_value
      - .offset:         161
        .size:           1
        .value_kind:     by_value
      - .offset:         162
        .size:           1
        .value_kind:     by_value
    .group_segment_fixed_size: 0
    .kernarg_segment_align: 8
    .kernarg_segment_size: 164
    .language:       OpenCL C
    .language_version:
      - 2
      - 0
    .max_flat_workgroup_size: 256
    .name:           _ZN9rocsparseL30bsrgemm_fill_block_per_row_2x2ILj256ELj16ELj256ELj137Eii21rocsparse_complex_numIfEEEv20rocsparse_direction_T4_S4_PKS4_S6_NS_24const_host_device_scalarIT5_EEPKT3_S6_PKS8_SC_S6_SE_S9_SC_S6_SE_SC_PS4_PS8_21rocsparse_index_base_SH_SH_SH_bbb
    .private_segment_fixed_size: 0
    .sgpr_count:     66
    .sgpr_spill_count: 0
    .symbol:         _ZN9rocsparseL30bsrgemm_fill_block_per_row_2x2ILj256ELj16ELj256ELj137Eii21rocsparse_complex_numIfEEEv20rocsparse_direction_T4_S4_PKS4_S6_NS_24const_host_device_scalarIT5_EEPKT3_S6_PKS8_SC_S6_SE_S9_SC_S6_SE_SC_PS4_PS8_21rocsparse_index_base_SH_SH_SH_bbb.kd
    .uniform_work_group_size: 1
    .uses_dynamic_stack: false
    .vgpr_count:     40
    .vgpr_spill_count: 0
    .wavefront_size: 64
  - .agpr_count:     0
    .args:
      - .offset:         0
        .size:           4
        .value_kind:     by_value
      - .offset:         4
        .size:           4
        .value_kind:     by_value
      - .offset:         8
        .size:           4
        .value_kind:     by_value
      - .actual_access:  read_only
        .address_space:  global
        .offset:         16
        .size:           8
        .value_kind:     global_buffer
      - .actual_access:  read_only
        .address_space:  global
        .offset:         24
        .size:           8
        .value_kind:     global_buffer
      - .offset:         32
        .size:           8
        .value_kind:     by_value
      - .actual_access:  read_only
        .address_space:  global
        .offset:         40
        .size:           8
        .value_kind:     global_buffer
      - .actual_access:  read_only
        .address_space:  global
        .offset:         48
        .size:           8
        .value_kind:     global_buffer
      - .actual_access:  read_only
        .address_space:  global
        .offset:         56
        .size:           8
        .value_kind:     global_buffer
      - .actual_access:  read_only
        .address_space:  global
        .offset:         64
        .size:           8
        .value_kind:     global_buffer
      - .actual_access:  read_only
        .address_space:  global
        .offset:         72
        .size:           8
        .value_kind:     global_buffer
      - .actual_access:  read_only
        .address_space:  global
        .offset:         80
        .size:           8
        .value_kind:     global_buffer
      - .offset:         88
        .size:           8
        .value_kind:     by_value
      - .actual_access:  read_only
        .address_space:  global
        .offset:         96
        .size:           8
        .value_kind:     global_buffer
      - .actual_access:  read_only
        .address_space:  global
        .offset:         104
        .size:           8
        .value_kind:     global_buffer
      - .actual_access:  read_only
        .address_space:  global
        .offset:         112
        .size:           8
        .value_kind:     global_buffer
      - .actual_access:  read_only
        .address_space:  global
        .offset:         120
        .size:           8
        .value_kind:     global_buffer
      - .actual_access:  write_only
        .address_space:  global
        .offset:         128
        .size:           8
        .value_kind:     global_buffer
      - .actual_access:  write_only
        .address_space:  global
        .offset:         136
        .size:           8
        .value_kind:     global_buffer
      - .offset:         144
        .size:           4
        .value_kind:     by_value
      - .offset:         148
        .size:           4
        .value_kind:     by_value
      - .offset:         152
        .size:           4
        .value_kind:     by_value
      - .offset:         156
        .size:           4
        .value_kind:     by_value
      - .offset:         160
        .size:           1
        .value_kind:     by_value
      - .offset:         161
        .size:           1
        .value_kind:     by_value
      - .offset:         162
        .size:           1
        .value_kind:     by_value
    .group_segment_fixed_size: 0
    .kernarg_segment_align: 8
    .kernarg_segment_size: 164
    .language:       OpenCL C
    .language_version:
      - 2
      - 0
    .max_flat_workgroup_size: 256
    .name:           _ZN9rocsparseL30bsrgemm_fill_block_per_row_2x2ILj256ELj16ELj512ELj137Eii21rocsparse_complex_numIfEEEv20rocsparse_direction_T4_S4_PKS4_S6_NS_24const_host_device_scalarIT5_EEPKT3_S6_PKS8_SC_S6_SE_S9_SC_S6_SE_SC_PS4_PS8_21rocsparse_index_base_SH_SH_SH_bbb
    .private_segment_fixed_size: 0
    .sgpr_count:     66
    .sgpr_spill_count: 0
    .symbol:         _ZN9rocsparseL30bsrgemm_fill_block_per_row_2x2ILj256ELj16ELj512ELj137Eii21rocsparse_complex_numIfEEEv20rocsparse_direction_T4_S4_PKS4_S6_NS_24const_host_device_scalarIT5_EEPKT3_S6_PKS8_SC_S6_SE_S9_SC_S6_SE_SC_PS4_PS8_21rocsparse_index_base_SH_SH_SH_bbb.kd
    .uniform_work_group_size: 1
    .uses_dynamic_stack: false
    .vgpr_count:     38
    .vgpr_spill_count: 0
    .wavefront_size: 64
  - .agpr_count:     0
    .args:
      - .offset:         0
        .size:           4
        .value_kind:     by_value
      - .offset:         4
        .size:           4
        .value_kind:     by_value
      - .offset:         8
        .size:           4
        .value_kind:     by_value
      - .actual_access:  read_only
        .address_space:  global
        .offset:         16
        .size:           8
        .value_kind:     global_buffer
      - .actual_access:  read_only
        .address_space:  global
        .offset:         24
        .size:           8
        .value_kind:     global_buffer
      - .offset:         32
        .size:           8
        .value_kind:     by_value
      - .actual_access:  read_only
        .address_space:  global
        .offset:         40
        .size:           8
        .value_kind:     global_buffer
      - .actual_access:  read_only
        .address_space:  global
        .offset:         48
        .size:           8
        .value_kind:     global_buffer
      - .actual_access:  read_only
        .address_space:  global
        .offset:         56
        .size:           8
        .value_kind:     global_buffer
      - .actual_access:  read_only
        .address_space:  global
        .offset:         64
        .size:           8
        .value_kind:     global_buffer
      - .actual_access:  read_only
        .address_space:  global
        .offset:         72
        .size:           8
        .value_kind:     global_buffer
      - .actual_access:  read_only
        .address_space:  global
        .offset:         80
        .size:           8
        .value_kind:     global_buffer
      - .offset:         88
        .size:           8
        .value_kind:     by_value
      - .actual_access:  read_only
        .address_space:  global
        .offset:         96
        .size:           8
        .value_kind:     global_buffer
      - .actual_access:  read_only
        .address_space:  global
        .offset:         104
        .size:           8
        .value_kind:     global_buffer
      - .actual_access:  read_only
        .address_space:  global
        .offset:         112
        .size:           8
        .value_kind:     global_buffer
      - .actual_access:  read_only
        .address_space:  global
        .offset:         120
        .size:           8
        .value_kind:     global_buffer
      - .actual_access:  write_only
        .address_space:  global
        .offset:         128
        .size:           8
        .value_kind:     global_buffer
      - .actual_access:  write_only
        .address_space:  global
        .offset:         136
        .size:           8
        .value_kind:     global_buffer
      - .address_space:  global
        .offset:         144
        .size:           8
        .value_kind:     global_buffer
      - .offset:         152
        .size:           4
        .value_kind:     by_value
      - .offset:         156
        .size:           4
        .value_kind:     by_value
      - .offset:         160
        .size:           4
        .value_kind:     by_value
      - .offset:         164
        .size:           4
        .value_kind:     by_value
      - .offset:         168
        .size:           1
        .value_kind:     by_value
      - .offset:         169
        .size:           1
        .value_kind:     by_value
      - .offset:         170
        .size:           1
        .value_kind:     by_value
    .group_segment_fixed_size: 11268
    .kernarg_segment_align: 8
    .kernarg_segment_size: 172
    .language:       OpenCL C
    .language_version:
      - 2
      - 0
    .max_flat_workgroup_size: 256
    .name:           _ZN9rocsparseL38bsrgemm_block_per_row_atomic_multipassILj256ELj256ELj2Eii21rocsparse_complex_numIfEEEv20rocsparse_direction_T3_S4_PKS4_S6_NS_24const_host_device_scalarIT4_EEPKT2_S6_PKS8_SC_S6_SE_S9_SC_S6_SE_SC_PS4_PS8_PSA_21rocsparse_index_base_SI_SI_SI_bbb
    .private_segment_fixed_size: 0
    .sgpr_count:     100
    .sgpr_spill_count: 4
    .symbol:         _ZN9rocsparseL38bsrgemm_block_per_row_atomic_multipassILj256ELj256ELj2Eii21rocsparse_complex_numIfEEEv20rocsparse_direction_T3_S4_PKS4_S6_NS_24const_host_device_scalarIT4_EEPKT2_S6_PKS8_SC_S6_SE_S9_SC_S6_SE_SC_PS4_PS8_PSA_21rocsparse_index_base_SI_SI_SI_bbb.kd
    .uniform_work_group_size: 1
    .uses_dynamic_stack: false
    .vgpr_count:     47
    .vgpr_spill_count: 0
    .wavefront_size: 64
  - .agpr_count:     0
    .args:
      - .offset:         0
        .size:           4
        .value_kind:     by_value
      - .offset:         4
        .size:           4
        .value_kind:     by_value
      - .offset:         8
        .size:           4
        .value_kind:     by_value
      - .offset:         12
        .size:           4
        .value_kind:     by_value
      - .actual_access:  read_only
        .address_space:  global
        .offset:         16
        .size:           8
        .value_kind:     global_buffer
      - .actual_access:  read_only
        .address_space:  global
        .offset:         24
        .size:           8
        .value_kind:     global_buffer
      - .offset:         32
        .size:           8
        .value_kind:     by_value
      - .actual_access:  read_only
        .address_space:  global
        .offset:         40
        .size:           8
        .value_kind:     global_buffer
      - .actual_access:  read_only
        .address_space:  global
        .offset:         48
        .size:           8
        .value_kind:     global_buffer
      - .actual_access:  read_only
        .address_space:  global
        .offset:         56
        .size:           8
        .value_kind:     global_buffer
      - .actual_access:  read_only
        .address_space:  global
        .offset:         64
        .size:           8
        .value_kind:     global_buffer
      - .actual_access:  read_only
        .address_space:  global
        .offset:         72
        .size:           8
        .value_kind:     global_buffer
      - .actual_access:  read_only
        .address_space:  global
        .offset:         80
        .size:           8
        .value_kind:     global_buffer
      - .offset:         88
        .size:           8
        .value_kind:     by_value
      - .actual_access:  read_only
        .address_space:  global
        .offset:         96
        .size:           8
        .value_kind:     global_buffer
      - .actual_access:  read_only
        .address_space:  global
        .offset:         104
        .size:           8
        .value_kind:     global_buffer
      - .actual_access:  read_only
        .address_space:  global
        .offset:         112
        .size:           8
        .value_kind:     global_buffer
      - .actual_access:  read_only
        .address_space:  global
        .offset:         120
        .size:           8
        .value_kind:     global_buffer
      - .actual_access:  write_only
        .address_space:  global
        .offset:         128
        .size:           8
        .value_kind:     global_buffer
      - .actual_access:  write_only
        .address_space:  global
        .offset:         136
        .size:           8
        .value_kind:     global_buffer
      - .offset:         144
        .size:           4
        .value_kind:     by_value
      - .offset:         148
        .size:           4
        .value_kind:     by_value
      - .offset:         152
        .size:           4
        .value_kind:     by_value
      - .offset:         156
        .size:           4
        .value_kind:     by_value
      - .offset:         160
        .size:           1
        .value_kind:     by_value
      - .offset:         161
        .size:           1
        .value_kind:     by_value
      - .offset:         162
        .size:           1
        .value_kind:     by_value
    .group_segment_fixed_size: 4224
    .kernarg_segment_align: 8
    .kernarg_segment_size: 164
    .language:       OpenCL C
    .language_version:
      - 2
      - 0
    .max_flat_workgroup_size: 256
    .name:           _ZN9rocsparseL23bsrgemm_fill_wf_per_rowILj256ELj64ELj8ELj137ELj4Eii21rocsparse_complex_numIfEEEv20rocsparse_direction_T5_S4_S4_PKS4_S6_NS_24const_host_device_scalarIT6_EEPKT4_S6_PKS8_SC_S6_SE_S9_SC_S6_SE_SC_PS4_PS8_21rocsparse_index_base_SH_SH_SH_bbb
    .private_segment_fixed_size: 0
    .sgpr_count:     72
    .sgpr_spill_count: 0
    .symbol:         _ZN9rocsparseL23bsrgemm_fill_wf_per_rowILj256ELj64ELj8ELj137ELj4Eii21rocsparse_complex_numIfEEEv20rocsparse_direction_T5_S4_S4_PKS4_S6_NS_24const_host_device_scalarIT6_EEPKT4_S6_PKS8_SC_S6_SE_S9_SC_S6_SE_SC_PS4_PS8_21rocsparse_index_base_SH_SH_SH_bbb.kd
    .uniform_work_group_size: 1
    .uses_dynamic_stack: false
    .vgpr_count:     36
    .vgpr_spill_count: 0
    .wavefront_size: 64
  - .agpr_count:     0
    .args:
      - .offset:         0
        .size:           4
        .value_kind:     by_value
      - .offset:         4
        .size:           4
        .value_kind:     by_value
      - .offset:         8
        .size:           4
        .value_kind:     by_value
      - .offset:         12
        .size:           4
        .value_kind:     by_value
      - .actual_access:  read_only
        .address_space:  global
        .offset:         16
        .size:           8
        .value_kind:     global_buffer
      - .actual_access:  read_only
        .address_space:  global
        .offset:         24
        .size:           8
        .value_kind:     global_buffer
      - .offset:         32
        .size:           8
        .value_kind:     by_value
      - .actual_access:  read_only
        .address_space:  global
        .offset:         40
        .size:           8
        .value_kind:     global_buffer
      - .actual_access:  read_only
        .address_space:  global
        .offset:         48
        .size:           8
        .value_kind:     global_buffer
      - .actual_access:  read_only
        .address_space:  global
        .offset:         56
        .size:           8
        .value_kind:     global_buffer
      - .actual_access:  read_only
        .address_space:  global
        .offset:         64
        .size:           8
        .value_kind:     global_buffer
      - .actual_access:  read_only
        .address_space:  global
        .offset:         72
        .size:           8
        .value_kind:     global_buffer
      - .actual_access:  read_only
        .address_space:  global
        .offset:         80
        .size:           8
        .value_kind:     global_buffer
      - .offset:         88
        .size:           8
        .value_kind:     by_value
      - .actual_access:  read_only
        .address_space:  global
        .offset:         96
        .size:           8
        .value_kind:     global_buffer
      - .actual_access:  read_only
        .address_space:  global
        .offset:         104
        .size:           8
        .value_kind:     global_buffer
      - .actual_access:  read_only
        .address_space:  global
        .offset:         112
        .size:           8
        .value_kind:     global_buffer
      - .actual_access:  read_only
        .address_space:  global
        .offset:         120
        .size:           8
        .value_kind:     global_buffer
      - .actual_access:  write_only
        .address_space:  global
        .offset:         128
        .size:           8
        .value_kind:     global_buffer
      - .actual_access:  write_only
        .address_space:  global
        .offset:         136
        .size:           8
        .value_kind:     global_buffer
      - .offset:         144
        .size:           4
        .value_kind:     by_value
      - .offset:         148
        .size:           4
        .value_kind:     by_value
      - .offset:         152
        .size:           4
        .value_kind:     by_value
      - .offset:         156
        .size:           4
        .value_kind:     by_value
      - .offset:         160
        .size:           1
        .value_kind:     by_value
      - .offset:         161
        .size:           1
        .value_kind:     by_value
      - .offset:         162
        .size:           1
        .value_kind:     by_value
    .group_segment_fixed_size: 8448
    .kernarg_segment_align: 8
    .kernarg_segment_size: 164
    .language:       OpenCL C
    .language_version:
      - 2
      - 0
    .max_flat_workgroup_size: 256
    .name:           _ZN9rocsparseL23bsrgemm_fill_wf_per_rowILj256ELj64ELj16ELj137ELj4Eii21rocsparse_complex_numIfEEEv20rocsparse_direction_T5_S4_S4_PKS4_S6_NS_24const_host_device_scalarIT6_EEPKT4_S6_PKS8_SC_S6_SE_S9_SC_S6_SE_SC_PS4_PS8_21rocsparse_index_base_SH_SH_SH_bbb
    .private_segment_fixed_size: 0
    .sgpr_count:     72
    .sgpr_spill_count: 0
    .symbol:         _ZN9rocsparseL23bsrgemm_fill_wf_per_rowILj256ELj64ELj16ELj137ELj4Eii21rocsparse_complex_numIfEEEv20rocsparse_direction_T5_S4_S4_PKS4_S6_NS_24const_host_device_scalarIT6_EEPKT4_S6_PKS8_SC_S6_SE_S9_SC_S6_SE_SC_PS4_PS8_21rocsparse_index_base_SH_SH_SH_bbb.kd
    .uniform_work_group_size: 1
    .uses_dynamic_stack: false
    .vgpr_count:     36
    .vgpr_spill_count: 0
    .wavefront_size: 64
  - .agpr_count:     0
    .args:
      - .offset:         0
        .size:           4
        .value_kind:     by_value
      - .offset:         4
        .size:           4
        .value_kind:     by_value
      - .offset:         8
        .size:           4
        .value_kind:     by_value
      - .actual_access:  read_only
        .address_space:  global
        .offset:         16
        .size:           8
        .value_kind:     global_buffer
      - .actual_access:  read_only
        .address_space:  global
        .offset:         24
        .size:           8
        .value_kind:     global_buffer
      - .offset:         32
        .size:           8
        .value_kind:     by_value
      - .actual_access:  read_only
        .address_space:  global
        .offset:         40
        .size:           8
        .value_kind:     global_buffer
      - .actual_access:  read_only
        .address_space:  global
        .offset:         48
        .size:           8
        .value_kind:     global_buffer
      - .actual_access:  read_only
        .address_space:  global
        .offset:         56
        .size:           8
        .value_kind:     global_buffer
      - .actual_access:  read_only
        .address_space:  global
        .offset:         64
        .size:           8
        .value_kind:     global_buffer
      - .actual_access:  read_only
        .address_space:  global
        .offset:         72
        .size:           8
        .value_kind:     global_buffer
      - .actual_access:  read_only
        .address_space:  global
        .offset:         80
        .size:           8
        .value_kind:     global_buffer
      - .offset:         88
        .size:           8
        .value_kind:     by_value
      - .actual_access:  read_only
        .address_space:  global
        .offset:         96
        .size:           8
        .value_kind:     global_buffer
      - .actual_access:  read_only
        .address_space:  global
        .offset:         104
        .size:           8
        .value_kind:     global_buffer
      - .actual_access:  read_only
        .address_space:  global
        .offset:         112
        .size:           8
        .value_kind:     global_buffer
      - .actual_access:  read_only
        .address_space:  global
        .offset:         120
        .size:           8
        .value_kind:     global_buffer
      - .actual_access:  write_only
        .address_space:  global
        .offset:         128
        .size:           8
        .value_kind:     global_buffer
      - .actual_access:  write_only
        .address_space:  global
        .offset:         136
        .size:           8
        .value_kind:     global_buffer
      - .address_space:  global
        .offset:         144
        .size:           8
        .value_kind:     global_buffer
      - .offset:         152
        .size:           4
        .value_kind:     by_value
      - .offset:         156
        .size:           4
        .value_kind:     by_value
      - .offset:         160
        .size:           4
        .value_kind:     by_value
      - .offset:         164
        .size:           4
        .value_kind:     by_value
      - .offset:         168
        .size:           1
        .value_kind:     by_value
      - .offset:         169
        .size:           1
        .value_kind:     by_value
      - .offset:         170
        .size:           1
        .value_kind:     by_value
    .group_segment_fixed_size: 6276
    .kernarg_segment_align: 8
    .kernarg_segment_size: 172
    .language:       OpenCL C
    .language_version:
      - 2
      - 0
    .max_flat_workgroup_size: 256
    .name:           _ZN9rocsparseL38bsrgemm_block_per_row_atomic_multipassILj256ELj32ELj4Eii21rocsparse_complex_numIfEEEv20rocsparse_direction_T3_S4_PKS4_S6_NS_24const_host_device_scalarIT4_EEPKT2_S6_PKS8_SC_S6_SE_S9_SC_S6_SE_SC_PS4_PS8_PSA_21rocsparse_index_base_SI_SI_SI_bbb
    .private_segment_fixed_size: 0
    .sgpr_count:     97
    .sgpr_spill_count: 0
    .symbol:         _ZN9rocsparseL38bsrgemm_block_per_row_atomic_multipassILj256ELj32ELj4Eii21rocsparse_complex_numIfEEEv20rocsparse_direction_T3_S4_PKS4_S6_NS_24const_host_device_scalarIT4_EEPKT2_S6_PKS8_SC_S6_SE_S9_SC_S6_SE_SC_PS4_PS8_PSA_21rocsparse_index_base_SI_SI_SI_bbb.kd
    .uniform_work_group_size: 1
    .uses_dynamic_stack: false
    .vgpr_count:     42
    .vgpr_spill_count: 0
    .wavefront_size: 64
  - .agpr_count:     0
    .args:
      - .offset:         0
        .size:           4
        .value_kind:     by_value
      - .offset:         4
        .size:           4
        .value_kind:     by_value
      - .offset:         8
        .size:           4
        .value_kind:     by_value
      - .actual_access:  read_only
        .address_space:  global
        .offset:         16
        .size:           8
        .value_kind:     global_buffer
      - .actual_access:  read_only
        .address_space:  global
        .offset:         24
        .size:           8
        .value_kind:     global_buffer
      - .offset:         32
        .size:           8
        .value_kind:     by_value
      - .actual_access:  read_only
        .address_space:  global
        .offset:         40
        .size:           8
        .value_kind:     global_buffer
      - .actual_access:  read_only
        .address_space:  global
        .offset:         48
        .size:           8
        .value_kind:     global_buffer
      - .actual_access:  read_only
        .address_space:  global
        .offset:         56
        .size:           8
        .value_kind:     global_buffer
      - .actual_access:  read_only
        .address_space:  global
        .offset:         64
        .size:           8
        .value_kind:     global_buffer
      - .actual_access:  read_only
        .address_space:  global
        .offset:         72
        .size:           8
        .value_kind:     global_buffer
      - .actual_access:  read_only
        .address_space:  global
        .offset:         80
        .size:           8
        .value_kind:     global_buffer
      - .offset:         88
        .size:           8
        .value_kind:     by_value
      - .actual_access:  read_only
        .address_space:  global
        .offset:         96
        .size:           8
        .value_kind:     global_buffer
      - .actual_access:  read_only
        .address_space:  global
        .offset:         104
        .size:           8
        .value_kind:     global_buffer
      - .actual_access:  read_only
        .address_space:  global
        .offset:         112
        .size:           8
        .value_kind:     global_buffer
      - .actual_access:  read_only
        .address_space:  global
        .offset:         120
        .size:           8
        .value_kind:     global_buffer
      - .actual_access:  write_only
        .address_space:  global
        .offset:         128
        .size:           8
        .value_kind:     global_buffer
      - .actual_access:  write_only
        .address_space:  global
        .offset:         136
        .size:           8
        .value_kind:     global_buffer
      - .address_space:  global
        .offset:         144
        .size:           8
        .value_kind:     global_buffer
      - .offset:         152
        .size:           4
        .value_kind:     by_value
      - .offset:         156
        .size:           4
        .value_kind:     by_value
      - .offset:         160
        .size:           4
        .value_kind:     by_value
      - .offset:         164
        .size:           4
        .value_kind:     by_value
      - .offset:         168
        .size:           1
        .value_kind:     by_value
      - .offset:         169
        .size:           1
        .value_kind:     by_value
      - .offset:         170
        .size:           1
        .value_kind:     by_value
    .group_segment_fixed_size: 10500
    .kernarg_segment_align: 8
    .kernarg_segment_size: 172
    .language:       OpenCL C
    .language_version:
      - 2
      - 0
    .max_flat_workgroup_size: 256
    .name:           _ZN9rocsparseL38bsrgemm_block_per_row_atomic_multipassILj256ELj64ELj4Eii21rocsparse_complex_numIfEEEv20rocsparse_direction_T3_S4_PKS4_S6_NS_24const_host_device_scalarIT4_EEPKT2_S6_PKS8_SC_S6_SE_S9_SC_S6_SE_SC_PS4_PS8_PSA_21rocsparse_index_base_SI_SI_SI_bbb
    .private_segment_fixed_size: 0
    .sgpr_count:     98
    .sgpr_spill_count: 0
    .symbol:         _ZN9rocsparseL38bsrgemm_block_per_row_atomic_multipassILj256ELj64ELj4Eii21rocsparse_complex_numIfEEEv20rocsparse_direction_T3_S4_PKS4_S6_NS_24const_host_device_scalarIT4_EEPKT2_S6_PKS8_SC_S6_SE_S9_SC_S6_SE_SC_PS4_PS8_PSA_21rocsparse_index_base_SI_SI_SI_bbb.kd
    .uniform_work_group_size: 1
    .uses_dynamic_stack: false
    .vgpr_count:     44
    .vgpr_spill_count: 0
    .wavefront_size: 64
  - .agpr_count:     0
    .args:
      - .offset:         0
        .size:           4
        .value_kind:     by_value
      - .offset:         4
        .size:           4
        .value_kind:     by_value
      - .offset:         8
        .size:           4
        .value_kind:     by_value
      - .actual_access:  read_only
        .address_space:  global
        .offset:         16
        .size:           8
        .value_kind:     global_buffer
      - .actual_access:  read_only
        .address_space:  global
        .offset:         24
        .size:           8
        .value_kind:     global_buffer
      - .offset:         32
        .size:           8
        .value_kind:     by_value
      - .actual_access:  read_only
        .address_space:  global
        .offset:         40
        .size:           8
        .value_kind:     global_buffer
      - .actual_access:  read_only
        .address_space:  global
        .offset:         48
        .size:           8
        .value_kind:     global_buffer
      - .actual_access:  read_only
        .address_space:  global
        .offset:         56
        .size:           8
        .value_kind:     global_buffer
      - .actual_access:  read_only
        .address_space:  global
        .offset:         64
        .size:           8
        .value_kind:     global_buffer
      - .actual_access:  read_only
        .address_space:  global
        .offset:         72
        .size:           8
        .value_kind:     global_buffer
      - .actual_access:  read_only
        .address_space:  global
        .offset:         80
        .size:           8
        .value_kind:     global_buffer
      - .offset:         88
        .size:           8
        .value_kind:     by_value
      - .actual_access:  read_only
        .address_space:  global
        .offset:         96
        .size:           8
        .value_kind:     global_buffer
      - .actual_access:  read_only
        .address_space:  global
        .offset:         104
        .size:           8
        .value_kind:     global_buffer
      - .actual_access:  read_only
        .address_space:  global
        .offset:         112
        .size:           8
        .value_kind:     global_buffer
      - .actual_access:  read_only
        .address_space:  global
        .offset:         120
        .size:           8
        .value_kind:     global_buffer
      - .actual_access:  write_only
        .address_space:  global
        .offset:         128
        .size:           8
        .value_kind:     global_buffer
      - .actual_access:  write_only
        .address_space:  global
        .offset:         136
        .size:           8
        .value_kind:     global_buffer
      - .address_space:  global
        .offset:         144
        .size:           8
        .value_kind:     global_buffer
      - .offset:         152
        .size:           4
        .value_kind:     by_value
      - .offset:         156
        .size:           4
        .value_kind:     by_value
      - .offset:         160
        .size:           4
        .value_kind:     by_value
      - .offset:         164
        .size:           4
        .value_kind:     by_value
      - .offset:         168
        .size:           1
        .value_kind:     by_value
      - .offset:         169
        .size:           1
        .value_kind:     by_value
      - .offset:         170
        .size:           1
        .value_kind:     by_value
    .group_segment_fixed_size: 18948
    .kernarg_segment_align: 8
    .kernarg_segment_size: 172
    .language:       OpenCL C
    .language_version:
      - 2
      - 0
    .max_flat_workgroup_size: 256
    .name:           _ZN9rocsparseL38bsrgemm_block_per_row_atomic_multipassILj256ELj128ELj4Eii21rocsparse_complex_numIfEEEv20rocsparse_direction_T3_S4_PKS4_S6_NS_24const_host_device_scalarIT4_EEPKT2_S6_PKS8_SC_S6_SE_S9_SC_S6_SE_SC_PS4_PS8_PSA_21rocsparse_index_base_SI_SI_SI_bbb
    .private_segment_fixed_size: 0
    .sgpr_count:     100
    .sgpr_spill_count: 4
    .symbol:         _ZN9rocsparseL38bsrgemm_block_per_row_atomic_multipassILj256ELj128ELj4Eii21rocsparse_complex_numIfEEEv20rocsparse_direction_T3_S4_PKS4_S6_NS_24const_host_device_scalarIT4_EEPKT2_S6_PKS8_SC_S6_SE_S9_SC_S6_SE_SC_PS4_PS8_PSA_21rocsparse_index_base_SI_SI_SI_bbb.kd
    .uniform_work_group_size: 1
    .uses_dynamic_stack: false
    .vgpr_count:     47
    .vgpr_spill_count: 0
    .wavefront_size: 64
  - .agpr_count:     0
    .args:
      - .offset:         0
        .size:           4
        .value_kind:     by_value
      - .offset:         4
        .size:           4
        .value_kind:     by_value
      - .offset:         8
        .size:           4
        .value_kind:     by_value
      - .offset:         12
        .size:           4
        .value_kind:     by_value
      - .actual_access:  read_only
        .address_space:  global
        .offset:         16
        .size:           8
        .value_kind:     global_buffer
      - .actual_access:  read_only
        .address_space:  global
        .offset:         24
        .size:           8
        .value_kind:     global_buffer
      - .offset:         32
        .size:           8
        .value_kind:     by_value
      - .actual_access:  read_only
        .address_space:  global
        .offset:         40
        .size:           8
        .value_kind:     global_buffer
      - .actual_access:  read_only
        .address_space:  global
        .offset:         48
        .size:           8
        .value_kind:     global_buffer
      - .actual_access:  read_only
        .address_space:  global
        .offset:         56
        .size:           8
        .value_kind:     global_buffer
      - .actual_access:  read_only
        .address_space:  global
        .offset:         64
        .size:           8
        .value_kind:     global_buffer
      - .actual_access:  read_only
        .address_space:  global
        .offset:         72
        .size:           8
        .value_kind:     global_buffer
      - .actual_access:  read_only
        .address_space:  global
        .offset:         80
        .size:           8
        .value_kind:     global_buffer
      - .offset:         88
        .size:           8
        .value_kind:     by_value
      - .actual_access:  read_only
        .address_space:  global
        .offset:         96
        .size:           8
        .value_kind:     global_buffer
      - .actual_access:  read_only
        .address_space:  global
        .offset:         104
        .size:           8
        .value_kind:     global_buffer
      - .actual_access:  read_only
        .address_space:  global
        .offset:         112
        .size:           8
        .value_kind:     global_buffer
      - .actual_access:  read_only
        .address_space:  global
        .offset:         120
        .size:           8
        .value_kind:     global_buffer
      - .actual_access:  write_only
        .address_space:  global
        .offset:         128
        .size:           8
        .value_kind:     global_buffer
      - .actual_access:  write_only
        .address_space:  global
        .offset:         136
        .size:           8
        .value_kind:     global_buffer
      - .offset:         144
        .size:           4
        .value_kind:     by_value
      - .offset:         148
        .size:           4
        .value_kind:     by_value
      - .offset:         152
        .size:           4
        .value_kind:     by_value
      - .offset:         156
        .size:           4
        .value_kind:     by_value
      - .offset:         160
        .size:           1
        .value_kind:     by_value
      - .offset:         161
        .size:           1
        .value_kind:     by_value
      - .offset:         162
        .size:           1
        .value_kind:     by_value
    .group_segment_fixed_size: 16512
    .kernarg_segment_align: 8
    .kernarg_segment_size: 164
    .language:       OpenCL C
    .language_version:
      - 2
      - 0
    .max_flat_workgroup_size: 256
    .name:           _ZN9rocsparseL23bsrgemm_fill_wf_per_rowILj256ELj64ELj8ELj137ELj8Eii21rocsparse_complex_numIfEEEv20rocsparse_direction_T5_S4_S4_PKS4_S6_NS_24const_host_device_scalarIT6_EEPKT4_S6_PKS8_SC_S6_SE_S9_SC_S6_SE_SC_PS4_PS8_21rocsparse_index_base_SH_SH_SH_bbb
    .private_segment_fixed_size: 0
    .sgpr_count:     71
    .sgpr_spill_count: 0
    .symbol:         _ZN9rocsparseL23bsrgemm_fill_wf_per_rowILj256ELj64ELj8ELj137ELj8Eii21rocsparse_complex_numIfEEEv20rocsparse_direction_T5_S4_S4_PKS4_S6_NS_24const_host_device_scalarIT6_EEPKT4_S6_PKS8_SC_S6_SE_S9_SC_S6_SE_SC_PS4_PS8_21rocsparse_index_base_SH_SH_SH_bbb.kd
    .uniform_work_group_size: 1
    .uses_dynamic_stack: false
    .vgpr_count:     34
    .vgpr_spill_count: 0
    .wavefront_size: 64
  - .agpr_count:     0
    .args:
      - .offset:         0
        .size:           4
        .value_kind:     by_value
      - .offset:         4
        .size:           4
        .value_kind:     by_value
      - .offset:         8
        .size:           4
        .value_kind:     by_value
      - .actual_access:  read_only
        .address_space:  global
        .offset:         16
        .size:           8
        .value_kind:     global_buffer
      - .actual_access:  read_only
        .address_space:  global
        .offset:         24
        .size:           8
        .value_kind:     global_buffer
      - .offset:         32
        .size:           8
        .value_kind:     by_value
      - .actual_access:  read_only
        .address_space:  global
        .offset:         40
        .size:           8
        .value_kind:     global_buffer
      - .actual_access:  read_only
        .address_space:  global
        .offset:         48
        .size:           8
        .value_kind:     global_buffer
      - .actual_access:  read_only
        .address_space:  global
        .offset:         56
        .size:           8
        .value_kind:     global_buffer
      - .actual_access:  read_only
        .address_space:  global
        .offset:         64
        .size:           8
        .value_kind:     global_buffer
      - .actual_access:  read_only
        .address_space:  global
        .offset:         72
        .size:           8
        .value_kind:     global_buffer
      - .actual_access:  read_only
        .address_space:  global
        .offset:         80
        .size:           8
        .value_kind:     global_buffer
      - .offset:         88
        .size:           8
        .value_kind:     by_value
      - .actual_access:  read_only
        .address_space:  global
        .offset:         96
        .size:           8
        .value_kind:     global_buffer
      - .actual_access:  read_only
        .address_space:  global
        .offset:         104
        .size:           8
        .value_kind:     global_buffer
      - .actual_access:  read_only
        .address_space:  global
        .offset:         112
        .size:           8
        .value_kind:     global_buffer
      - .actual_access:  read_only
        .address_space:  global
        .offset:         120
        .size:           8
        .value_kind:     global_buffer
      - .actual_access:  write_only
        .address_space:  global
        .offset:         128
        .size:           8
        .value_kind:     global_buffer
      - .actual_access:  write_only
        .address_space:  global
        .offset:         136
        .size:           8
        .value_kind:     global_buffer
      - .address_space:  global
        .offset:         144
        .size:           8
        .value_kind:     global_buffer
      - .offset:         152
        .size:           4
        .value_kind:     by_value
      - .offset:         156
        .size:           4
        .value_kind:     by_value
      - .offset:         160
        .size:           4
        .value_kind:     by_value
      - .offset:         164
        .size:           4
        .value_kind:     by_value
      - .offset:         168
        .size:           1
        .value_kind:     by_value
      - .offset:         169
        .size:           1
        .value_kind:     by_value
      - .offset:         170
        .size:           1
        .value_kind:     by_value
    .group_segment_fixed_size: 10308
    .kernarg_segment_align: 8
    .kernarg_segment_size: 172
    .language:       OpenCL C
    .language_version:
      - 2
      - 0
    .max_flat_workgroup_size: 256
    .name:           _ZN9rocsparseL38bsrgemm_block_per_row_atomic_multipassILj256ELj16ELj8Eii21rocsparse_complex_numIfEEEv20rocsparse_direction_T3_S4_PKS4_S6_NS_24const_host_device_scalarIT4_EEPKT2_S6_PKS8_SC_S6_SE_S9_SC_S6_SE_SC_PS4_PS8_PSA_21rocsparse_index_base_SI_SI_SI_bbb
    .private_segment_fixed_size: 0
    .sgpr_count:     94
    .sgpr_spill_count: 0
    .symbol:         _ZN9rocsparseL38bsrgemm_block_per_row_atomic_multipassILj256ELj16ELj8Eii21rocsparse_complex_numIfEEEv20rocsparse_direction_T3_S4_PKS4_S6_NS_24const_host_device_scalarIT4_EEPKT2_S6_PKS8_SC_S6_SE_S9_SC_S6_SE_SC_PS4_PS8_PSA_21rocsparse_index_base_SI_SI_SI_bbb.kd
    .uniform_work_group_size: 1
    .uses_dynamic_stack: false
    .vgpr_count:     42
    .vgpr_spill_count: 0
    .wavefront_size: 64
  - .agpr_count:     0
    .args:
      - .offset:         0
        .size:           4
        .value_kind:     by_value
      - .offset:         4
        .size:           4
        .value_kind:     by_value
      - .offset:         8
        .size:           4
        .value_kind:     by_value
      - .actual_access:  read_only
        .address_space:  global
        .offset:         16
        .size:           8
        .value_kind:     global_buffer
      - .actual_access:  read_only
        .address_space:  global
        .offset:         24
        .size:           8
        .value_kind:     global_buffer
      - .offset:         32
        .size:           8
        .value_kind:     by_value
      - .actual_access:  read_only
        .address_space:  global
        .offset:         40
        .size:           8
        .value_kind:     global_buffer
      - .actual_access:  read_only
        .address_space:  global
        .offset:         48
        .size:           8
        .value_kind:     global_buffer
      - .actual_access:  read_only
        .address_space:  global
        .offset:         56
        .size:           8
        .value_kind:     global_buffer
      - .actual_access:  read_only
        .address_space:  global
        .offset:         64
        .size:           8
        .value_kind:     global_buffer
      - .actual_access:  read_only
        .address_space:  global
        .offset:         72
        .size:           8
        .value_kind:     global_buffer
      - .actual_access:  read_only
        .address_space:  global
        .offset:         80
        .size:           8
        .value_kind:     global_buffer
      - .offset:         88
        .size:           8
        .value_kind:     by_value
      - .actual_access:  read_only
        .address_space:  global
        .offset:         96
        .size:           8
        .value_kind:     global_buffer
      - .actual_access:  read_only
        .address_space:  global
        .offset:         104
        .size:           8
        .value_kind:     global_buffer
      - .actual_access:  read_only
        .address_space:  global
        .offset:         112
        .size:           8
        .value_kind:     global_buffer
      - .actual_access:  read_only
        .address_space:  global
        .offset:         120
        .size:           8
        .value_kind:     global_buffer
      - .actual_access:  write_only
        .address_space:  global
        .offset:         128
        .size:           8
        .value_kind:     global_buffer
      - .actual_access:  write_only
        .address_space:  global
        .offset:         136
        .size:           8
        .value_kind:     global_buffer
      - .address_space:  global
        .offset:         144
        .size:           8
        .value_kind:     global_buffer
      - .offset:         152
        .size:           4
        .value_kind:     by_value
      - .offset:         156
        .size:           4
        .value_kind:     by_value
      - .offset:         160
        .size:           4
        .value_kind:     by_value
      - .offset:         164
        .size:           4
        .value_kind:     by_value
      - .offset:         168
        .size:           1
        .value_kind:     by_value
      - .offset:         169
        .size:           1
        .value_kind:     by_value
      - .offset:         170
        .size:           1
        .value_kind:     by_value
    .group_segment_fixed_size: 18564
    .kernarg_segment_align: 8
    .kernarg_segment_size: 172
    .language:       OpenCL C
    .language_version:
      - 2
      - 0
    .max_flat_workgroup_size: 256
    .name:           _ZN9rocsparseL38bsrgemm_block_per_row_atomic_multipassILj256ELj32ELj8Eii21rocsparse_complex_numIfEEEv20rocsparse_direction_T3_S4_PKS4_S6_NS_24const_host_device_scalarIT4_EEPKT2_S6_PKS8_SC_S6_SE_S9_SC_S6_SE_SC_PS4_PS8_PSA_21rocsparse_index_base_SI_SI_SI_bbb
    .private_segment_fixed_size: 0
    .sgpr_count:     99
    .sgpr_spill_count: 0
    .symbol:         _ZN9rocsparseL38bsrgemm_block_per_row_atomic_multipassILj256ELj32ELj8Eii21rocsparse_complex_numIfEEEv20rocsparse_direction_T3_S4_PKS4_S6_NS_24const_host_device_scalarIT4_EEPKT2_S6_PKS8_SC_S6_SE_S9_SC_S6_SE_SC_PS4_PS8_PSA_21rocsparse_index_base_SI_SI_SI_bbb.kd
    .uniform_work_group_size: 1
    .uses_dynamic_stack: false
    .vgpr_count:     44
    .vgpr_spill_count: 0
    .wavefront_size: 64
  - .agpr_count:     0
    .args:
      - .offset:         0
        .size:           4
        .value_kind:     by_value
      - .offset:         4
        .size:           4
        .value_kind:     by_value
      - .offset:         8
        .size:           4
        .value_kind:     by_value
      - .actual_access:  read_only
        .address_space:  global
        .offset:         16
        .size:           8
        .value_kind:     global_buffer
      - .actual_access:  read_only
        .address_space:  global
        .offset:         24
        .size:           8
        .value_kind:     global_buffer
      - .offset:         32
        .size:           8
        .value_kind:     by_value
      - .actual_access:  read_only
        .address_space:  global
        .offset:         40
        .size:           8
        .value_kind:     global_buffer
      - .actual_access:  read_only
        .address_space:  global
        .offset:         48
        .size:           8
        .value_kind:     global_buffer
      - .actual_access:  read_only
        .address_space:  global
        .offset:         56
        .size:           8
        .value_kind:     global_buffer
      - .actual_access:  read_only
        .address_space:  global
        .offset:         64
        .size:           8
        .value_kind:     global_buffer
      - .actual_access:  read_only
        .address_space:  global
        .offset:         72
        .size:           8
        .value_kind:     global_buffer
      - .actual_access:  read_only
        .address_space:  global
        .offset:         80
        .size:           8
        .value_kind:     global_buffer
      - .offset:         88
        .size:           8
        .value_kind:     by_value
      - .actual_access:  read_only
        .address_space:  global
        .offset:         96
        .size:           8
        .value_kind:     global_buffer
      - .actual_access:  read_only
        .address_space:  global
        .offset:         104
        .size:           8
        .value_kind:     global_buffer
      - .actual_access:  read_only
        .address_space:  global
        .offset:         112
        .size:           8
        .value_kind:     global_buffer
      - .actual_access:  read_only
        .address_space:  global
        .offset:         120
        .size:           8
        .value_kind:     global_buffer
      - .actual_access:  write_only
        .address_space:  global
        .offset:         128
        .size:           8
        .value_kind:     global_buffer
      - .actual_access:  write_only
        .address_space:  global
        .offset:         136
        .size:           8
        .value_kind:     global_buffer
      - .address_space:  global
        .offset:         144
        .size:           8
        .value_kind:     global_buffer
      - .offset:         152
        .size:           4
        .value_kind:     by_value
      - .offset:         156
        .size:           4
        .value_kind:     by_value
      - .offset:         160
        .size:           4
        .value_kind:     by_value
      - .offset:         164
        .size:           4
        .value_kind:     by_value
      - .offset:         168
        .size:           1
        .value_kind:     by_value
      - .offset:         169
        .size:           1
        .value_kind:     by_value
      - .offset:         170
        .size:           1
        .value_kind:     by_value
    .group_segment_fixed_size: 16392
    .kernarg_segment_align: 8
    .kernarg_segment_size: 172
    .language:       OpenCL C
    .language_version:
      - 2
      - 0
    .max_flat_workgroup_size: 256
    .name:           _ZN9rocsparseL31bsrgemm_block_per_row_multipassILj256ELj8ELj16Eii21rocsparse_complex_numIfEEEv20rocsparse_direction_T3_S4_PKS4_S6_NS_24const_host_device_scalarIT4_EEPKT2_S6_PKS8_SC_S6_SE_S9_SC_S6_SE_SC_PS4_PS8_PSA_21rocsparse_index_base_SI_SI_SI_bbb
    .private_segment_fixed_size: 0
    .sgpr_count:     84
    .sgpr_spill_count: 0
    .symbol:         _ZN9rocsparseL31bsrgemm_block_per_row_multipassILj256ELj8ELj16Eii21rocsparse_complex_numIfEEEv20rocsparse_direction_T3_S4_PKS4_S6_NS_24const_host_device_scalarIT4_EEPKT2_S6_PKS8_SC_S6_SE_S9_SC_S6_SE_SC_PS4_PS8_PSA_21rocsparse_index_base_SI_SI_SI_bbb.kd
    .uniform_work_group_size: 1
    .uses_dynamic_stack: false
    .vgpr_count:     31
    .vgpr_spill_count: 0
    .wavefront_size: 64
  - .agpr_count:     0
    .args:
      - .offset:         0
        .size:           4
        .value_kind:     by_value
      - .offset:         4
        .size:           4
        .value_kind:     by_value
      - .offset:         8
        .size:           4
        .value_kind:     by_value
      - .actual_access:  read_only
        .address_space:  global
        .offset:         16
        .size:           8
        .value_kind:     global_buffer
      - .actual_access:  read_only
        .address_space:  global
        .offset:         24
        .size:           8
        .value_kind:     global_buffer
      - .offset:         32
        .size:           8
        .value_kind:     by_value
      - .actual_access:  read_only
        .address_space:  global
        .offset:         40
        .size:           8
        .value_kind:     global_buffer
      - .actual_access:  read_only
        .address_space:  global
        .offset:         48
        .size:           8
        .value_kind:     global_buffer
      - .actual_access:  read_only
        .address_space:  global
        .offset:         56
        .size:           8
        .value_kind:     global_buffer
      - .actual_access:  read_only
        .address_space:  global
        .offset:         64
        .size:           8
        .value_kind:     global_buffer
      - .actual_access:  read_only
        .address_space:  global
        .offset:         72
        .size:           8
        .value_kind:     global_buffer
      - .actual_access:  read_only
        .address_space:  global
        .offset:         80
        .size:           8
        .value_kind:     global_buffer
      - .offset:         88
        .size:           8
        .value_kind:     by_value
      - .actual_access:  read_only
        .address_space:  global
        .offset:         96
        .size:           8
        .value_kind:     global_buffer
      - .actual_access:  read_only
        .address_space:  global
        .offset:         104
        .size:           8
        .value_kind:     global_buffer
      - .actual_access:  read_only
        .address_space:  global
        .offset:         112
        .size:           8
        .value_kind:     global_buffer
      - .actual_access:  read_only
        .address_space:  global
        .offset:         120
        .size:           8
        .value_kind:     global_buffer
      - .actual_access:  write_only
        .address_space:  global
        .offset:         128
        .size:           8
        .value_kind:     global_buffer
      - .actual_access:  write_only
        .address_space:  global
        .offset:         136
        .size:           8
        .value_kind:     global_buffer
      - .address_space:  global
        .offset:         144
        .size:           8
        .value_kind:     global_buffer
      - .offset:         152
        .size:           4
        .value_kind:     by_value
      - .offset:         156
        .size:           4
        .value_kind:     by_value
      - .offset:         160
        .size:           4
        .value_kind:     by_value
      - .offset:         164
        .size:           4
        .value_kind:     by_value
      - .offset:         168
        .size:           1
        .value_kind:     by_value
      - .offset:         169
        .size:           1
        .value_kind:     by_value
      - .offset:         170
        .size:           1
        .value_kind:     by_value
    .group_segment_fixed_size: 16388
    .kernarg_segment_align: 8
    .kernarg_segment_size: 172
    .language:       OpenCL C
    .language_version:
      - 2
      - 0
    .max_flat_workgroup_size: 256
    .name:           _ZN9rocsparseL31bsrgemm_block_per_row_multipassILj256ELj2ELj32Eii21rocsparse_complex_numIfEEEv20rocsparse_direction_T3_S4_PKS4_S6_NS_24const_host_device_scalarIT4_EEPKT2_S6_PKS8_SC_S6_SE_S9_SC_S6_SE_SC_PS4_PS8_PSA_21rocsparse_index_base_SI_SI_SI_bbb
    .private_segment_fixed_size: 0
    .sgpr_count:     92
    .sgpr_spill_count: 0
    .symbol:         _ZN9rocsparseL31bsrgemm_block_per_row_multipassILj256ELj2ELj32Eii21rocsparse_complex_numIfEEEv20rocsparse_direction_T3_S4_PKS4_S6_NS_24const_host_device_scalarIT4_EEPKT2_S6_PKS8_SC_S6_SE_S9_SC_S6_SE_SC_PS4_PS8_PSA_21rocsparse_index_base_SI_SI_SI_bbb.kd
    .uniform_work_group_size: 1
    .uses_dynamic_stack: false
    .vgpr_count:     44
    .vgpr_spill_count: 0
    .wavefront_size: 64
  - .agpr_count:     0
    .args:
      - .offset:         0
        .size:           4
        .value_kind:     by_value
      - .actual_access:  read_only
        .address_space:  global
        .offset:         8
        .size:           8
        .value_kind:     global_buffer
      - .actual_access:  write_only
        .address_space:  global
        .offset:         16
        .size:           8
        .value_kind:     global_buffer
      - .actual_access:  write_only
        .address_space:  global
        .offset:         24
        .size:           8
        .value_kind:     global_buffer
      - .offset:         32
        .size:           4
        .value_kind:     hidden_block_count_x
      - .offset:         36
        .size:           4
        .value_kind:     hidden_block_count_y
      - .offset:         40
        .size:           4
        .value_kind:     hidden_block_count_z
      - .offset:         44
        .size:           2
        .value_kind:     hidden_group_size_x
      - .offset:         46
        .size:           2
        .value_kind:     hidden_group_size_y
      - .offset:         48
        .size:           2
        .value_kind:     hidden_group_size_z
      - .offset:         50
        .size:           2
        .value_kind:     hidden_remainder_x
      - .offset:         52
        .size:           2
        .value_kind:     hidden_remainder_y
      - .offset:         54
        .size:           2
        .value_kind:     hidden_remainder_z
      - .offset:         72
        .size:           8
        .value_kind:     hidden_global_offset_x
      - .offset:         80
        .size:           8
        .value_kind:     hidden_global_offset_y
      - .offset:         88
        .size:           8
        .value_kind:     hidden_global_offset_z
      - .offset:         96
        .size:           2
        .value_kind:     hidden_grid_dims
    .group_segment_fixed_size: 8192
    .kernarg_segment_align: 8
    .kernarg_segment_size: 288
    .language:       OpenCL C
    .language_version:
      - 2
      - 0
    .max_flat_workgroup_size: 256
    .name:           _ZN9rocsparseL26bsrgemm_group_reduce_part2ILj256ELj8ELj2E21rocsparse_complex_numIdEiiEEvT4_PKT3_PS3_Pi
    .private_segment_fixed_size: 0
    .sgpr_count:     30
    .sgpr_spill_count: 0
    .symbol:         _ZN9rocsparseL26bsrgemm_group_reduce_part2ILj256ELj8ELj2E21rocsparse_complex_numIdEiiEEvT4_PKT3_PS3_Pi.kd
    .uniform_work_group_size: 1
    .uses_dynamic_stack: false
    .vgpr_count:     18
    .vgpr_spill_count: 0
    .wavefront_size: 64
  - .agpr_count:     0
    .args:
      - .offset:         0
        .size:           4
        .value_kind:     by_value
      - .actual_access:  read_only
        .address_space:  global
        .offset:         8
        .size:           8
        .value_kind:     global_buffer
      - .actual_access:  write_only
        .address_space:  global
        .offset:         16
        .size:           8
        .value_kind:     global_buffer
      - .actual_access:  write_only
        .address_space:  global
        .offset:         24
        .size:           8
        .value_kind:     global_buffer
      - .offset:         32
        .size:           4
        .value_kind:     hidden_block_count_x
      - .offset:         36
        .size:           4
        .value_kind:     hidden_block_count_y
      - .offset:         40
        .size:           4
        .value_kind:     hidden_block_count_z
      - .offset:         44
        .size:           2
        .value_kind:     hidden_group_size_x
      - .offset:         46
        .size:           2
        .value_kind:     hidden_group_size_y
      - .offset:         48
        .size:           2
        .value_kind:     hidden_group_size_z
      - .offset:         50
        .size:           2
        .value_kind:     hidden_remainder_x
      - .offset:         52
        .size:           2
        .value_kind:     hidden_remainder_y
      - .offset:         54
        .size:           2
        .value_kind:     hidden_remainder_z
      - .offset:         72
        .size:           8
        .value_kind:     hidden_global_offset_x
      - .offset:         80
        .size:           8
        .value_kind:     hidden_global_offset_y
      - .offset:         88
        .size:           8
        .value_kind:     hidden_global_offset_z
      - .offset:         96
        .size:           2
        .value_kind:     hidden_grid_dims
    .group_segment_fixed_size: 8192
    .kernarg_segment_align: 8
    .kernarg_segment_size: 288
    .language:       OpenCL C
    .language_version:
      - 2
      - 0
    .max_flat_workgroup_size: 256
    .name:           _ZN9rocsparseL26bsrgemm_group_reduce_part2ILj256ELj8ELj8E21rocsparse_complex_numIdEiiEEvT4_PKT3_PS3_Pi
    .private_segment_fixed_size: 0
    .sgpr_count:     33
    .sgpr_spill_count: 0
    .symbol:         _ZN9rocsparseL26bsrgemm_group_reduce_part2ILj256ELj8ELj8E21rocsparse_complex_numIdEiiEEvT4_PKT3_PS3_Pi.kd
    .uniform_work_group_size: 1
    .uses_dynamic_stack: false
    .vgpr_count:     18
    .vgpr_spill_count: 0
    .wavefront_size: 64
  - .agpr_count:     0
    .args:
      - .offset:         0
        .size:           4
        .value_kind:     by_value
      - .offset:         4
        .size:           4
        .value_kind:     by_value
      - .offset:         8
        .size:           4
        .value_kind:     by_value
      - .actual_access:  read_only
        .address_space:  global
        .offset:         16
        .size:           8
        .value_kind:     global_buffer
      - .actual_access:  read_only
        .address_space:  global
        .offset:         24
        .size:           8
        .value_kind:     global_buffer
      - .offset:         32
        .size:           16
        .value_kind:     by_value
      - .actual_access:  read_only
        .address_space:  global
        .offset:         48
        .size:           8
        .value_kind:     global_buffer
      - .actual_access:  read_only
        .address_space:  global
        .offset:         56
        .size:           8
        .value_kind:     global_buffer
      - .actual_access:  read_only
        .address_space:  global
        .offset:         64
        .size:           8
        .value_kind:     global_buffer
      - .actual_access:  read_only
        .address_space:  global
        .offset:         72
        .size:           8
        .value_kind:     global_buffer
      - .actual_access:  read_only
        .address_space:  global
        .offset:         80
        .size:           8
        .value_kind:     global_buffer
      - .actual_access:  read_only
        .address_space:  global
        .offset:         88
        .size:           8
        .value_kind:     global_buffer
      - .offset:         96
        .size:           16
        .value_kind:     by_value
      - .actual_access:  read_only
        .address_space:  global
        .offset:         112
        .size:           8
        .value_kind:     global_buffer
      - .actual_access:  read_only
        .address_space:  global
        .offset:         120
        .size:           8
        .value_kind:     global_buffer
      - .actual_access:  read_only
        .address_space:  global
        .offset:         128
        .size:           8
        .value_kind:     global_buffer
      - .actual_access:  read_only
        .address_space:  global
        .offset:         136
        .size:           8
        .value_kind:     global_buffer
      - .actual_access:  write_only
        .address_space:  global
        .offset:         144
        .size:           8
        .value_kind:     global_buffer
      - .actual_access:  write_only
        .address_space:  global
        .offset:         152
        .size:           8
        .value_kind:     global_buffer
      - .offset:         160
        .size:           4
        .value_kind:     by_value
      - .offset:         164
        .size:           4
        .value_kind:     by_value
      - .offset:         168
        .size:           4
        .value_kind:     by_value
      - .offset:         172
        .size:           4
        .value_kind:     by_value
      - .offset:         176
        .size:           1
        .value_kind:     by_value
      - .offset:         177
        .size:           1
        .value_kind:     by_value
      - .offset:         178
        .size:           1
        .value_kind:     by_value
    .group_segment_fixed_size: 8704
    .kernarg_segment_align: 8
    .kernarg_segment_size: 180
    .language:       OpenCL C
    .language_version:
      - 2
      - 0
    .max_flat_workgroup_size: 256
    .name:           _ZN9rocsparseL27bsrgemm_fill_wf_per_row_2x2ILj256ELj16ELj8ELj137Eii21rocsparse_complex_numIdEEEv20rocsparse_direction_T4_S4_PKS4_S6_NS_24const_host_device_scalarIT5_EEPKT3_S6_PKS8_SC_S6_SE_S9_SC_S6_SE_SC_PS4_PS8_21rocsparse_index_base_SH_SH_SH_bbb
    .private_segment_fixed_size: 24
    .sgpr_count:     66
    .sgpr_spill_count: 0
    .symbol:         _ZN9rocsparseL27bsrgemm_fill_wf_per_row_2x2ILj256ELj16ELj8ELj137Eii21rocsparse_complex_numIdEEEv20rocsparse_direction_T4_S4_PKS4_S6_NS_24const_host_device_scalarIT5_EEPKT3_S6_PKS8_SC_S6_SE_S9_SC_S6_SE_SC_PS4_PS8_21rocsparse_index_base_SH_SH_SH_bbb.kd
    .uniform_work_group_size: 1
    .uses_dynamic_stack: false
    .vgpr_count:     63
    .vgpr_spill_count: 0
    .wavefront_size: 64
  - .agpr_count:     0
    .args:
      - .offset:         0
        .size:           4
        .value_kind:     by_value
      - .offset:         4
        .size:           4
        .value_kind:     by_value
      - .offset:         8
        .size:           4
        .value_kind:     by_value
      - .actual_access:  read_only
        .address_space:  global
        .offset:         16
        .size:           8
        .value_kind:     global_buffer
      - .actual_access:  read_only
        .address_space:  global
        .offset:         24
        .size:           8
        .value_kind:     global_buffer
      - .offset:         32
        .size:           16
        .value_kind:     by_value
      - .actual_access:  read_only
        .address_space:  global
        .offset:         48
        .size:           8
        .value_kind:     global_buffer
      - .actual_access:  read_only
        .address_space:  global
        .offset:         56
        .size:           8
        .value_kind:     global_buffer
      - .actual_access:  read_only
        .address_space:  global
        .offset:         64
        .size:           8
        .value_kind:     global_buffer
      - .actual_access:  read_only
        .address_space:  global
        .offset:         72
        .size:           8
        .value_kind:     global_buffer
      - .actual_access:  read_only
        .address_space:  global
        .offset:         80
        .size:           8
        .value_kind:     global_buffer
      - .actual_access:  read_only
        .address_space:  global
        .offset:         88
        .size:           8
        .value_kind:     global_buffer
      - .offset:         96
        .size:           16
        .value_kind:     by_value
      - .actual_access:  read_only
        .address_space:  global
        .offset:         112
        .size:           8
        .value_kind:     global_buffer
      - .actual_access:  read_only
        .address_space:  global
        .offset:         120
        .size:           8
        .value_kind:     global_buffer
      - .actual_access:  read_only
        .address_space:  global
        .offset:         128
        .size:           8
        .value_kind:     global_buffer
      - .actual_access:  read_only
        .address_space:  global
        .offset:         136
        .size:           8
        .value_kind:     global_buffer
      - .actual_access:  write_only
        .address_space:  global
        .offset:         144
        .size:           8
        .value_kind:     global_buffer
      - .actual_access:  write_only
        .address_space:  global
        .offset:         152
        .size:           8
        .value_kind:     global_buffer
      - .offset:         160
        .size:           4
        .value_kind:     by_value
      - .offset:         164
        .size:           4
        .value_kind:     by_value
      - .offset:         168
        .size:           4
        .value_kind:     by_value
      - .offset:         172
        .size:           4
        .value_kind:     by_value
      - .offset:         176
        .size:           1
        .value_kind:     by_value
      - .offset:         177
        .size:           1
        .value_kind:     by_value
      - .offset:         178
        .size:           1
        .value_kind:     by_value
    .group_segment_fixed_size: 21504
    .kernarg_segment_align: 8
    .kernarg_segment_size: 180
    .language:       OpenCL C
    .language_version:
      - 2
      - 0
    .max_flat_workgroup_size: 256
    .name:           _ZN9rocsparseL27bsrgemm_fill_wf_per_row_2x2ILj256ELj16ELj16ELj137Eii21rocsparse_complex_numIdEEEv20rocsparse_direction_T4_S4_PKS4_S6_NS_24const_host_device_scalarIT5_EEPKT3_S6_PKS8_SC_S6_SE_S9_SC_S6_SE_SC_PS4_PS8_21rocsparse_index_base_SH_SH_SH_bbb
    .private_segment_fixed_size: 0
    .sgpr_count:     60
    .sgpr_spill_count: 0
    .symbol:         _ZN9rocsparseL27bsrgemm_fill_wf_per_row_2x2ILj256ELj16ELj16ELj137Eii21rocsparse_complex_numIdEEEv20rocsparse_direction_T4_S4_PKS4_S6_NS_24const_host_device_scalarIT5_EEPKT3_S6_PKS8_SC_S6_SE_S9_SC_S6_SE_SC_PS4_PS8_21rocsparse_index_base_SH_SH_SH_bbb.kd
    .uniform_work_group_size: 1
    .uses_dynamic_stack: false
    .vgpr_count:     64
    .vgpr_spill_count: 0
    .wavefront_size: 64
  - .agpr_count:     0
    .args:
      - .offset:         0
        .size:           4
        .value_kind:     by_value
      - .offset:         4
        .size:           4
        .value_kind:     by_value
      - .offset:         8
        .size:           4
        .value_kind:     by_value
      - .actual_access:  read_only
        .address_space:  global
        .offset:         16
        .size:           8
        .value_kind:     global_buffer
      - .actual_access:  read_only
        .address_space:  global
        .offset:         24
        .size:           8
        .value_kind:     global_buffer
      - .offset:         32
        .size:           16
        .value_kind:     by_value
      - .actual_access:  read_only
        .address_space:  global
        .offset:         48
        .size:           8
        .value_kind:     global_buffer
      - .actual_access:  read_only
        .address_space:  global
        .offset:         56
        .size:           8
        .value_kind:     global_buffer
      - .actual_access:  read_only
        .address_space:  global
        .offset:         64
        .size:           8
        .value_kind:     global_buffer
      - .actual_access:  read_only
        .address_space:  global
        .offset:         72
        .size:           8
        .value_kind:     global_buffer
      - .actual_access:  read_only
        .address_space:  global
        .offset:         80
        .size:           8
        .value_kind:     global_buffer
      - .actual_access:  read_only
        .address_space:  global
        .offset:         88
        .size:           8
        .value_kind:     global_buffer
      - .offset:         96
        .size:           16
        .value_kind:     by_value
      - .actual_access:  read_only
        .address_space:  global
        .offset:         112
        .size:           8
        .value_kind:     global_buffer
      - .actual_access:  read_only
        .address_space:  global
        .offset:         120
        .size:           8
        .value_kind:     global_buffer
      - .actual_access:  read_only
        .address_space:  global
        .offset:         128
        .size:           8
        .value_kind:     global_buffer
      - .actual_access:  read_only
        .address_space:  global
        .offset:         136
        .size:           8
        .value_kind:     global_buffer
      - .actual_access:  write_only
        .address_space:  global
        .offset:         144
        .size:           8
        .value_kind:     global_buffer
      - .actual_access:  write_only
        .address_space:  global
        .offset:         152
        .size:           8
        .value_kind:     global_buffer
      - .offset:         160
        .size:           4
        .value_kind:     by_value
      - .offset:         164
        .size:           4
        .value_kind:     by_value
      - .offset:         168
        .size:           4
        .value_kind:     by_value
      - .offset:         172
        .size:           4
        .value_kind:     by_value
      - .offset:         176
        .size:           1
        .value_kind:     by_value
      - .offset:         177
        .size:           1
        .value_kind:     by_value
      - .offset:         178
        .size:           1
        .value_kind:     by_value
    .group_segment_fixed_size: 38912
    .kernarg_segment_align: 8
    .kernarg_segment_size: 180
    .language:       OpenCL C
    .language_version:
      - 2
      - 0
    .max_flat_workgroup_size: 256
    .name:           _ZN9rocsparseL27bsrgemm_fill_wf_per_row_2x2ILj256ELj16ELj32ELj137Eii21rocsparse_complex_numIdEEEv20rocsparse_direction_T4_S4_PKS4_S6_NS_24const_host_device_scalarIT5_EEPKT3_S6_PKS8_SC_S6_SE_S9_SC_S6_SE_SC_PS4_PS8_21rocsparse_index_base_SH_SH_SH_bbb
    .private_segment_fixed_size: 0
    .sgpr_count:     60
    .sgpr_spill_count: 0
    .symbol:         _ZN9rocsparseL27bsrgemm_fill_wf_per_row_2x2ILj256ELj16ELj32ELj137Eii21rocsparse_complex_numIdEEEv20rocsparse_direction_T4_S4_PKS4_S6_NS_24const_host_device_scalarIT5_EEPKT3_S6_PKS8_SC_S6_SE_S9_SC_S6_SE_SC_PS4_PS8_21rocsparse_index_base_SH_SH_SH_bbb.kd
    .uniform_work_group_size: 1
    .uses_dynamic_stack: false
    .vgpr_count:     65
    .vgpr_spill_count: 0
    .wavefront_size: 64
  - .agpr_count:     0
    .args:
      - .offset:         0
        .size:           4
        .value_kind:     by_value
      - .offset:         4
        .size:           4
        .value_kind:     by_value
      - .offset:         8
        .size:           4
        .value_kind:     by_value
      - .actual_access:  read_only
        .address_space:  global
        .offset:         16
        .size:           8
        .value_kind:     global_buffer
      - .actual_access:  read_only
        .address_space:  global
        .offset:         24
        .size:           8
        .value_kind:     global_buffer
      - .offset:         32
        .size:           16
        .value_kind:     by_value
      - .actual_access:  read_only
        .address_space:  global
        .offset:         48
        .size:           8
        .value_kind:     global_buffer
      - .actual_access:  read_only
        .address_space:  global
        .offset:         56
        .size:           8
        .value_kind:     global_buffer
      - .actual_access:  read_only
        .address_space:  global
        .offset:         64
        .size:           8
        .value_kind:     global_buffer
      - .actual_access:  read_only
        .address_space:  global
        .offset:         72
        .size:           8
        .value_kind:     global_buffer
      - .actual_access:  read_only
        .address_space:  global
        .offset:         80
        .size:           8
        .value_kind:     global_buffer
      - .actual_access:  read_only
        .address_space:  global
        .offset:         88
        .size:           8
        .value_kind:     global_buffer
      - .offset:         96
        .size:           16
        .value_kind:     by_value
      - .actual_access:  read_only
        .address_space:  global
        .offset:         112
        .size:           8
        .value_kind:     global_buffer
      - .actual_access:  read_only
        .address_space:  global
        .offset:         120
        .size:           8
        .value_kind:     global_buffer
      - .actual_access:  read_only
        .address_space:  global
        .offset:         128
        .size:           8
        .value_kind:     global_buffer
      - .actual_access:  read_only
        .address_space:  global
        .offset:         136
        .size:           8
        .value_kind:     global_buffer
      - .actual_access:  write_only
        .address_space:  global
        .offset:         144
        .size:           8
        .value_kind:     global_buffer
      - .actual_access:  write_only
        .address_space:  global
        .offset:         152
        .size:           8
        .value_kind:     global_buffer
      - .offset:         160
        .size:           4
        .value_kind:     by_value
      - .offset:         164
        .size:           4
        .value_kind:     by_value
      - .offset:         168
        .size:           4
        .value_kind:     by_value
      - .offset:         172
        .size:           4
        .value_kind:     by_value
      - .offset:         176
        .size:           1
        .value_kind:     by_value
      - .offset:         177
        .size:           1
        .value_kind:     by_value
      - .offset:         178
        .size:           1
        .value_kind:     by_value
    .group_segment_fixed_size: 0
    .kernarg_segment_align: 8
    .kernarg_segment_size: 180
    .language:       OpenCL C
    .language_version:
      - 2
      - 0
    .max_flat_workgroup_size: 256
    .name:           _ZN9rocsparseL30bsrgemm_fill_block_per_row_2x2ILj256ELj16ELj64ELj137Eii21rocsparse_complex_numIdEEEv20rocsparse_direction_T4_S4_PKS4_S6_NS_24const_host_device_scalarIT5_EEPKT3_S6_PKS8_SC_S6_SE_S9_SC_S6_SE_SC_PS4_PS8_21rocsparse_index_base_SH_SH_SH_bbb
    .private_segment_fixed_size: 24
    .sgpr_count:     58
    .sgpr_spill_count: 0
    .symbol:         _ZN9rocsparseL30bsrgemm_fill_block_per_row_2x2ILj256ELj16ELj64ELj137Eii21rocsparse_complex_numIdEEEv20rocsparse_direction_T4_S4_PKS4_S6_NS_24const_host_device_scalarIT5_EEPKT3_S6_PKS8_SC_S6_SE_S9_SC_S6_SE_SC_PS4_PS8_21rocsparse_index_base_SH_SH_SH_bbb.kd
    .uniform_work_group_size: 1
    .uses_dynamic_stack: false
    .vgpr_count:     58
    .vgpr_spill_count: 0
    .wavefront_size: 64
  - .agpr_count:     0
    .args:
      - .offset:         0
        .size:           4
        .value_kind:     by_value
      - .offset:         4
        .size:           4
        .value_kind:     by_value
      - .offset:         8
        .size:           4
        .value_kind:     by_value
      - .actual_access:  read_only
        .address_space:  global
        .offset:         16
        .size:           8
        .value_kind:     global_buffer
      - .actual_access:  read_only
        .address_space:  global
        .offset:         24
        .size:           8
        .value_kind:     global_buffer
      - .offset:         32
        .size:           16
        .value_kind:     by_value
      - .actual_access:  read_only
        .address_space:  global
        .offset:         48
        .size:           8
        .value_kind:     global_buffer
      - .actual_access:  read_only
        .address_space:  global
        .offset:         56
        .size:           8
        .value_kind:     global_buffer
      - .actual_access:  read_only
        .address_space:  global
        .offset:         64
        .size:           8
        .value_kind:     global_buffer
      - .actual_access:  read_only
        .address_space:  global
        .offset:         72
        .size:           8
        .value_kind:     global_buffer
      - .actual_access:  read_only
        .address_space:  global
        .offset:         80
        .size:           8
        .value_kind:     global_buffer
      - .actual_access:  read_only
        .address_space:  global
        .offset:         88
        .size:           8
        .value_kind:     global_buffer
      - .offset:         96
        .size:           16
        .value_kind:     by_value
      - .actual_access:  read_only
        .address_space:  global
        .offset:         112
        .size:           8
        .value_kind:     global_buffer
      - .actual_access:  read_only
        .address_space:  global
        .offset:         120
        .size:           8
        .value_kind:     global_buffer
      - .actual_access:  read_only
        .address_space:  global
        .offset:         128
        .size:           8
        .value_kind:     global_buffer
      - .actual_access:  read_only
        .address_space:  global
        .offset:         136
        .size:           8
        .value_kind:     global_buffer
      - .actual_access:  write_only
        .address_space:  global
        .offset:         144
        .size:           8
        .value_kind:     global_buffer
      - .actual_access:  write_only
        .address_space:  global
        .offset:         152
        .size:           8
        .value_kind:     global_buffer
      - .offset:         160
        .size:           4
        .value_kind:     by_value
      - .offset:         164
        .size:           4
        .value_kind:     by_value
      - .offset:         168
        .size:           4
        .value_kind:     by_value
      - .offset:         172
        .size:           4
        .value_kind:     by_value
      - .offset:         176
        .size:           1
        .value_kind:     by_value
      - .offset:         177
        .size:           1
        .value_kind:     by_value
      - .offset:         178
        .size:           1
        .value_kind:     by_value
    .group_segment_fixed_size: 0
    .kernarg_segment_align: 8
    .kernarg_segment_size: 180
    .language:       OpenCL C
    .language_version:
      - 2
      - 0
    .max_flat_workgroup_size: 256
    .name:           _ZN9rocsparseL30bsrgemm_fill_block_per_row_2x2ILj256ELj16ELj128ELj137Eii21rocsparse_complex_numIdEEEv20rocsparse_direction_T4_S4_PKS4_S6_NS_24const_host_device_scalarIT5_EEPKT3_S6_PKS8_SC_S6_SE_S9_SC_S6_SE_SC_PS4_PS8_21rocsparse_index_base_SH_SH_SH_bbb
    .private_segment_fixed_size: 24
    .sgpr_count:     68
    .sgpr_spill_count: 0
    .symbol:         _ZN9rocsparseL30bsrgemm_fill_block_per_row_2x2ILj256ELj16ELj128ELj137Eii21rocsparse_complex_numIdEEEv20rocsparse_direction_T4_S4_PKS4_S6_NS_24const_host_device_scalarIT5_EEPKT3_S6_PKS8_SC_S6_SE_S9_SC_S6_SE_SC_PS4_PS8_21rocsparse_index_base_SH_SH_SH_bbb.kd
    .uniform_work_group_size: 1
    .uses_dynamic_stack: false
    .vgpr_count:     58
    .vgpr_spill_count: 0
    .wavefront_size: 64
  - .agpr_count:     0
    .args:
      - .offset:         0
        .size:           4
        .value_kind:     by_value
      - .offset:         4
        .size:           4
        .value_kind:     by_value
      - .offset:         8
        .size:           4
        .value_kind:     by_value
      - .actual_access:  read_only
        .address_space:  global
        .offset:         16
        .size:           8
        .value_kind:     global_buffer
      - .actual_access:  read_only
        .address_space:  global
        .offset:         24
        .size:           8
        .value_kind:     global_buffer
      - .offset:         32
        .size:           16
        .value_kind:     by_value
      - .actual_access:  read_only
        .address_space:  global
        .offset:         48
        .size:           8
        .value_kind:     global_buffer
      - .actual_access:  read_only
        .address_space:  global
        .offset:         56
        .size:           8
        .value_kind:     global_buffer
      - .actual_access:  read_only
        .address_space:  global
        .offset:         64
        .size:           8
        .value_kind:     global_buffer
      - .actual_access:  read_only
        .address_space:  global
        .offset:         72
        .size:           8
        .value_kind:     global_buffer
      - .actual_access:  read_only
        .address_space:  global
        .offset:         80
        .size:           8
        .value_kind:     global_buffer
      - .actual_access:  read_only
        .address_space:  global
        .offset:         88
        .size:           8
        .value_kind:     global_buffer
      - .offset:         96
        .size:           16
        .value_kind:     by_value
      - .actual_access:  read_only
        .address_space:  global
        .offset:         112
        .size:           8
        .value_kind:     global_buffer
      - .actual_access:  read_only
        .address_space:  global
        .offset:         120
        .size:           8
        .value_kind:     global_buffer
      - .actual_access:  read_only
        .address_space:  global
        .offset:         128
        .size:           8
        .value_kind:     global_buffer
      - .actual_access:  read_only
        .address_space:  global
        .offset:         136
        .size:           8
        .value_kind:     global_buffer
      - .actual_access:  write_only
        .address_space:  global
        .offset:         144
        .size:           8
        .value_kind:     global_buffer
      - .actual_access:  write_only
        .address_space:  global
        .offset:         152
        .size:           8
        .value_kind:     global_buffer
      - .offset:         160
        .size:           4
        .value_kind:     by_value
      - .offset:         164
        .size:           4
        .value_kind:     by_value
      - .offset:         168
        .size:           4
        .value_kind:     by_value
      - .offset:         172
        .size:           4
        .value_kind:     by_value
      - .offset:         176
        .size:           1
        .value_kind:     by_value
      - .offset:         177
        .size:           1
        .value_kind:     by_value
      - .offset:         178
        .size:           1
        .value_kind:     by_value
    .group_segment_fixed_size: 0
    .kernarg_segment_align: 8
    .kernarg_segment_size: 180
    .language:       OpenCL C
    .language_version:
      - 2
      - 0
    .max_flat_workgroup_size: 256
    .name:           _ZN9rocsparseL30bsrgemm_fill_block_per_row_2x2ILj256ELj16ELj256ELj137Eii21rocsparse_complex_numIdEEEv20rocsparse_direction_T4_S4_PKS4_S6_NS_24const_host_device_scalarIT5_EEPKT3_S6_PKS8_SC_S6_SE_S9_SC_S6_SE_SC_PS4_PS8_21rocsparse_index_base_SH_SH_SH_bbb
    .private_segment_fixed_size: 24
    .sgpr_count:     68
    .sgpr_spill_count: 0
    .symbol:         _ZN9rocsparseL30bsrgemm_fill_block_per_row_2x2ILj256ELj16ELj256ELj137Eii21rocsparse_complex_numIdEEEv20rocsparse_direction_T4_S4_PKS4_S6_NS_24const_host_device_scalarIT5_EEPKT3_S6_PKS8_SC_S6_SE_S9_SC_S6_SE_SC_PS4_PS8_21rocsparse_index_base_SH_SH_SH_bbb.kd
    .uniform_work_group_size: 1
    .uses_dynamic_stack: false
    .vgpr_count:     58
    .vgpr_spill_count: 0
    .wavefront_size: 64
  - .agpr_count:     0
    .args:
      - .offset:         0
        .size:           4
        .value_kind:     by_value
      - .offset:         4
        .size:           4
        .value_kind:     by_value
      - .offset:         8
        .size:           4
        .value_kind:     by_value
      - .actual_access:  read_only
        .address_space:  global
        .offset:         16
        .size:           8
        .value_kind:     global_buffer
      - .actual_access:  read_only
        .address_space:  global
        .offset:         24
        .size:           8
        .value_kind:     global_buffer
      - .offset:         32
        .size:           16
        .value_kind:     by_value
      - .actual_access:  read_only
        .address_space:  global
        .offset:         48
        .size:           8
        .value_kind:     global_buffer
      - .actual_access:  read_only
        .address_space:  global
        .offset:         56
        .size:           8
        .value_kind:     global_buffer
      - .actual_access:  read_only
        .address_space:  global
        .offset:         64
        .size:           8
        .value_kind:     global_buffer
      - .actual_access:  read_only
        .address_space:  global
        .offset:         72
        .size:           8
        .value_kind:     global_buffer
      - .actual_access:  read_only
        .address_space:  global
        .offset:         80
        .size:           8
        .value_kind:     global_buffer
      - .actual_access:  read_only
        .address_space:  global
        .offset:         88
        .size:           8
        .value_kind:     global_buffer
      - .offset:         96
        .size:           16
        .value_kind:     by_value
      - .actual_access:  read_only
        .address_space:  global
        .offset:         112
        .size:           8
        .value_kind:     global_buffer
      - .actual_access:  read_only
        .address_space:  global
        .offset:         120
        .size:           8
        .value_kind:     global_buffer
      - .actual_access:  read_only
        .address_space:  global
        .offset:         128
        .size:           8
        .value_kind:     global_buffer
      - .actual_access:  read_only
        .address_space:  global
        .offset:         136
        .size:           8
        .value_kind:     global_buffer
      - .actual_access:  write_only
        .address_space:  global
        .offset:         144
        .size:           8
        .value_kind:     global_buffer
      - .actual_access:  write_only
        .address_space:  global
        .offset:         152
        .size:           8
        .value_kind:     global_buffer
      - .address_space:  global
        .offset:         160
        .size:           8
        .value_kind:     global_buffer
      - .offset:         168
        .size:           4
        .value_kind:     by_value
      - .offset:         172
        .size:           4
        .value_kind:     by_value
      - .offset:         176
        .size:           4
        .value_kind:     by_value
      - .offset:         180
        .size:           4
        .value_kind:     by_value
      - .offset:         184
        .size:           1
        .value_kind:     by_value
      - .offset:         185
        .size:           1
        .value_kind:     by_value
      - .offset:         186
        .size:           1
        .value_kind:     by_value
    .group_segment_fixed_size: 21512
    .kernarg_segment_align: 8
    .kernarg_segment_size: 188
    .language:       OpenCL C
    .language_version:
      - 2
      - 0
    .max_flat_workgroup_size: 256
    .name:           _ZN9rocsparseL38bsrgemm_block_per_row_atomic_multipassILj256ELj256ELj2Eii21rocsparse_complex_numIdEEEv20rocsparse_direction_T3_S4_PKS4_S6_NS_24const_host_device_scalarIT4_EEPKT2_S6_PKS8_SC_S6_SE_S9_SC_S6_SE_SC_PS4_PS8_PSA_21rocsparse_index_base_SI_SI_SI_bbb
    .private_segment_fixed_size: 24
    .sgpr_count:     103
    .sgpr_spill_count: 0
    .symbol:         _ZN9rocsparseL38bsrgemm_block_per_row_atomic_multipassILj256ELj256ELj2Eii21rocsparse_complex_numIdEEEv20rocsparse_direction_T3_S4_PKS4_S6_NS_24const_host_device_scalarIT4_EEPKT2_S6_PKS8_SC_S6_SE_S9_SC_S6_SE_SC_PS4_PS8_PSA_21rocsparse_index_base_SI_SI_SI_bbb.kd
    .uniform_work_group_size: 1
    .uses_dynamic_stack: false
    .vgpr_count:     64
    .vgpr_spill_count: 0
    .wavefront_size: 64
  - .agpr_count:     0
    .args:
      - .offset:         0
        .size:           4
        .value_kind:     by_value
      - .offset:         4
        .size:           4
        .value_kind:     by_value
      - .offset:         8
        .size:           4
        .value_kind:     by_value
      - .offset:         12
        .size:           4
        .value_kind:     by_value
      - .actual_access:  read_only
        .address_space:  global
        .offset:         16
        .size:           8
        .value_kind:     global_buffer
      - .actual_access:  read_only
        .address_space:  global
        .offset:         24
        .size:           8
        .value_kind:     global_buffer
      - .offset:         32
        .size:           16
        .value_kind:     by_value
      - .actual_access:  read_only
        .address_space:  global
        .offset:         48
        .size:           8
        .value_kind:     global_buffer
      - .actual_access:  read_only
        .address_space:  global
        .offset:         56
        .size:           8
        .value_kind:     global_buffer
      - .actual_access:  read_only
        .address_space:  global
        .offset:         64
        .size:           8
        .value_kind:     global_buffer
      - .actual_access:  read_only
        .address_space:  global
        .offset:         72
        .size:           8
        .value_kind:     global_buffer
      - .actual_access:  read_only
        .address_space:  global
        .offset:         80
        .size:           8
        .value_kind:     global_buffer
      - .actual_access:  read_only
        .address_space:  global
        .offset:         88
        .size:           8
        .value_kind:     global_buffer
      - .offset:         96
        .size:           16
        .value_kind:     by_value
      - .actual_access:  read_only
        .address_space:  global
        .offset:         112
        .size:           8
        .value_kind:     global_buffer
      - .actual_access:  read_only
        .address_space:  global
        .offset:         120
        .size:           8
        .value_kind:     global_buffer
      - .actual_access:  read_only
        .address_space:  global
        .offset:         128
        .size:           8
        .value_kind:     global_buffer
      - .actual_access:  read_only
        .address_space:  global
        .offset:         136
        .size:           8
        .value_kind:     global_buffer
      - .actual_access:  write_only
        .address_space:  global
        .offset:         144
        .size:           8
        .value_kind:     global_buffer
      - .actual_access:  write_only
        .address_space:  global
        .offset:         152
        .size:           8
        .value_kind:     global_buffer
      - .offset:         160
        .size:           4
        .value_kind:     by_value
      - .offset:         164
        .size:           4
        .value_kind:     by_value
      - .offset:         168
        .size:           4
        .value_kind:     by_value
      - .offset:         172
        .size:           4
        .value_kind:     by_value
      - .offset:         176
        .size:           1
        .value_kind:     by_value
      - .offset:         177
        .size:           1
        .value_kind:     by_value
      - .offset:         178
        .size:           1
        .value_kind:     by_value
    .group_segment_fixed_size: 8320
    .kernarg_segment_align: 8
    .kernarg_segment_size: 180
    .language:       OpenCL C
    .language_version:
      - 2
      - 0
    .max_flat_workgroup_size: 256
    .name:           _ZN9rocsparseL23bsrgemm_fill_wf_per_rowILj256ELj64ELj8ELj137ELj4Eii21rocsparse_complex_numIdEEEv20rocsparse_direction_T5_S4_S4_PKS4_S6_NS_24const_host_device_scalarIT6_EEPKT4_S6_PKS8_SC_S6_SE_S9_SC_S6_SE_SC_PS4_PS8_21rocsparse_index_base_SH_SH_SH_bbb
    .private_segment_fixed_size: 24
    .sgpr_count:     76
    .sgpr_spill_count: 0
    .symbol:         _ZN9rocsparseL23bsrgemm_fill_wf_per_rowILj256ELj64ELj8ELj137ELj4Eii21rocsparse_complex_numIdEEEv20rocsparse_direction_T5_S4_S4_PKS4_S6_NS_24const_host_device_scalarIT6_EEPKT4_S6_PKS8_SC_S6_SE_S9_SC_S6_SE_SC_PS4_PS8_21rocsparse_index_base_SH_SH_SH_bbb.kd
    .uniform_work_group_size: 1
    .uses_dynamic_stack: false
    .vgpr_count:     50
    .vgpr_spill_count: 0
    .wavefront_size: 64
  - .agpr_count:     0
    .args:
      - .offset:         0
        .size:           4
        .value_kind:     by_value
      - .offset:         4
        .size:           4
        .value_kind:     by_value
      - .offset:         8
        .size:           4
        .value_kind:     by_value
      - .offset:         12
        .size:           4
        .value_kind:     by_value
      - .actual_access:  read_only
        .address_space:  global
        .offset:         16
        .size:           8
        .value_kind:     global_buffer
      - .actual_access:  read_only
        .address_space:  global
        .offset:         24
        .size:           8
        .value_kind:     global_buffer
      - .offset:         32
        .size:           16
        .value_kind:     by_value
      - .actual_access:  read_only
        .address_space:  global
        .offset:         48
        .size:           8
        .value_kind:     global_buffer
      - .actual_access:  read_only
        .address_space:  global
        .offset:         56
        .size:           8
        .value_kind:     global_buffer
      - .actual_access:  read_only
        .address_space:  global
        .offset:         64
        .size:           8
        .value_kind:     global_buffer
      - .actual_access:  read_only
        .address_space:  global
        .offset:         72
        .size:           8
        .value_kind:     global_buffer
      - .actual_access:  read_only
        .address_space:  global
        .offset:         80
        .size:           8
        .value_kind:     global_buffer
      - .actual_access:  read_only
        .address_space:  global
        .offset:         88
        .size:           8
        .value_kind:     global_buffer
      - .offset:         96
        .size:           16
        .value_kind:     by_value
      - .actual_access:  read_only
        .address_space:  global
        .offset:         112
        .size:           8
        .value_kind:     global_buffer
      - .actual_access:  read_only
        .address_space:  global
        .offset:         120
        .size:           8
        .value_kind:     global_buffer
      - .actual_access:  read_only
        .address_space:  global
        .offset:         128
        .size:           8
        .value_kind:     global_buffer
      - .actual_access:  read_only
        .address_space:  global
        .offset:         136
        .size:           8
        .value_kind:     global_buffer
      - .actual_access:  write_only
        .address_space:  global
        .offset:         144
        .size:           8
        .value_kind:     global_buffer
      - .actual_access:  write_only
        .address_space:  global
        .offset:         152
        .size:           8
        .value_kind:     global_buffer
      - .offset:         160
        .size:           4
        .value_kind:     by_value
      - .offset:         164
        .size:           4
        .value_kind:     by_value
      - .offset:         168
        .size:           4
        .value_kind:     by_value
      - .offset:         172
        .size:           4
        .value_kind:     by_value
      - .offset:         176
        .size:           1
        .value_kind:     by_value
      - .offset:         177
        .size:           1
        .value_kind:     by_value
      - .offset:         178
        .size:           1
        .value_kind:     by_value
    .group_segment_fixed_size: 20736
    .kernarg_segment_align: 8
    .kernarg_segment_size: 180
    .language:       OpenCL C
    .language_version:
      - 2
      - 0
    .max_flat_workgroup_size: 256
    .name:           _ZN9rocsparseL23bsrgemm_fill_wf_per_rowILj256ELj64ELj16ELj137ELj4Eii21rocsparse_complex_numIdEEEv20rocsparse_direction_T5_S4_S4_PKS4_S6_NS_24const_host_device_scalarIT6_EEPKT4_S6_PKS8_SC_S6_SE_S9_SC_S6_SE_SC_PS4_PS8_21rocsparse_index_base_SH_SH_SH_bbb
    .private_segment_fixed_size: 0
    .sgpr_count:     70
    .sgpr_spill_count: 0
    .symbol:         _ZN9rocsparseL23bsrgemm_fill_wf_per_rowILj256ELj64ELj16ELj137ELj4Eii21rocsparse_complex_numIdEEEv20rocsparse_direction_T5_S4_S4_PKS4_S6_NS_24const_host_device_scalarIT6_EEPKT4_S6_PKS8_SC_S6_SE_S9_SC_S6_SE_SC_PS4_PS8_21rocsparse_index_base_SH_SH_SH_bbb.kd
    .uniform_work_group_size: 1
    .uses_dynamic_stack: false
    .vgpr_count:     52
    .vgpr_spill_count: 0
    .wavefront_size: 64
  - .agpr_count:     0
    .args:
      - .offset:         0
        .size:           4
        .value_kind:     by_value
      - .offset:         4
        .size:           4
        .value_kind:     by_value
      - .offset:         8
        .size:           4
        .value_kind:     by_value
      - .actual_access:  read_only
        .address_space:  global
        .offset:         16
        .size:           8
        .value_kind:     global_buffer
      - .actual_access:  read_only
        .address_space:  global
        .offset:         24
        .size:           8
        .value_kind:     global_buffer
      - .offset:         32
        .size:           16
        .value_kind:     by_value
      - .actual_access:  read_only
        .address_space:  global
        .offset:         48
        .size:           8
        .value_kind:     global_buffer
      - .actual_access:  read_only
        .address_space:  global
        .offset:         56
        .size:           8
        .value_kind:     global_buffer
      - .actual_access:  read_only
        .address_space:  global
        .offset:         64
        .size:           8
        .value_kind:     global_buffer
      - .actual_access:  read_only
        .address_space:  global
        .offset:         72
        .size:           8
        .value_kind:     global_buffer
      - .actual_access:  read_only
        .address_space:  global
        .offset:         80
        .size:           8
        .value_kind:     global_buffer
      - .actual_access:  read_only
        .address_space:  global
        .offset:         88
        .size:           8
        .value_kind:     global_buffer
      - .offset:         96
        .size:           16
        .value_kind:     by_value
      - .actual_access:  read_only
        .address_space:  global
        .offset:         112
        .size:           8
        .value_kind:     global_buffer
      - .actual_access:  read_only
        .address_space:  global
        .offset:         120
        .size:           8
        .value_kind:     global_buffer
      - .actual_access:  read_only
        .address_space:  global
        .offset:         128
        .size:           8
        .value_kind:     global_buffer
      - .actual_access:  read_only
        .address_space:  global
        .offset:         136
        .size:           8
        .value_kind:     global_buffer
      - .actual_access:  write_only
        .address_space:  global
        .offset:         144
        .size:           8
        .value_kind:     global_buffer
      - .actual_access:  write_only
        .address_space:  global
        .offset:         152
        .size:           8
        .value_kind:     global_buffer
      - .address_space:  global
        .offset:         160
        .size:           8
        .value_kind:     global_buffer
      - .offset:         168
        .size:           4
        .value_kind:     by_value
      - .offset:         172
        .size:           4
        .value_kind:     by_value
      - .offset:         176
        .size:           4
        .value_kind:     by_value
      - .offset:         180
        .size:           4
        .value_kind:     by_value
      - .offset:         184
        .size:           1
        .value_kind:     by_value
      - .offset:         185
        .size:           1
        .value_kind:     by_value
      - .offset:         186
        .size:           1
        .value_kind:     by_value
    .group_segment_fixed_size: 12424
    .kernarg_segment_align: 8
    .kernarg_segment_size: 188
    .language:       OpenCL C
    .language_version:
      - 2
      - 0
    .max_flat_workgroup_size: 256
    .name:           _ZN9rocsparseL38bsrgemm_block_per_row_atomic_multipassILj256ELj32ELj4Eii21rocsparse_complex_numIdEEEv20rocsparse_direction_T3_S4_PKS4_S6_NS_24const_host_device_scalarIT4_EEPKT2_S6_PKS8_SC_S6_SE_S9_SC_S6_SE_SC_PS4_PS8_PSA_21rocsparse_index_base_SI_SI_SI_bbb
    .private_segment_fixed_size: 24
    .sgpr_count:     100
    .sgpr_spill_count: 0
    .symbol:         _ZN9rocsparseL38bsrgemm_block_per_row_atomic_multipassILj256ELj32ELj4Eii21rocsparse_complex_numIdEEEv20rocsparse_direction_T3_S4_PKS4_S6_NS_24const_host_device_scalarIT4_EEPKT2_S6_PKS8_SC_S6_SE_S9_SC_S6_SE_SC_PS4_PS8_PSA_21rocsparse_index_base_SI_SI_SI_bbb.kd
    .uniform_work_group_size: 1
    .uses_dynamic_stack: false
    .vgpr_count:     56
    .vgpr_spill_count: 0
    .wavefront_size: 64
  - .agpr_count:     0
    .args:
      - .offset:         0
        .size:           4
        .value_kind:     by_value
      - .offset:         4
        .size:           4
        .value_kind:     by_value
      - .offset:         8
        .size:           4
        .value_kind:     by_value
      - .actual_access:  read_only
        .address_space:  global
        .offset:         16
        .size:           8
        .value_kind:     global_buffer
      - .actual_access:  read_only
        .address_space:  global
        .offset:         24
        .size:           8
        .value_kind:     global_buffer
      - .offset:         32
        .size:           16
        .value_kind:     by_value
      - .actual_access:  read_only
        .address_space:  global
        .offset:         48
        .size:           8
        .value_kind:     global_buffer
      - .actual_access:  read_only
        .address_space:  global
        .offset:         56
        .size:           8
        .value_kind:     global_buffer
      - .actual_access:  read_only
        .address_space:  global
        .offset:         64
        .size:           8
        .value_kind:     global_buffer
      - .actual_access:  read_only
        .address_space:  global
        .offset:         72
        .size:           8
        .value_kind:     global_buffer
      - .actual_access:  read_only
        .address_space:  global
        .offset:         80
        .size:           8
        .value_kind:     global_buffer
      - .actual_access:  read_only
        .address_space:  global
        .offset:         88
        .size:           8
        .value_kind:     global_buffer
      - .offset:         96
        .size:           16
        .value_kind:     by_value
      - .actual_access:  read_only
        .address_space:  global
        .offset:         112
        .size:           8
        .value_kind:     global_buffer
      - .actual_access:  read_only
        .address_space:  global
        .offset:         120
        .size:           8
        .value_kind:     global_buffer
      - .actual_access:  read_only
        .address_space:  global
        .offset:         128
        .size:           8
        .value_kind:     global_buffer
      - .actual_access:  read_only
        .address_space:  global
        .offset:         136
        .size:           8
        .value_kind:     global_buffer
      - .actual_access:  write_only
        .address_space:  global
        .offset:         144
        .size:           8
        .value_kind:     global_buffer
      - .actual_access:  write_only
        .address_space:  global
        .offset:         152
        .size:           8
        .value_kind:     global_buffer
      - .address_space:  global
        .offset:         160
        .size:           8
        .value_kind:     global_buffer
      - .offset:         168
        .size:           4
        .value_kind:     by_value
      - .offset:         172
        .size:           4
        .value_kind:     by_value
      - .offset:         176
        .size:           4
        .value_kind:     by_value
      - .offset:         180
        .size:           4
        .value_kind:     by_value
      - .offset:         184
        .size:           1
        .value_kind:     by_value
      - .offset:         185
        .size:           1
        .value_kind:     by_value
      - .offset:         186
        .size:           1
        .value_kind:     by_value
    .group_segment_fixed_size: 20744
    .kernarg_segment_align: 8
    .kernarg_segment_size: 188
    .language:       OpenCL C
    .language_version:
      - 2
      - 0
    .max_flat_workgroup_size: 256
    .name:           _ZN9rocsparseL38bsrgemm_block_per_row_atomic_multipassILj256ELj64ELj4Eii21rocsparse_complex_numIdEEEv20rocsparse_direction_T3_S4_PKS4_S6_NS_24const_host_device_scalarIT4_EEPKT2_S6_PKS8_SC_S6_SE_S9_SC_S6_SE_SC_PS4_PS8_PSA_21rocsparse_index_base_SI_SI_SI_bbb
    .private_segment_fixed_size: 24
    .sgpr_count:     98
    .sgpr_spill_count: 0
    .symbol:         _ZN9rocsparseL38bsrgemm_block_per_row_atomic_multipassILj256ELj64ELj4Eii21rocsparse_complex_numIdEEEv20rocsparse_direction_T3_S4_PKS4_S6_NS_24const_host_device_scalarIT4_EEPKT2_S6_PKS8_SC_S6_SE_S9_SC_S6_SE_SC_PS4_PS8_PSA_21rocsparse_index_base_SI_SI_SI_bbb.kd
    .uniform_work_group_size: 1
    .uses_dynamic_stack: false
    .vgpr_count:     62
    .vgpr_spill_count: 0
    .wavefront_size: 64
  - .agpr_count:     0
    .args:
      - .offset:         0
        .size:           4
        .value_kind:     by_value
      - .offset:         4
        .size:           4
        .value_kind:     by_value
      - .offset:         8
        .size:           4
        .value_kind:     by_value
      - .actual_access:  read_only
        .address_space:  global
        .offset:         16
        .size:           8
        .value_kind:     global_buffer
      - .actual_access:  read_only
        .address_space:  global
        .offset:         24
        .size:           8
        .value_kind:     global_buffer
      - .offset:         32
        .size:           16
        .value_kind:     by_value
      - .actual_access:  read_only
        .address_space:  global
        .offset:         48
        .size:           8
        .value_kind:     global_buffer
      - .actual_access:  read_only
        .address_space:  global
        .offset:         56
        .size:           8
        .value_kind:     global_buffer
      - .actual_access:  read_only
        .address_space:  global
        .offset:         64
        .size:           8
        .value_kind:     global_buffer
      - .actual_access:  read_only
        .address_space:  global
        .offset:         72
        .size:           8
        .value_kind:     global_buffer
      - .actual_access:  read_only
        .address_space:  global
        .offset:         80
        .size:           8
        .value_kind:     global_buffer
      - .actual_access:  read_only
        .address_space:  global
        .offset:         88
        .size:           8
        .value_kind:     global_buffer
      - .offset:         96
        .size:           16
        .value_kind:     by_value
      - .actual_access:  read_only
        .address_space:  global
        .offset:         112
        .size:           8
        .value_kind:     global_buffer
      - .actual_access:  read_only
        .address_space:  global
        .offset:         120
        .size:           8
        .value_kind:     global_buffer
      - .actual_access:  read_only
        .address_space:  global
        .offset:         128
        .size:           8
        .value_kind:     global_buffer
      - .actual_access:  read_only
        .address_space:  global
        .offset:         136
        .size:           8
        .value_kind:     global_buffer
      - .actual_access:  write_only
        .address_space:  global
        .offset:         144
        .size:           8
        .value_kind:     global_buffer
      - .actual_access:  write_only
        .address_space:  global
        .offset:         152
        .size:           8
        .value_kind:     global_buffer
      - .address_space:  global
        .offset:         160
        .size:           8
        .value_kind:     global_buffer
      - .offset:         168
        .size:           4
        .value_kind:     by_value
      - .offset:         172
        .size:           4
        .value_kind:     by_value
      - .offset:         176
        .size:           4
        .value_kind:     by_value
      - .offset:         180
        .size:           4
        .value_kind:     by_value
      - .offset:         184
        .size:           1
        .value_kind:     by_value
      - .offset:         185
        .size:           1
        .value_kind:     by_value
      - .offset:         186
        .size:           1
        .value_kind:     by_value
    .group_segment_fixed_size: 41480
    .kernarg_segment_align: 8
    .kernarg_segment_size: 188
    .language:       OpenCL C
    .language_version:
      - 2
      - 0
    .max_flat_workgroup_size: 256
    .name:           _ZN9rocsparseL38bsrgemm_block_per_row_atomic_multipassILj256ELj128ELj4Eii21rocsparse_complex_numIdEEEv20rocsparse_direction_T3_S4_PKS4_S6_NS_24const_host_device_scalarIT4_EEPKT2_S6_PKS8_SC_S6_SE_S9_SC_S6_SE_SC_PS4_PS8_PSA_21rocsparse_index_base_SI_SI_SI_bbb
    .private_segment_fixed_size: 0
    .sgpr_count:     96
    .sgpr_spill_count: 0
    .symbol:         _ZN9rocsparseL38bsrgemm_block_per_row_atomic_multipassILj256ELj128ELj4Eii21rocsparse_complex_numIdEEEv20rocsparse_direction_T3_S4_PKS4_S6_NS_24const_host_device_scalarIT4_EEPKT2_S6_PKS8_SC_S6_SE_S9_SC_S6_SE_SC_PS4_PS8_PSA_21rocsparse_index_base_SI_SI_SI_bbb.kd
    .uniform_work_group_size: 1
    .uses_dynamic_stack: false
    .vgpr_count:     62
    .vgpr_spill_count: 0
    .wavefront_size: 64
  - .agpr_count:     0
    .args:
      - .offset:         0
        .size:           4
        .value_kind:     by_value
      - .offset:         4
        .size:           4
        .value_kind:     by_value
      - .offset:         8
        .size:           4
        .value_kind:     by_value
      - .offset:         12
        .size:           4
        .value_kind:     by_value
      - .actual_access:  read_only
        .address_space:  global
        .offset:         16
        .size:           8
        .value_kind:     global_buffer
      - .actual_access:  read_only
        .address_space:  global
        .offset:         24
        .size:           8
        .value_kind:     global_buffer
      - .offset:         32
        .size:           16
        .value_kind:     by_value
      - .actual_access:  read_only
        .address_space:  global
        .offset:         48
        .size:           8
        .value_kind:     global_buffer
      - .actual_access:  read_only
        .address_space:  global
        .offset:         56
        .size:           8
        .value_kind:     global_buffer
      - .actual_access:  read_only
        .address_space:  global
        .offset:         64
        .size:           8
        .value_kind:     global_buffer
      - .actual_access:  read_only
        .address_space:  global
        .offset:         72
        .size:           8
        .value_kind:     global_buffer
      - .actual_access:  read_only
        .address_space:  global
        .offset:         80
        .size:           8
        .value_kind:     global_buffer
      - .actual_access:  read_only
        .address_space:  global
        .offset:         88
        .size:           8
        .value_kind:     global_buffer
      - .offset:         96
        .size:           16
        .value_kind:     by_value
      - .actual_access:  read_only
        .address_space:  global
        .offset:         112
        .size:           8
        .value_kind:     global_buffer
      - .actual_access:  read_only
        .address_space:  global
        .offset:         120
        .size:           8
        .value_kind:     global_buffer
      - .actual_access:  read_only
        .address_space:  global
        .offset:         128
        .size:           8
        .value_kind:     global_buffer
      - .actual_access:  read_only
        .address_space:  global
        .offset:         136
        .size:           8
        .value_kind:     global_buffer
      - .actual_access:  write_only
        .address_space:  global
        .offset:         144
        .size:           8
        .value_kind:     global_buffer
      - .actual_access:  write_only
        .address_space:  global
        .offset:         152
        .size:           8
        .value_kind:     global_buffer
      - .offset:         160
        .size:           4
        .value_kind:     by_value
      - .offset:         164
        .size:           4
        .value_kind:     by_value
      - .offset:         168
        .size:           4
        .value_kind:     by_value
      - .offset:         172
        .size:           4
        .value_kind:     by_value
      - .offset:         176
        .size:           1
        .value_kind:     by_value
      - .offset:         177
        .size:           1
        .value_kind:     by_value
      - .offset:         178
        .size:           1
        .value_kind:     by_value
    .group_segment_fixed_size: 36992
    .kernarg_segment_align: 8
    .kernarg_segment_size: 180
    .language:       OpenCL C
    .language_version:
      - 2
      - 0
    .max_flat_workgroup_size: 256
    .name:           _ZN9rocsparseL23bsrgemm_fill_wf_per_rowILj256ELj64ELj8ELj137ELj8Eii21rocsparse_complex_numIdEEEv20rocsparse_direction_T5_S4_S4_PKS4_S6_NS_24const_host_device_scalarIT6_EEPKT4_S6_PKS8_SC_S6_SE_S9_SC_S6_SE_SC_PS4_PS8_21rocsparse_index_base_SH_SH_SH_bbb
    .private_segment_fixed_size: 0
    .sgpr_count:     69
    .sgpr_spill_count: 0
    .symbol:         _ZN9rocsparseL23bsrgemm_fill_wf_per_rowILj256ELj64ELj8ELj137ELj8Eii21rocsparse_complex_numIdEEEv20rocsparse_direction_T5_S4_S4_PKS4_S6_NS_24const_host_device_scalarIT6_EEPKT4_S6_PKS8_SC_S6_SE_S9_SC_S6_SE_SC_PS4_PS8_21rocsparse_index_base_SH_SH_SH_bbb.kd
    .uniform_work_group_size: 1
    .uses_dynamic_stack: false
    .vgpr_count:     50
    .vgpr_spill_count: 0
    .wavefront_size: 64
  - .agpr_count:     0
    .args:
      - .offset:         0
        .size:           4
        .value_kind:     by_value
      - .offset:         4
        .size:           4
        .value_kind:     by_value
      - .offset:         8
        .size:           4
        .value_kind:     by_value
      - .actual_access:  read_only
        .address_space:  global
        .offset:         16
        .size:           8
        .value_kind:     global_buffer
      - .actual_access:  read_only
        .address_space:  global
        .offset:         24
        .size:           8
        .value_kind:     global_buffer
      - .offset:         32
        .size:           16
        .value_kind:     by_value
      - .actual_access:  read_only
        .address_space:  global
        .offset:         48
        .size:           8
        .value_kind:     global_buffer
      - .actual_access:  read_only
        .address_space:  global
        .offset:         56
        .size:           8
        .value_kind:     global_buffer
      - .actual_access:  read_only
        .address_space:  global
        .offset:         64
        .size:           8
        .value_kind:     global_buffer
      - .actual_access:  read_only
        .address_space:  global
        .offset:         72
        .size:           8
        .value_kind:     global_buffer
      - .actual_access:  read_only
        .address_space:  global
        .offset:         80
        .size:           8
        .value_kind:     global_buffer
      - .actual_access:  read_only
        .address_space:  global
        .offset:         88
        .size:           8
        .value_kind:     global_buffer
      - .offset:         96
        .size:           16
        .value_kind:     by_value
      - .actual_access:  read_only
        .address_space:  global
        .offset:         112
        .size:           8
        .value_kind:     global_buffer
      - .actual_access:  read_only
        .address_space:  global
        .offset:         120
        .size:           8
        .value_kind:     global_buffer
      - .actual_access:  read_only
        .address_space:  global
        .offset:         128
        .size:           8
        .value_kind:     global_buffer
      - .actual_access:  read_only
        .address_space:  global
        .offset:         136
        .size:           8
        .value_kind:     global_buffer
      - .actual_access:  write_only
        .address_space:  global
        .offset:         144
        .size:           8
        .value_kind:     global_buffer
      - .actual_access:  write_only
        .address_space:  global
        .offset:         152
        .size:           8
        .value_kind:     global_buffer
      - .address_space:  global
        .offset:         160
        .size:           8
        .value_kind:     global_buffer
      - .offset:         168
        .size:           4
        .value_kind:     by_value
      - .offset:         172
        .size:           4
        .value_kind:     by_value
      - .offset:         176
        .size:           4
        .value_kind:     by_value
      - .offset:         180
        .size:           4
        .value_kind:     by_value
      - .offset:         184
        .size:           1
        .value_kind:     by_value
      - .offset:         185
        .size:           1
        .value_kind:     by_value
      - .offset:         186
        .size:           1
        .value_kind:     by_value
    .group_segment_fixed_size: 20552
    .kernarg_segment_align: 8
    .kernarg_segment_size: 188
    .language:       OpenCL C
    .language_version:
      - 2
      - 0
    .max_flat_workgroup_size: 256
    .name:           _ZN9rocsparseL38bsrgemm_block_per_row_atomic_multipassILj256ELj16ELj8Eii21rocsparse_complex_numIdEEEv20rocsparse_direction_T3_S4_PKS4_S6_NS_24const_host_device_scalarIT4_EEPKT2_S6_PKS8_SC_S6_SE_S9_SC_S6_SE_SC_PS4_PS8_PSA_21rocsparse_index_base_SI_SI_SI_bbb
    .private_segment_fixed_size: 24
    .sgpr_count:     94
    .sgpr_spill_count: 0
    .symbol:         _ZN9rocsparseL38bsrgemm_block_per_row_atomic_multipassILj256ELj16ELj8Eii21rocsparse_complex_numIdEEEv20rocsparse_direction_T3_S4_PKS4_S6_NS_24const_host_device_scalarIT4_EEPKT2_S6_PKS8_SC_S6_SE_S9_SC_S6_SE_SC_PS4_PS8_PSA_21rocsparse_index_base_SI_SI_SI_bbb.kd
    .uniform_work_group_size: 1
    .uses_dynamic_stack: false
    .vgpr_count:     60
    .vgpr_spill_count: 0
    .wavefront_size: 64
  - .agpr_count:     0
    .args:
      - .offset:         0
        .size:           4
        .value_kind:     by_value
      - .offset:         4
        .size:           4
        .value_kind:     by_value
      - .offset:         8
        .size:           4
        .value_kind:     by_value
      - .actual_access:  read_only
        .address_space:  global
        .offset:         16
        .size:           8
        .value_kind:     global_buffer
      - .actual_access:  read_only
        .address_space:  global
        .offset:         24
        .size:           8
        .value_kind:     global_buffer
      - .offset:         32
        .size:           16
        .value_kind:     by_value
      - .actual_access:  read_only
        .address_space:  global
        .offset:         48
        .size:           8
        .value_kind:     global_buffer
      - .actual_access:  read_only
        .address_space:  global
        .offset:         56
        .size:           8
        .value_kind:     global_buffer
      - .actual_access:  read_only
        .address_space:  global
        .offset:         64
        .size:           8
        .value_kind:     global_buffer
      - .actual_access:  read_only
        .address_space:  global
        .offset:         72
        .size:           8
        .value_kind:     global_buffer
      - .actual_access:  read_only
        .address_space:  global
        .offset:         80
        .size:           8
        .value_kind:     global_buffer
      - .actual_access:  read_only
        .address_space:  global
        .offset:         88
        .size:           8
        .value_kind:     global_buffer
      - .offset:         96
        .size:           16
        .value_kind:     by_value
      - .actual_access:  read_only
        .address_space:  global
        .offset:         112
        .size:           8
        .value_kind:     global_buffer
      - .actual_access:  read_only
        .address_space:  global
        .offset:         120
        .size:           8
        .value_kind:     global_buffer
      - .actual_access:  read_only
        .address_space:  global
        .offset:         128
        .size:           8
        .value_kind:     global_buffer
      - .actual_access:  read_only
        .address_space:  global
        .offset:         136
        .size:           8
        .value_kind:     global_buffer
      - .actual_access:  write_only
        .address_space:  global
        .offset:         144
        .size:           8
        .value_kind:     global_buffer
      - .actual_access:  write_only
        .address_space:  global
        .offset:         152
        .size:           8
        .value_kind:     global_buffer
      - .address_space:  global
        .offset:         160
        .size:           8
        .value_kind:     global_buffer
      - .offset:         168
        .size:           4
        .value_kind:     by_value
      - .offset:         172
        .size:           4
        .value_kind:     by_value
      - .offset:         176
        .size:           4
        .value_kind:     by_value
      - .offset:         180
        .size:           4
        .value_kind:     by_value
      - .offset:         184
        .size:           1
        .value_kind:     by_value
      - .offset:         185
        .size:           1
        .value_kind:     by_value
      - .offset:         186
        .size:           1
        .value_kind:     by_value
    .group_segment_fixed_size: 41096
    .kernarg_segment_align: 8
    .kernarg_segment_size: 188
    .language:       OpenCL C
    .language_version:
      - 2
      - 0
    .max_flat_workgroup_size: 256
    .name:           _ZN9rocsparseL38bsrgemm_block_per_row_atomic_multipassILj256ELj32ELj8Eii21rocsparse_complex_numIdEEEv20rocsparse_direction_T3_S4_PKS4_S6_NS_24const_host_device_scalarIT4_EEPKT2_S6_PKS8_SC_S6_SE_S9_SC_S6_SE_SC_PS4_PS8_PSA_21rocsparse_index_base_SI_SI_SI_bbb
    .private_segment_fixed_size: 0
    .sgpr_count:     91
    .sgpr_spill_count: 0
    .symbol:         _ZN9rocsparseL38bsrgemm_block_per_row_atomic_multipassILj256ELj32ELj8Eii21rocsparse_complex_numIdEEEv20rocsparse_direction_T3_S4_PKS4_S6_NS_24const_host_device_scalarIT4_EEPKT2_S6_PKS8_SC_S6_SE_S9_SC_S6_SE_SC_PS4_PS8_PSA_21rocsparse_index_base_SI_SI_SI_bbb.kd
    .uniform_work_group_size: 1
    .uses_dynamic_stack: false
    .vgpr_count:     60
    .vgpr_spill_count: 0
    .wavefront_size: 64
  - .agpr_count:     0
    .args:
      - .offset:         0
        .size:           4
        .value_kind:     by_value
      - .offset:         4
        .size:           4
        .value_kind:     by_value
      - .offset:         8
        .size:           4
        .value_kind:     by_value
      - .actual_access:  read_only
        .address_space:  global
        .offset:         16
        .size:           8
        .value_kind:     global_buffer
      - .actual_access:  read_only
        .address_space:  global
        .offset:         24
        .size:           8
        .value_kind:     global_buffer
      - .offset:         32
        .size:           16
        .value_kind:     by_value
      - .actual_access:  read_only
        .address_space:  global
        .offset:         48
        .size:           8
        .value_kind:     global_buffer
      - .actual_access:  read_only
        .address_space:  global
        .offset:         56
        .size:           8
        .value_kind:     global_buffer
      - .actual_access:  read_only
        .address_space:  global
        .offset:         64
        .size:           8
        .value_kind:     global_buffer
      - .actual_access:  read_only
        .address_space:  global
        .offset:         72
        .size:           8
        .value_kind:     global_buffer
      - .actual_access:  read_only
        .address_space:  global
        .offset:         80
        .size:           8
        .value_kind:     global_buffer
      - .actual_access:  read_only
        .address_space:  global
        .offset:         88
        .size:           8
        .value_kind:     global_buffer
      - .offset:         96
        .size:           16
        .value_kind:     by_value
      - .actual_access:  read_only
        .address_space:  global
        .offset:         112
        .size:           8
        .value_kind:     global_buffer
      - .actual_access:  read_only
        .address_space:  global
        .offset:         120
        .size:           8
        .value_kind:     global_buffer
      - .actual_access:  read_only
        .address_space:  global
        .offset:         128
        .size:           8
        .value_kind:     global_buffer
      - .actual_access:  read_only
        .address_space:  global
        .offset:         136
        .size:           8
        .value_kind:     global_buffer
      - .actual_access:  write_only
        .address_space:  global
        .offset:         144
        .size:           8
        .value_kind:     global_buffer
      - .actual_access:  write_only
        .address_space:  global
        .offset:         152
        .size:           8
        .value_kind:     global_buffer
      - .address_space:  global
        .offset:         160
        .size:           8
        .value_kind:     global_buffer
      - .offset:         168
        .size:           4
        .value_kind:     by_value
      - .offset:         172
        .size:           4
        .value_kind:     by_value
      - .offset:         176
        .size:           4
        .value_kind:     by_value
      - .offset:         180
        .size:           4
        .value_kind:     by_value
      - .offset:         184
        .size:           1
        .value_kind:     by_value
      - .offset:         185
        .size:           1
        .value_kind:     by_value
      - .offset:         186
        .size:           1
        .value_kind:     by_value
    .group_segment_fixed_size: 36872
    .kernarg_segment_align: 8
    .kernarg_segment_size: 188
    .language:       OpenCL C
    .language_version:
      - 2
      - 0
    .max_flat_workgroup_size: 256
    .name:           _ZN9rocsparseL31bsrgemm_block_per_row_multipassILj256ELj8ELj16Eii21rocsparse_complex_numIdEEEv20rocsparse_direction_T3_S4_PKS4_S6_NS_24const_host_device_scalarIT4_EEPKT2_S6_PKS8_SC_S6_SE_S9_SC_S6_SE_SC_PS4_PS8_PSA_21rocsparse_index_base_SI_SI_SI_bbb
    .private_segment_fixed_size: 0
    .sgpr_count:     73
    .sgpr_spill_count: 0
    .symbol:         _ZN9rocsparseL31bsrgemm_block_per_row_multipassILj256ELj8ELj16Eii21rocsparse_complex_numIdEEEv20rocsparse_direction_T3_S4_PKS4_S6_NS_24const_host_device_scalarIT4_EEPKT2_S6_PKS8_SC_S6_SE_S9_SC_S6_SE_SC_PS4_PS8_PSA_21rocsparse_index_base_SI_SI_SI_bbb.kd
    .uniform_work_group_size: 1
    .uses_dynamic_stack: false
    .vgpr_count:     52
    .vgpr_spill_count: 0
    .wavefront_size: 64
  - .agpr_count:     0
    .args:
      - .offset:         0
        .size:           4
        .value_kind:     by_value
      - .offset:         4
        .size:           4
        .value_kind:     by_value
      - .offset:         8
        .size:           4
        .value_kind:     by_value
      - .actual_access:  read_only
        .address_space:  global
        .offset:         16
        .size:           8
        .value_kind:     global_buffer
      - .actual_access:  read_only
        .address_space:  global
        .offset:         24
        .size:           8
        .value_kind:     global_buffer
      - .offset:         32
        .size:           16
        .value_kind:     by_value
      - .actual_access:  read_only
        .address_space:  global
        .offset:         48
        .size:           8
        .value_kind:     global_buffer
      - .actual_access:  read_only
        .address_space:  global
        .offset:         56
        .size:           8
        .value_kind:     global_buffer
      - .actual_access:  read_only
        .address_space:  global
        .offset:         64
        .size:           8
        .value_kind:     global_buffer
      - .actual_access:  read_only
        .address_space:  global
        .offset:         72
        .size:           8
        .value_kind:     global_buffer
      - .actual_access:  read_only
        .address_space:  global
        .offset:         80
        .size:           8
        .value_kind:     global_buffer
      - .actual_access:  read_only
        .address_space:  global
        .offset:         88
        .size:           8
        .value_kind:     global_buffer
      - .offset:         96
        .size:           16
        .value_kind:     by_value
      - .actual_access:  read_only
        .address_space:  global
        .offset:         112
        .size:           8
        .value_kind:     global_buffer
      - .actual_access:  read_only
        .address_space:  global
        .offset:         120
        .size:           8
        .value_kind:     global_buffer
      - .actual_access:  read_only
        .address_space:  global
        .offset:         128
        .size:           8
        .value_kind:     global_buffer
      - .actual_access:  read_only
        .address_space:  global
        .offset:         136
        .size:           8
        .value_kind:     global_buffer
      - .actual_access:  write_only
        .address_space:  global
        .offset:         144
        .size:           8
        .value_kind:     global_buffer
      - .actual_access:  write_only
        .address_space:  global
        .offset:         152
        .size:           8
        .value_kind:     global_buffer
      - .address_space:  global
        .offset:         160
        .size:           8
        .value_kind:     global_buffer
      - .offset:         168
        .size:           4
        .value_kind:     by_value
      - .offset:         172
        .size:           4
        .value_kind:     by_value
      - .offset:         176
        .size:           4
        .value_kind:     by_value
      - .offset:         180
        .size:           4
        .value_kind:     by_value
      - .offset:         184
        .size:           1
        .value_kind:     by_value
      - .offset:         185
        .size:           1
        .value_kind:     by_value
      - .offset:         186
        .size:           1
        .value_kind:     by_value
    .group_segment_fixed_size: 36872
    .kernarg_segment_align: 8
    .kernarg_segment_size: 188
    .language:       OpenCL C
    .language_version:
      - 2
      - 0
    .max_flat_workgroup_size: 256
    .name:           _ZN9rocsparseL31bsrgemm_block_per_row_multipassILj256ELj2ELj32Eii21rocsparse_complex_numIdEEEv20rocsparse_direction_T3_S4_PKS4_S6_NS_24const_host_device_scalarIT4_EEPKT2_S6_PKS8_SC_S6_SE_S9_SC_S6_SE_SC_PS4_PS8_PSA_21rocsparse_index_base_SI_SI_SI_bbb
    .private_segment_fixed_size: 0
    .sgpr_count:     81
    .sgpr_spill_count: 0
    .symbol:         _ZN9rocsparseL31bsrgemm_block_per_row_multipassILj256ELj2ELj32Eii21rocsparse_complex_numIdEEEv20rocsparse_direction_T3_S4_PKS4_S6_NS_24const_host_device_scalarIT4_EEPKT2_S6_PKS8_SC_S6_SE_S9_SC_S6_SE_SC_PS4_PS8_PSA_21rocsparse_index_base_SI_SI_SI_bbb.kd
    .uniform_work_group_size: 1
    .uses_dynamic_stack: false
    .vgpr_count:     64
    .vgpr_spill_count: 0
    .wavefront_size: 64
  - .agpr_count:     0
    .args:
      - .offset:         0
        .size:           8
        .value_kind:     by_value
      - .actual_access:  read_only
        .address_space:  global
        .offset:         8
        .size:           8
        .value_kind:     global_buffer
      - .actual_access:  write_only
        .address_space:  global
        .offset:         16
        .size:           8
        .value_kind:     global_buffer
      - .offset:         24
        .size:           4
        .value_kind:     hidden_block_count_x
      - .offset:         28
        .size:           4
        .value_kind:     hidden_block_count_y
      - .offset:         32
        .size:           4
        .value_kind:     hidden_block_count_z
      - .offset:         36
        .size:           2
        .value_kind:     hidden_group_size_x
      - .offset:         38
        .size:           2
        .value_kind:     hidden_group_size_y
      - .offset:         40
        .size:           2
        .value_kind:     hidden_group_size_z
      - .offset:         42
        .size:           2
        .value_kind:     hidden_remainder_x
      - .offset:         44
        .size:           2
        .value_kind:     hidden_remainder_y
      - .offset:         46
        .size:           2
        .value_kind:     hidden_remainder_z
      - .offset:         64
        .size:           8
        .value_kind:     hidden_global_offset_x
      - .offset:         72
        .size:           8
        .value_kind:     hidden_global_offset_y
      - .offset:         80
        .size:           8
        .value_kind:     hidden_global_offset_z
      - .offset:         88
        .size:           2
        .value_kind:     hidden_grid_dims
    .group_segment_fixed_size: 2048
    .kernarg_segment_align: 8
    .kernarg_segment_size: 280
    .language:       OpenCL C
    .language_version:
      - 2
      - 0
    .max_flat_workgroup_size: 256
    .name:           _ZN9rocsparseL25csrgemm_max_row_nnz_part1ILj256EllEEvT1_PKT0_PS1_
    .private_segment_fixed_size: 0
    .sgpr_count:     18
    .sgpr_spill_count: 0
    .symbol:         _ZN9rocsparseL25csrgemm_max_row_nnz_part1ILj256EllEEvT1_PKT0_PS1_.kd
    .uniform_work_group_size: 1
    .uses_dynamic_stack: false
    .vgpr_count:     14
    .vgpr_spill_count: 0
    .wavefront_size: 64
  - .agpr_count:     0
    .args:
      - .address_space:  global
        .offset:         0
        .size:           8
        .value_kind:     global_buffer
    .group_segment_fixed_size: 2048
    .kernarg_segment_align: 8
    .kernarg_segment_size: 8
    .language:       OpenCL C
    .language_version:
      - 2
      - 0
    .max_flat_workgroup_size: 256
    .name:           _ZN9rocsparseL25csrgemm_max_row_nnz_part2ILj256ElEEvPT0_
    .private_segment_fixed_size: 0
    .sgpr_count:     10
    .sgpr_spill_count: 0
    .symbol:         _ZN9rocsparseL25csrgemm_max_row_nnz_part2ILj256ElEEvPT0_.kd
    .uniform_work_group_size: 1
    .uses_dynamic_stack: false
    .vgpr_count:     6
    .vgpr_spill_count: 0
    .wavefront_size: 64
  - .agpr_count:     0
    .args:
      - .offset:         0
        .size:           8
        .value_kind:     by_value
      - .actual_access:  read_only
        .address_space:  global
        .offset:         8
        .size:           8
        .value_kind:     global_buffer
      - .actual_access:  write_only
        .address_space:  global
        .offset:         16
        .size:           8
        .value_kind:     global_buffer
      - .actual_access:  write_only
        .address_space:  global
        .offset:         24
        .size:           8
        .value_kind:     global_buffer
      - .offset:         32
        .size:           4
        .value_kind:     hidden_block_count_x
      - .offset:         36
        .size:           4
        .value_kind:     hidden_block_count_y
      - .offset:         40
        .size:           4
        .value_kind:     hidden_block_count_z
      - .offset:         44
        .size:           2
        .value_kind:     hidden_group_size_x
      - .offset:         46
        .size:           2
        .value_kind:     hidden_group_size_y
      - .offset:         48
        .size:           2
        .value_kind:     hidden_group_size_z
      - .offset:         50
        .size:           2
        .value_kind:     hidden_remainder_x
      - .offset:         52
        .size:           2
        .value_kind:     hidden_remainder_y
      - .offset:         54
        .size:           2
        .value_kind:     hidden_remainder_z
      - .offset:         72
        .size:           8
        .value_kind:     hidden_global_offset_x
      - .offset:         80
        .size:           8
        .value_kind:     hidden_global_offset_y
      - .offset:         88
        .size:           8
        .value_kind:     hidden_global_offset_z
      - .offset:         96
        .size:           2
        .value_kind:     hidden_grid_dims
    .group_segment_fixed_size: 16384
    .kernarg_segment_align: 8
    .kernarg_segment_size: 288
    .language:       OpenCL C
    .language_version:
      - 2
      - 0
    .max_flat_workgroup_size: 256
    .name:           _ZN9rocsparseL26bsrgemm_group_reduce_part2ILj256ELj8ELj2EfllEEvT4_PKT3_PS1_Pi
    .private_segment_fixed_size: 0
    .sgpr_count:     42
    .sgpr_spill_count: 0
    .symbol:         _ZN9rocsparseL26bsrgemm_group_reduce_part2ILj256ELj8ELj2EfllEEvT4_PKT3_PS1_Pi.kd
    .uniform_work_group_size: 1
    .uses_dynamic_stack: false
    .vgpr_count:     26
    .vgpr_spill_count: 0
    .wavefront_size: 64
  - .agpr_count:     0
    .args:
      - .offset:         0
        .size:           8
        .value_kind:     by_value
      - .actual_access:  read_only
        .address_space:  global
        .offset:         8
        .size:           8
        .value_kind:     global_buffer
      - .actual_access:  write_only
        .address_space:  global
        .offset:         16
        .size:           8
        .value_kind:     global_buffer
      - .actual_access:  write_only
        .address_space:  global
        .offset:         24
        .size:           8
        .value_kind:     global_buffer
      - .offset:         32
        .size:           4
        .value_kind:     hidden_block_count_x
      - .offset:         36
        .size:           4
        .value_kind:     hidden_block_count_y
      - .offset:         40
        .size:           4
        .value_kind:     hidden_block_count_z
      - .offset:         44
        .size:           2
        .value_kind:     hidden_group_size_x
      - .offset:         46
        .size:           2
        .value_kind:     hidden_group_size_y
      - .offset:         48
        .size:           2
        .value_kind:     hidden_group_size_z
      - .offset:         50
        .size:           2
        .value_kind:     hidden_remainder_x
      - .offset:         52
        .size:           2
        .value_kind:     hidden_remainder_y
      - .offset:         54
        .size:           2
        .value_kind:     hidden_remainder_z
      - .offset:         72
        .size:           8
        .value_kind:     hidden_global_offset_x
      - .offset:         80
        .size:           8
        .value_kind:     hidden_global_offset_y
      - .offset:         88
        .size:           8
        .value_kind:     hidden_global_offset_z
      - .offset:         96
        .size:           2
        .value_kind:     hidden_grid_dims
    .group_segment_fixed_size: 16384
    .kernarg_segment_align: 8
    .kernarg_segment_size: 288
    .language:       OpenCL C
    .language_version:
      - 2
      - 0
    .max_flat_workgroup_size: 256
    .name:           _ZN9rocsparseL26bsrgemm_group_reduce_part2ILj256ELj8ELj8EfllEEvT4_PKT3_PS1_Pi
    .private_segment_fixed_size: 0
    .sgpr_count:     42
    .sgpr_spill_count: 0
    .symbol:         _ZN9rocsparseL26bsrgemm_group_reduce_part2ILj256ELj8ELj8EfllEEvT4_PKT3_PS1_Pi.kd
    .uniform_work_group_size: 1
    .uses_dynamic_stack: false
    .vgpr_count:     26
    .vgpr_spill_count: 0
    .wavefront_size: 64
  - .agpr_count:     0
    .args:
      - .address_space:  global
        .offset:         0
        .size:           8
        .value_kind:     global_buffer
    .group_segment_fixed_size: 16384
    .kernarg_segment_align: 8
    .kernarg_segment_size: 8
    .language:       OpenCL C
    .language_version:
      - 2
      - 0
    .max_flat_workgroup_size: 256
    .name:           _ZN9rocsparseL26bsrgemm_group_reduce_part3ILj256ELj8ElEEvPT1_
    .private_segment_fixed_size: 0
    .sgpr_count:     10
    .sgpr_spill_count: 0
    .symbol:         _ZN9rocsparseL26bsrgemm_group_reduce_part3ILj256ELj8ElEEvPT1_.kd
    .uniform_work_group_size: 1
    .uses_dynamic_stack: false
    .vgpr_count:     30
    .vgpr_spill_count: 0
    .wavefront_size: 64
  - .agpr_count:     0
    .args:
      - .offset:         0
        .size:           4
        .value_kind:     by_value
      - .offset:         8
        .size:           8
        .value_kind:     by_value
      - .offset:         16
        .size:           8
        .value_kind:     by_value
      - .actual_access:  read_only
        .address_space:  global
        .offset:         24
        .size:           8
        .value_kind:     global_buffer
      - .actual_access:  read_only
        .address_space:  global
        .offset:         32
        .size:           8
        .value_kind:     global_buffer
      - .offset:         40
        .size:           8
        .value_kind:     by_value
      - .actual_access:  read_only
        .address_space:  global
        .offset:         48
        .size:           8
        .value_kind:     global_buffer
      - .actual_access:  read_only
        .address_space:  global
        .offset:         56
        .size:           8
        .value_kind:     global_buffer
      - .actual_access:  read_only
        .address_space:  global
        .offset:         64
        .size:           8
        .value_kind:     global_buffer
      - .actual_access:  read_only
        .address_space:  global
        .offset:         72
        .size:           8
        .value_kind:     global_buffer
      - .actual_access:  read_only
        .address_space:  global
        .offset:         80
        .size:           8
        .value_kind:     global_buffer
      - .actual_access:  read_only
        .address_space:  global
        .offset:         88
        .size:           8
        .value_kind:     global_buffer
      - .offset:         96
        .size:           8
        .value_kind:     by_value
      - .actual_access:  read_only
        .address_space:  global
        .offset:         104
        .size:           8
        .value_kind:     global_buffer
      - .actual_access:  read_only
        .address_space:  global
        .offset:         112
        .size:           8
        .value_kind:     global_buffer
      - .actual_access:  read_only
        .address_space:  global
        .offset:         120
        .size:           8
        .value_kind:     global_buffer
      - .actual_access:  read_only
        .address_space:  global
        .offset:         128
        .size:           8
        .value_kind:     global_buffer
      - .actual_access:  write_only
        .address_space:  global
        .offset:         136
        .size:           8
        .value_kind:     global_buffer
      - .actual_access:  write_only
        .address_space:  global
        .offset:         144
        .size:           8
        .value_kind:     global_buffer
      - .offset:         152
        .size:           4
        .value_kind:     by_value
      - .offset:         156
        .size:           4
        .value_kind:     by_value
      - .offset:         160
        .size:           4
        .value_kind:     by_value
      - .offset:         164
        .size:           4
        .value_kind:     by_value
      - .offset:         168
        .size:           1
        .value_kind:     by_value
      - .offset:         169
        .size:           1
        .value_kind:     by_value
      - .offset:         170
        .size:           1
        .value_kind:     by_value
    .group_segment_fixed_size: 3072
    .kernarg_segment_align: 8
    .kernarg_segment_size: 172
    .language:       OpenCL C
    .language_version:
      - 2
      - 0
    .max_flat_workgroup_size: 256
    .name:           _ZN9rocsparseL27bsrgemm_fill_wf_per_row_2x2ILj256ELj16ELj8ELj137EllfEEv20rocsparse_direction_T4_S2_PKS2_S4_NS_24const_host_device_scalarIT5_EEPKT3_S4_PKS6_SA_S4_SC_S7_SA_S4_SC_SA_PS2_PS6_21rocsparse_index_base_SF_SF_SF_bbb
    .private_segment_fixed_size: 0
    .sgpr_count:     51
    .sgpr_spill_count: 0
    .symbol:         _ZN9rocsparseL27bsrgemm_fill_wf_per_row_2x2ILj256ELj16ELj8ELj137EllfEEv20rocsparse_direction_T4_S2_PKS2_S4_NS_24const_host_device_scalarIT5_EEPKT3_S4_PKS6_SA_S4_SC_S7_SA_S4_SC_SA_PS2_PS6_21rocsparse_index_base_SF_SF_SF_bbb.kd
    .uniform_work_group_size: 1
    .uses_dynamic_stack: false
    .vgpr_count:     36
    .vgpr_spill_count: 0
    .wavefront_size: 64
  - .agpr_count:     0
    .args:
      - .offset:         0
        .size:           4
        .value_kind:     by_value
      - .offset:         8
        .size:           8
        .value_kind:     by_value
      - .offset:         16
        .size:           8
        .value_kind:     by_value
      - .actual_access:  read_only
        .address_space:  global
        .offset:         24
        .size:           8
        .value_kind:     global_buffer
      - .actual_access:  read_only
        .address_space:  global
        .offset:         32
        .size:           8
        .value_kind:     global_buffer
      - .offset:         40
        .size:           8
        .value_kind:     by_value
      - .actual_access:  read_only
        .address_space:  global
        .offset:         48
        .size:           8
        .value_kind:     global_buffer
      - .actual_access:  read_only
        .address_space:  global
        .offset:         56
        .size:           8
        .value_kind:     global_buffer
      - .actual_access:  read_only
        .address_space:  global
        .offset:         64
        .size:           8
        .value_kind:     global_buffer
      - .actual_access:  read_only
        .address_space:  global
        .offset:         72
        .size:           8
        .value_kind:     global_buffer
      - .actual_access:  read_only
        .address_space:  global
        .offset:         80
        .size:           8
        .value_kind:     global_buffer
      - .actual_access:  read_only
        .address_space:  global
        .offset:         88
        .size:           8
        .value_kind:     global_buffer
      - .offset:         96
        .size:           8
        .value_kind:     by_value
      - .actual_access:  read_only
        .address_space:  global
        .offset:         104
        .size:           8
        .value_kind:     global_buffer
      - .actual_access:  read_only
        .address_space:  global
        .offset:         112
        .size:           8
        .value_kind:     global_buffer
      - .actual_access:  read_only
        .address_space:  global
        .offset:         120
        .size:           8
        .value_kind:     global_buffer
      - .actual_access:  read_only
        .address_space:  global
        .offset:         128
        .size:           8
        .value_kind:     global_buffer
      - .actual_access:  write_only
        .address_space:  global
        .offset:         136
        .size:           8
        .value_kind:     global_buffer
      - .actual_access:  write_only
        .address_space:  global
        .offset:         144
        .size:           8
        .value_kind:     global_buffer
      - .offset:         152
        .size:           4
        .value_kind:     by_value
      - .offset:         156
        .size:           4
        .value_kind:     by_value
      - .offset:         160
        .size:           4
        .value_kind:     by_value
      - .offset:         164
        .size:           4
        .value_kind:     by_value
      - .offset:         168
        .size:           1
        .value_kind:     by_value
      - .offset:         169
        .size:           1
        .value_kind:     by_value
      - .offset:         170
        .size:           1
        .value_kind:     by_value
    .group_segment_fixed_size: 6144
    .kernarg_segment_align: 8
    .kernarg_segment_size: 172
    .language:       OpenCL C
    .language_version:
      - 2
      - 0
    .max_flat_workgroup_size: 256
    .name:           _ZN9rocsparseL27bsrgemm_fill_wf_per_row_2x2ILj256ELj16ELj16ELj137EllfEEv20rocsparse_direction_T4_S2_PKS2_S4_NS_24const_host_device_scalarIT5_EEPKT3_S4_PKS6_SA_S4_SC_S7_SA_S4_SC_SA_PS2_PS6_21rocsparse_index_base_SF_SF_SF_bbb
    .private_segment_fixed_size: 0
    .sgpr_count:     49
    .sgpr_spill_count: 0
    .symbol:         _ZN9rocsparseL27bsrgemm_fill_wf_per_row_2x2ILj256ELj16ELj16ELj137EllfEEv20rocsparse_direction_T4_S2_PKS2_S4_NS_24const_host_device_scalarIT5_EEPKT3_S4_PKS6_SA_S4_SC_S7_SA_S4_SC_SA_PS2_PS6_21rocsparse_index_base_SF_SF_SF_bbb.kd
    .uniform_work_group_size: 1
    .uses_dynamic_stack: false
    .vgpr_count:     40
    .vgpr_spill_count: 0
    .wavefront_size: 64
  - .agpr_count:     0
    .args:
      - .offset:         0
        .size:           4
        .value_kind:     by_value
      - .offset:         8
        .size:           8
        .value_kind:     by_value
      - .offset:         16
        .size:           8
        .value_kind:     by_value
      - .actual_access:  read_only
        .address_space:  global
        .offset:         24
        .size:           8
        .value_kind:     global_buffer
      - .actual_access:  read_only
        .address_space:  global
        .offset:         32
        .size:           8
        .value_kind:     global_buffer
      - .offset:         40
        .size:           8
        .value_kind:     by_value
      - .actual_access:  read_only
        .address_space:  global
        .offset:         48
        .size:           8
        .value_kind:     global_buffer
      - .actual_access:  read_only
        .address_space:  global
        .offset:         56
        .size:           8
        .value_kind:     global_buffer
      - .actual_access:  read_only
        .address_space:  global
        .offset:         64
        .size:           8
        .value_kind:     global_buffer
      - .actual_access:  read_only
        .address_space:  global
        .offset:         72
        .size:           8
        .value_kind:     global_buffer
      - .actual_access:  read_only
        .address_space:  global
        .offset:         80
        .size:           8
        .value_kind:     global_buffer
      - .actual_access:  read_only
        .address_space:  global
        .offset:         88
        .size:           8
        .value_kind:     global_buffer
      - .offset:         96
        .size:           8
        .value_kind:     by_value
      - .actual_access:  read_only
        .address_space:  global
        .offset:         104
        .size:           8
        .value_kind:     global_buffer
      - .actual_access:  read_only
        .address_space:  global
        .offset:         112
        .size:           8
        .value_kind:     global_buffer
      - .actual_access:  read_only
        .address_space:  global
        .offset:         120
        .size:           8
        .value_kind:     global_buffer
      - .actual_access:  read_only
        .address_space:  global
        .offset:         128
        .size:           8
        .value_kind:     global_buffer
      - .actual_access:  write_only
        .address_space:  global
        .offset:         136
        .size:           8
        .value_kind:     global_buffer
      - .actual_access:  write_only
        .address_space:  global
        .offset:         144
        .size:           8
        .value_kind:     global_buffer
      - .offset:         152
        .size:           4
        .value_kind:     by_value
      - .offset:         156
        .size:           4
        .value_kind:     by_value
      - .offset:         160
        .size:           4
        .value_kind:     by_value
      - .offset:         164
        .size:           4
        .value_kind:     by_value
      - .offset:         168
        .size:           1
        .value_kind:     by_value
      - .offset:         169
        .size:           1
        .value_kind:     by_value
      - .offset:         170
        .size:           1
        .value_kind:     by_value
    .group_segment_fixed_size: 12288
    .kernarg_segment_align: 8
    .kernarg_segment_size: 172
    .language:       OpenCL C
    .language_version:
      - 2
      - 0
    .max_flat_workgroup_size: 256
    .name:           _ZN9rocsparseL27bsrgemm_fill_wf_per_row_2x2ILj256ELj16ELj32ELj137EllfEEv20rocsparse_direction_T4_S2_PKS2_S4_NS_24const_host_device_scalarIT5_EEPKT3_S4_PKS6_SA_S4_SC_S7_SA_S4_SC_SA_PS2_PS6_21rocsparse_index_base_SF_SF_SF_bbb
    .private_segment_fixed_size: 0
    .sgpr_count:     59
    .sgpr_spill_count: 0
    .symbol:         _ZN9rocsparseL27bsrgemm_fill_wf_per_row_2x2ILj256ELj16ELj32ELj137EllfEEv20rocsparse_direction_T4_S2_PKS2_S4_NS_24const_host_device_scalarIT5_EEPKT3_S4_PKS6_SA_S4_SC_S7_SA_S4_SC_SA_PS2_PS6_21rocsparse_index_base_SF_SF_SF_bbb.kd
    .uniform_work_group_size: 1
    .uses_dynamic_stack: false
    .vgpr_count:     38
    .vgpr_spill_count: 0
    .wavefront_size: 64
  - .agpr_count:     0
    .args:
      - .offset:         0
        .size:           4
        .value_kind:     by_value
      - .offset:         8
        .size:           8
        .value_kind:     by_value
      - .offset:         16
        .size:           8
        .value_kind:     by_value
      - .actual_access:  read_only
        .address_space:  global
        .offset:         24
        .size:           8
        .value_kind:     global_buffer
      - .actual_access:  read_only
        .address_space:  global
        .offset:         32
        .size:           8
        .value_kind:     global_buffer
      - .offset:         40
        .size:           8
        .value_kind:     by_value
      - .actual_access:  read_only
        .address_space:  global
        .offset:         48
        .size:           8
        .value_kind:     global_buffer
      - .actual_access:  read_only
        .address_space:  global
        .offset:         56
        .size:           8
        .value_kind:     global_buffer
      - .actual_access:  read_only
        .address_space:  global
        .offset:         64
        .size:           8
        .value_kind:     global_buffer
      - .actual_access:  read_only
        .address_space:  global
        .offset:         72
        .size:           8
        .value_kind:     global_buffer
      - .actual_access:  read_only
        .address_space:  global
        .offset:         80
        .size:           8
        .value_kind:     global_buffer
      - .actual_access:  read_only
        .address_space:  global
        .offset:         88
        .size:           8
        .value_kind:     global_buffer
      - .offset:         96
        .size:           8
        .value_kind:     by_value
      - .actual_access:  read_only
        .address_space:  global
        .offset:         104
        .size:           8
        .value_kind:     global_buffer
      - .actual_access:  read_only
        .address_space:  global
        .offset:         112
        .size:           8
        .value_kind:     global_buffer
      - .actual_access:  read_only
        .address_space:  global
        .offset:         120
        .size:           8
        .value_kind:     global_buffer
      - .actual_access:  read_only
        .address_space:  global
        .offset:         128
        .size:           8
        .value_kind:     global_buffer
      - .actual_access:  write_only
        .address_space:  global
        .offset:         136
        .size:           8
        .value_kind:     global_buffer
      - .actual_access:  write_only
        .address_space:  global
        .offset:         144
        .size:           8
        .value_kind:     global_buffer
      - .offset:         152
        .size:           4
        .value_kind:     by_value
      - .offset:         156
        .size:           4
        .value_kind:     by_value
      - .offset:         160
        .size:           4
        .value_kind:     by_value
      - .offset:         164
        .size:           4
        .value_kind:     by_value
      - .offset:         168
        .size:           1
        .value_kind:     by_value
      - .offset:         169
        .size:           1
        .value_kind:     by_value
      - .offset:         170
        .size:           1
        .value_kind:     by_value
    .group_segment_fixed_size: 0
    .kernarg_segment_align: 8
    .kernarg_segment_size: 172
    .language:       OpenCL C
    .language_version:
      - 2
      - 0
    .max_flat_workgroup_size: 256
    .name:           _ZN9rocsparseL30bsrgemm_fill_block_per_row_2x2ILj256ELj16ELj64ELj137EllfEEv20rocsparse_direction_T4_S2_PKS2_S4_NS_24const_host_device_scalarIT5_EEPKT3_S4_PKS6_SA_S4_SC_S7_SA_S4_SC_SA_PS2_PS6_21rocsparse_index_base_SF_SF_SF_bbb
    .private_segment_fixed_size: 0
    .sgpr_count:     55
    .sgpr_spill_count: 0
    .symbol:         _ZN9rocsparseL30bsrgemm_fill_block_per_row_2x2ILj256ELj16ELj64ELj137EllfEEv20rocsparse_direction_T4_S2_PKS2_S4_NS_24const_host_device_scalarIT5_EEPKT3_S4_PKS6_SA_S4_SC_S7_SA_S4_SC_SA_PS2_PS6_21rocsparse_index_base_SF_SF_SF_bbb.kd
    .uniform_work_group_size: 1
    .uses_dynamic_stack: false
    .vgpr_count:     34
    .vgpr_spill_count: 0
    .wavefront_size: 64
  - .agpr_count:     0
    .args:
      - .offset:         0
        .size:           4
        .value_kind:     by_value
      - .offset:         8
        .size:           8
        .value_kind:     by_value
      - .offset:         16
        .size:           8
        .value_kind:     by_value
      - .actual_access:  read_only
        .address_space:  global
        .offset:         24
        .size:           8
        .value_kind:     global_buffer
      - .actual_access:  read_only
        .address_space:  global
        .offset:         32
        .size:           8
        .value_kind:     global_buffer
      - .offset:         40
        .size:           8
        .value_kind:     by_value
      - .actual_access:  read_only
        .address_space:  global
        .offset:         48
        .size:           8
        .value_kind:     global_buffer
      - .actual_access:  read_only
        .address_space:  global
        .offset:         56
        .size:           8
        .value_kind:     global_buffer
      - .actual_access:  read_only
        .address_space:  global
        .offset:         64
        .size:           8
        .value_kind:     global_buffer
      - .actual_access:  read_only
        .address_space:  global
        .offset:         72
        .size:           8
        .value_kind:     global_buffer
      - .actual_access:  read_only
        .address_space:  global
        .offset:         80
        .size:           8
        .value_kind:     global_buffer
      - .actual_access:  read_only
        .address_space:  global
        .offset:         88
        .size:           8
        .value_kind:     global_buffer
      - .offset:         96
        .size:           8
        .value_kind:     by_value
      - .actual_access:  read_only
        .address_space:  global
        .offset:         104
        .size:           8
        .value_kind:     global_buffer
      - .actual_access:  read_only
        .address_space:  global
        .offset:         112
        .size:           8
        .value_kind:     global_buffer
      - .actual_access:  read_only
        .address_space:  global
        .offset:         120
        .size:           8
        .value_kind:     global_buffer
      - .actual_access:  read_only
        .address_space:  global
        .offset:         128
        .size:           8
        .value_kind:     global_buffer
      - .actual_access:  write_only
        .address_space:  global
        .offset:         136
        .size:           8
        .value_kind:     global_buffer
      - .actual_access:  write_only
        .address_space:  global
        .offset:         144
        .size:           8
        .value_kind:     global_buffer
      - .offset:         152
        .size:           4
        .value_kind:     by_value
      - .offset:         156
        .size:           4
        .value_kind:     by_value
      - .offset:         160
        .size:           4
        .value_kind:     by_value
      - .offset:         164
        .size:           4
        .value_kind:     by_value
      - .offset:         168
        .size:           1
        .value_kind:     by_value
      - .offset:         169
        .size:           1
        .value_kind:     by_value
      - .offset:         170
        .size:           1
        .value_kind:     by_value
    .group_segment_fixed_size: 0
    .kernarg_segment_align: 8
    .kernarg_segment_size: 172
    .language:       OpenCL C
    .language_version:
      - 2
      - 0
    .max_flat_workgroup_size: 256
    .name:           _ZN9rocsparseL30bsrgemm_fill_block_per_row_2x2ILj256ELj16ELj128ELj137EllfEEv20rocsparse_direction_T4_S2_PKS2_S4_NS_24const_host_device_scalarIT5_EEPKT3_S4_PKS6_SA_S4_SC_S7_SA_S4_SC_SA_PS2_PS6_21rocsparse_index_base_SF_SF_SF_bbb
    .private_segment_fixed_size: 0
    .sgpr_count:     65
    .sgpr_spill_count: 0
    .symbol:         _ZN9rocsparseL30bsrgemm_fill_block_per_row_2x2ILj256ELj16ELj128ELj137EllfEEv20rocsparse_direction_T4_S2_PKS2_S4_NS_24const_host_device_scalarIT5_EEPKT3_S4_PKS6_SA_S4_SC_S7_SA_S4_SC_SA_PS2_PS6_21rocsparse_index_base_SF_SF_SF_bbb.kd
    .uniform_work_group_size: 1
    .uses_dynamic_stack: false
    .vgpr_count:     38
    .vgpr_spill_count: 0
    .wavefront_size: 64
  - .agpr_count:     0
    .args:
      - .offset:         0
        .size:           4
        .value_kind:     by_value
      - .offset:         8
        .size:           8
        .value_kind:     by_value
      - .offset:         16
        .size:           8
        .value_kind:     by_value
      - .actual_access:  read_only
        .address_space:  global
        .offset:         24
        .size:           8
        .value_kind:     global_buffer
      - .actual_access:  read_only
        .address_space:  global
        .offset:         32
        .size:           8
        .value_kind:     global_buffer
      - .offset:         40
        .size:           8
        .value_kind:     by_value
      - .actual_access:  read_only
        .address_space:  global
        .offset:         48
        .size:           8
        .value_kind:     global_buffer
      - .actual_access:  read_only
        .address_space:  global
        .offset:         56
        .size:           8
        .value_kind:     global_buffer
      - .actual_access:  read_only
        .address_space:  global
        .offset:         64
        .size:           8
        .value_kind:     global_buffer
      - .actual_access:  read_only
        .address_space:  global
        .offset:         72
        .size:           8
        .value_kind:     global_buffer
      - .actual_access:  read_only
        .address_space:  global
        .offset:         80
        .size:           8
        .value_kind:     global_buffer
      - .actual_access:  read_only
        .address_space:  global
        .offset:         88
        .size:           8
        .value_kind:     global_buffer
      - .offset:         96
        .size:           8
        .value_kind:     by_value
      - .actual_access:  read_only
        .address_space:  global
        .offset:         104
        .size:           8
        .value_kind:     global_buffer
      - .actual_access:  read_only
        .address_space:  global
        .offset:         112
        .size:           8
        .value_kind:     global_buffer
      - .actual_access:  read_only
        .address_space:  global
        .offset:         120
        .size:           8
        .value_kind:     global_buffer
      - .actual_access:  read_only
        .address_space:  global
        .offset:         128
        .size:           8
        .value_kind:     global_buffer
      - .actual_access:  write_only
        .address_space:  global
        .offset:         136
        .size:           8
        .value_kind:     global_buffer
      - .actual_access:  write_only
        .address_space:  global
        .offset:         144
        .size:           8
        .value_kind:     global_buffer
      - .offset:         152
        .size:           4
        .value_kind:     by_value
      - .offset:         156
        .size:           4
        .value_kind:     by_value
      - .offset:         160
        .size:           4
        .value_kind:     by_value
      - .offset:         164
        .size:           4
        .value_kind:     by_value
      - .offset:         168
        .size:           1
        .value_kind:     by_value
      - .offset:         169
        .size:           1
        .value_kind:     by_value
      - .offset:         170
        .size:           1
        .value_kind:     by_value
    .group_segment_fixed_size: 0
    .kernarg_segment_align: 8
    .kernarg_segment_size: 172
    .language:       OpenCL C
    .language_version:
      - 2
      - 0
    .max_flat_workgroup_size: 256
    .name:           _ZN9rocsparseL30bsrgemm_fill_block_per_row_2x2ILj256ELj16ELj256ELj137EllfEEv20rocsparse_direction_T4_S2_PKS2_S4_NS_24const_host_device_scalarIT5_EEPKT3_S4_PKS6_SA_S4_SC_S7_SA_S4_SC_SA_PS2_PS6_21rocsparse_index_base_SF_SF_SF_bbb
    .private_segment_fixed_size: 0
    .sgpr_count:     65
    .sgpr_spill_count: 0
    .symbol:         _ZN9rocsparseL30bsrgemm_fill_block_per_row_2x2ILj256ELj16ELj256ELj137EllfEEv20rocsparse_direction_T4_S2_PKS2_S4_NS_24const_host_device_scalarIT5_EEPKT3_S4_PKS6_SA_S4_SC_S7_SA_S4_SC_SA_PS2_PS6_21rocsparse_index_base_SF_SF_SF_bbb.kd
    .uniform_work_group_size: 1
    .uses_dynamic_stack: false
    .vgpr_count:     40
    .vgpr_spill_count: 0
    .wavefront_size: 64
  - .agpr_count:     0
    .args:
      - .offset:         0
        .size:           4
        .value_kind:     by_value
      - .offset:         8
        .size:           8
        .value_kind:     by_value
      - .offset:         16
        .size:           8
        .value_kind:     by_value
      - .actual_access:  read_only
        .address_space:  global
        .offset:         24
        .size:           8
        .value_kind:     global_buffer
      - .actual_access:  read_only
        .address_space:  global
        .offset:         32
        .size:           8
        .value_kind:     global_buffer
      - .offset:         40
        .size:           8
        .value_kind:     by_value
      - .actual_access:  read_only
        .address_space:  global
        .offset:         48
        .size:           8
        .value_kind:     global_buffer
      - .actual_access:  read_only
        .address_space:  global
        .offset:         56
        .size:           8
        .value_kind:     global_buffer
      - .actual_access:  read_only
        .address_space:  global
        .offset:         64
        .size:           8
        .value_kind:     global_buffer
      - .actual_access:  read_only
        .address_space:  global
        .offset:         72
        .size:           8
        .value_kind:     global_buffer
      - .actual_access:  read_only
        .address_space:  global
        .offset:         80
        .size:           8
        .value_kind:     global_buffer
      - .actual_access:  read_only
        .address_space:  global
        .offset:         88
        .size:           8
        .value_kind:     global_buffer
      - .offset:         96
        .size:           8
        .value_kind:     by_value
      - .actual_access:  read_only
        .address_space:  global
        .offset:         104
        .size:           8
        .value_kind:     global_buffer
      - .actual_access:  read_only
        .address_space:  global
        .offset:         112
        .size:           8
        .value_kind:     global_buffer
      - .actual_access:  read_only
        .address_space:  global
        .offset:         120
        .size:           8
        .value_kind:     global_buffer
      - .actual_access:  read_only
        .address_space:  global
        .offset:         128
        .size:           8
        .value_kind:     global_buffer
      - .actual_access:  write_only
        .address_space:  global
        .offset:         136
        .size:           8
        .value_kind:     global_buffer
      - .actual_access:  write_only
        .address_space:  global
        .offset:         144
        .size:           8
        .value_kind:     global_buffer
      - .offset:         152
        .size:           4
        .value_kind:     by_value
      - .offset:         156
        .size:           4
        .value_kind:     by_value
      - .offset:         160
        .size:           4
        .value_kind:     by_value
      - .offset:         164
        .size:           4
        .value_kind:     by_value
      - .offset:         168
        .size:           1
        .value_kind:     by_value
      - .offset:         169
        .size:           1
        .value_kind:     by_value
      - .offset:         170
        .size:           1
        .value_kind:     by_value
    .group_segment_fixed_size: 0
    .kernarg_segment_align: 8
    .kernarg_segment_size: 172
    .language:       OpenCL C
    .language_version:
      - 2
      - 0
    .max_flat_workgroup_size: 256
    .name:           _ZN9rocsparseL30bsrgemm_fill_block_per_row_2x2ILj256ELj16ELj512ELj137EllfEEv20rocsparse_direction_T4_S2_PKS2_S4_NS_24const_host_device_scalarIT5_EEPKT3_S4_PKS6_SA_S4_SC_S7_SA_S4_SC_SA_PS2_PS6_21rocsparse_index_base_SF_SF_SF_bbb
    .private_segment_fixed_size: 0
    .sgpr_count:     65
    .sgpr_spill_count: 0
    .symbol:         _ZN9rocsparseL30bsrgemm_fill_block_per_row_2x2ILj256ELj16ELj512ELj137EllfEEv20rocsparse_direction_T4_S2_PKS2_S4_NS_24const_host_device_scalarIT5_EEPKT3_S4_PKS6_SA_S4_SC_S7_SA_S4_SC_SA_PS2_PS6_21rocsparse_index_base_SF_SF_SF_bbb.kd
    .uniform_work_group_size: 1
    .uses_dynamic_stack: false
    .vgpr_count:     38
    .vgpr_spill_count: 0
    .wavefront_size: 64
  - .agpr_count:     0
    .args:
      - .offset:         0
        .size:           4
        .value_kind:     by_value
      - .offset:         8
        .size:           8
        .value_kind:     by_value
      - .offset:         16
        .size:           8
        .value_kind:     by_value
      - .actual_access:  read_only
        .address_space:  global
        .offset:         24
        .size:           8
        .value_kind:     global_buffer
      - .actual_access:  read_only
        .address_space:  global
        .offset:         32
        .size:           8
        .value_kind:     global_buffer
      - .offset:         40
        .size:           8
        .value_kind:     by_value
      - .actual_access:  read_only
        .address_space:  global
        .offset:         48
        .size:           8
        .value_kind:     global_buffer
      - .actual_access:  read_only
        .address_space:  global
        .offset:         56
        .size:           8
        .value_kind:     global_buffer
      - .actual_access:  read_only
        .address_space:  global
        .offset:         64
        .size:           8
        .value_kind:     global_buffer
      - .actual_access:  read_only
        .address_space:  global
        .offset:         72
        .size:           8
        .value_kind:     global_buffer
      - .actual_access:  read_only
        .address_space:  global
        .offset:         80
        .size:           8
        .value_kind:     global_buffer
      - .actual_access:  read_only
        .address_space:  global
        .offset:         88
        .size:           8
        .value_kind:     global_buffer
      - .offset:         96
        .size:           8
        .value_kind:     by_value
      - .actual_access:  read_only
        .address_space:  global
        .offset:         104
        .size:           8
        .value_kind:     global_buffer
      - .actual_access:  read_only
        .address_space:  global
        .offset:         112
        .size:           8
        .value_kind:     global_buffer
      - .actual_access:  read_only
        .address_space:  global
        .offset:         120
        .size:           8
        .value_kind:     global_buffer
      - .actual_access:  read_only
        .address_space:  global
        .offset:         128
        .size:           8
        .value_kind:     global_buffer
      - .actual_access:  write_only
        .address_space:  global
        .offset:         136
        .size:           8
        .value_kind:     global_buffer
      - .actual_access:  write_only
        .address_space:  global
        .offset:         144
        .size:           8
        .value_kind:     global_buffer
      - .address_space:  global
        .offset:         152
        .size:           8
        .value_kind:     global_buffer
      - .offset:         160
        .size:           4
        .value_kind:     by_value
      - .offset:         164
        .size:           4
        .value_kind:     by_value
      - .offset:         168
        .size:           4
        .value_kind:     by_value
      - .offset:         172
        .size:           4
        .value_kind:     by_value
      - .offset:         176
        .size:           1
        .value_kind:     by_value
      - .offset:         177
        .size:           1
        .value_kind:     by_value
      - .offset:         178
        .size:           1
        .value_kind:     by_value
    .group_segment_fixed_size: 6152
    .kernarg_segment_align: 8
    .kernarg_segment_size: 180
    .language:       OpenCL C
    .language_version:
      - 2
      - 0
    .max_flat_workgroup_size: 256
    .name:           _ZN9rocsparseL38bsrgemm_block_per_row_atomic_multipassILj256ELj256ELj2EllfEEv20rocsparse_direction_T3_S2_PKS2_S4_NS_24const_host_device_scalarIT4_EEPKT2_S4_PKS6_SA_S4_SC_S7_SA_S4_SC_SA_PS2_PS6_PS8_21rocsparse_index_base_SG_SG_SG_bbb
    .private_segment_fixed_size: 0
    .sgpr_count:     100
    .sgpr_spill_count: 12
    .symbol:         _ZN9rocsparseL38bsrgemm_block_per_row_atomic_multipassILj256ELj256ELj2EllfEEv20rocsparse_direction_T3_S2_PKS2_S4_NS_24const_host_device_scalarIT4_EEPKT2_S4_PKS6_SA_S4_SC_S7_SA_S4_SC_SA_PS2_PS6_PS8_21rocsparse_index_base_SG_SG_SG_bbb.kd
    .uniform_work_group_size: 1
    .uses_dynamic_stack: false
    .vgpr_count:     63
    .vgpr_spill_count: 0
    .wavefront_size: 64
  - .agpr_count:     0
    .args:
      - .offset:         0
        .size:           4
        .value_kind:     by_value
      - .offset:         8
        .size:           8
        .value_kind:     by_value
      - .offset:         16
        .size:           8
        .value_kind:     by_value
      - .offset:         24
        .size:           8
        .value_kind:     by_value
      - .actual_access:  read_only
        .address_space:  global
        .offset:         32
        .size:           8
        .value_kind:     global_buffer
      - .actual_access:  read_only
        .address_space:  global
        .offset:         40
        .size:           8
        .value_kind:     global_buffer
      - .offset:         48
        .size:           8
        .value_kind:     by_value
      - .actual_access:  read_only
        .address_space:  global
        .offset:         56
        .size:           8
        .value_kind:     global_buffer
      - .actual_access:  read_only
        .address_space:  global
        .offset:         64
        .size:           8
        .value_kind:     global_buffer
      - .actual_access:  read_only
        .address_space:  global
        .offset:         72
        .size:           8
        .value_kind:     global_buffer
      - .actual_access:  read_only
        .address_space:  global
        .offset:         80
        .size:           8
        .value_kind:     global_buffer
      - .actual_access:  read_only
        .address_space:  global
        .offset:         88
        .size:           8
        .value_kind:     global_buffer
      - .actual_access:  read_only
        .address_space:  global
        .offset:         96
        .size:           8
        .value_kind:     global_buffer
      - .offset:         104
        .size:           8
        .value_kind:     by_value
      - .actual_access:  read_only
        .address_space:  global
        .offset:         112
        .size:           8
        .value_kind:     global_buffer
      - .actual_access:  read_only
        .address_space:  global
        .offset:         120
        .size:           8
        .value_kind:     global_buffer
      - .actual_access:  read_only
        .address_space:  global
        .offset:         128
        .size:           8
        .value_kind:     global_buffer
      - .actual_access:  read_only
        .address_space:  global
        .offset:         136
        .size:           8
        .value_kind:     global_buffer
      - .actual_access:  write_only
        .address_space:  global
        .offset:         144
        .size:           8
        .value_kind:     global_buffer
      - .actual_access:  write_only
        .address_space:  global
        .offset:         152
        .size:           8
        .value_kind:     global_buffer
      - .offset:         160
        .size:           4
        .value_kind:     by_value
      - .offset:         164
        .size:           4
        .value_kind:     by_value
      - .offset:         168
        .size:           4
        .value_kind:     by_value
      - .offset:         172
        .size:           4
        .value_kind:     by_value
      - .offset:         176
        .size:           1
        .value_kind:     by_value
      - .offset:         177
        .size:           1
        .value_kind:     by_value
      - .offset:         178
        .size:           1
        .value_kind:     by_value
    .group_segment_fixed_size: 2304
    .kernarg_segment_align: 8
    .kernarg_segment_size: 180
    .language:       OpenCL C
    .language_version:
      - 2
      - 0
    .max_flat_workgroup_size: 256
    .name:           _ZN9rocsparseL23bsrgemm_fill_wf_per_rowILj256ELj64ELj8ELj137ELj4EllfEEv20rocsparse_direction_T5_S2_S2_PKS2_S4_NS_24const_host_device_scalarIT6_EEPKT4_S4_PKS6_SA_S4_SC_S7_SA_S4_SC_SA_PS2_PS6_21rocsparse_index_base_SF_SF_SF_bbb
    .private_segment_fixed_size: 0
    .sgpr_count:     67
    .sgpr_spill_count: 0
    .symbol:         _ZN9rocsparseL23bsrgemm_fill_wf_per_rowILj256ELj64ELj8ELj137ELj4EllfEEv20rocsparse_direction_T5_S2_S2_PKS2_S4_NS_24const_host_device_scalarIT6_EEPKT4_S4_PKS6_SA_S4_SC_S7_SA_S4_SC_SA_PS2_PS6_21rocsparse_index_base_SF_SF_SF_bbb.kd
    .uniform_work_group_size: 1
    .uses_dynamic_stack: false
    .vgpr_count:     44
    .vgpr_spill_count: 0
    .wavefront_size: 64
  - .agpr_count:     0
    .args:
      - .offset:         0
        .size:           4
        .value_kind:     by_value
      - .offset:         8
        .size:           8
        .value_kind:     by_value
      - .offset:         16
        .size:           8
        .value_kind:     by_value
      - .offset:         24
        .size:           8
        .value_kind:     by_value
      - .actual_access:  read_only
        .address_space:  global
        .offset:         32
        .size:           8
        .value_kind:     global_buffer
      - .actual_access:  read_only
        .address_space:  global
        .offset:         40
        .size:           8
        .value_kind:     global_buffer
      - .offset:         48
        .size:           8
        .value_kind:     by_value
      - .actual_access:  read_only
        .address_space:  global
        .offset:         56
        .size:           8
        .value_kind:     global_buffer
      - .actual_access:  read_only
        .address_space:  global
        .offset:         64
        .size:           8
        .value_kind:     global_buffer
      - .actual_access:  read_only
        .address_space:  global
        .offset:         72
        .size:           8
        .value_kind:     global_buffer
      - .actual_access:  read_only
        .address_space:  global
        .offset:         80
        .size:           8
        .value_kind:     global_buffer
      - .actual_access:  read_only
        .address_space:  global
        .offset:         88
        .size:           8
        .value_kind:     global_buffer
      - .actual_access:  read_only
        .address_space:  global
        .offset:         96
        .size:           8
        .value_kind:     global_buffer
      - .offset:         104
        .size:           8
        .value_kind:     by_value
      - .actual_access:  read_only
        .address_space:  global
        .offset:         112
        .size:           8
        .value_kind:     global_buffer
      - .actual_access:  read_only
        .address_space:  global
        .offset:         120
        .size:           8
        .value_kind:     global_buffer
      - .actual_access:  read_only
        .address_space:  global
        .offset:         128
        .size:           8
        .value_kind:     global_buffer
      - .actual_access:  read_only
        .address_space:  global
        .offset:         136
        .size:           8
        .value_kind:     global_buffer
      - .actual_access:  write_only
        .address_space:  global
        .offset:         144
        .size:           8
        .value_kind:     global_buffer
      - .actual_access:  write_only
        .address_space:  global
        .offset:         152
        .size:           8
        .value_kind:     global_buffer
      - .offset:         160
        .size:           4
        .value_kind:     by_value
      - .offset:         164
        .size:           4
        .value_kind:     by_value
      - .offset:         168
        .size:           4
        .value_kind:     by_value
      - .offset:         172
        .size:           4
        .value_kind:     by_value
      - .offset:         176
        .size:           1
        .value_kind:     by_value
      - .offset:         177
        .size:           1
        .value_kind:     by_value
      - .offset:         178
        .size:           1
        .value_kind:     by_value
    .group_segment_fixed_size: 4608
    .kernarg_segment_align: 8
    .kernarg_segment_size: 180
    .language:       OpenCL C
    .language_version:
      - 2
      - 0
    .max_flat_workgroup_size: 256
    .name:           _ZN9rocsparseL23bsrgemm_fill_wf_per_rowILj256ELj64ELj16ELj137ELj4EllfEEv20rocsparse_direction_T5_S2_S2_PKS2_S4_NS_24const_host_device_scalarIT6_EEPKT4_S4_PKS6_SA_S4_SC_S7_SA_S4_SC_SA_PS2_PS6_21rocsparse_index_base_SF_SF_SF_bbb
    .private_segment_fixed_size: 0
    .sgpr_count:     67
    .sgpr_spill_count: 0
    .symbol:         _ZN9rocsparseL23bsrgemm_fill_wf_per_rowILj256ELj64ELj16ELj137ELj4EllfEEv20rocsparse_direction_T5_S2_S2_PKS2_S4_NS_24const_host_device_scalarIT6_EEPKT4_S4_PKS6_SA_S4_SC_S7_SA_S4_SC_SA_PS2_PS6_21rocsparse_index_base_SF_SF_SF_bbb.kd
    .uniform_work_group_size: 1
    .uses_dynamic_stack: false
    .vgpr_count:     44
    .vgpr_spill_count: 0
    .wavefront_size: 64
  - .agpr_count:     0
    .args:
      - .offset:         0
        .size:           4
        .value_kind:     by_value
      - .offset:         8
        .size:           8
        .value_kind:     by_value
      - .offset:         16
        .size:           8
        .value_kind:     by_value
      - .actual_access:  read_only
        .address_space:  global
        .offset:         24
        .size:           8
        .value_kind:     global_buffer
      - .actual_access:  read_only
        .address_space:  global
        .offset:         32
        .size:           8
        .value_kind:     global_buffer
      - .offset:         40
        .size:           8
        .value_kind:     by_value
      - .actual_access:  read_only
        .address_space:  global
        .offset:         48
        .size:           8
        .value_kind:     global_buffer
      - .actual_access:  read_only
        .address_space:  global
        .offset:         56
        .size:           8
        .value_kind:     global_buffer
      - .actual_access:  read_only
        .address_space:  global
        .offset:         64
        .size:           8
        .value_kind:     global_buffer
      - .actual_access:  read_only
        .address_space:  global
        .offset:         72
        .size:           8
        .value_kind:     global_buffer
      - .actual_access:  read_only
        .address_space:  global
        .offset:         80
        .size:           8
        .value_kind:     global_buffer
      - .actual_access:  read_only
        .address_space:  global
        .offset:         88
        .size:           8
        .value_kind:     global_buffer
      - .offset:         96
        .size:           8
        .value_kind:     by_value
      - .actual_access:  read_only
        .address_space:  global
        .offset:         104
        .size:           8
        .value_kind:     global_buffer
      - .actual_access:  read_only
        .address_space:  global
        .offset:         112
        .size:           8
        .value_kind:     global_buffer
      - .actual_access:  read_only
        .address_space:  global
        .offset:         120
        .size:           8
        .value_kind:     global_buffer
      - .actual_access:  read_only
        .address_space:  global
        .offset:         128
        .size:           8
        .value_kind:     global_buffer
      - .actual_access:  write_only
        .address_space:  global
        .offset:         136
        .size:           8
        .value_kind:     global_buffer
      - .actual_access:  write_only
        .address_space:  global
        .offset:         144
        .size:           8
        .value_kind:     global_buffer
      - .address_space:  global
        .offset:         152
        .size:           8
        .value_kind:     global_buffer
      - .offset:         160
        .size:           4
        .value_kind:     by_value
      - .offset:         164
        .size:           4
        .value_kind:     by_value
      - .offset:         168
        .size:           4
        .value_kind:     by_value
      - .offset:         172
        .size:           4
        .value_kind:     by_value
      - .offset:         176
        .size:           1
        .value_kind:     by_value
      - .offset:         177
        .size:           1
        .value_kind:     by_value
      - .offset:         178
        .size:           1
        .value_kind:     by_value
    .group_segment_fixed_size: 3208
    .kernarg_segment_align: 8
    .kernarg_segment_size: 180
    .language:       OpenCL C
    .language_version:
      - 2
      - 0
    .max_flat_workgroup_size: 256
    .name:           _ZN9rocsparseL38bsrgemm_block_per_row_atomic_multipassILj256ELj32ELj4EllfEEv20rocsparse_direction_T3_S2_PKS2_S4_NS_24const_host_device_scalarIT4_EEPKT2_S4_PKS6_SA_S4_SC_S7_SA_S4_SC_SA_PS2_PS6_PS8_21rocsparse_index_base_SG_SG_SG_bbb
    .private_segment_fixed_size: 0
    .sgpr_count:     98
    .sgpr_spill_count: 0
    .symbol:         _ZN9rocsparseL38bsrgemm_block_per_row_atomic_multipassILj256ELj32ELj4EllfEEv20rocsparse_direction_T3_S2_PKS2_S4_NS_24const_host_device_scalarIT4_EEPKT2_S4_PKS6_SA_S4_SC_S7_SA_S4_SC_SA_PS2_PS6_PS8_21rocsparse_index_base_SG_SG_SG_bbb.kd
    .uniform_work_group_size: 1
    .uses_dynamic_stack: false
    .vgpr_count:     59
    .vgpr_spill_count: 0
    .wavefront_size: 64
  - .agpr_count:     0
    .args:
      - .offset:         0
        .size:           4
        .value_kind:     by_value
      - .offset:         8
        .size:           8
        .value_kind:     by_value
      - .offset:         16
        .size:           8
        .value_kind:     by_value
      - .actual_access:  read_only
        .address_space:  global
        .offset:         24
        .size:           8
        .value_kind:     global_buffer
      - .actual_access:  read_only
        .address_space:  global
        .offset:         32
        .size:           8
        .value_kind:     global_buffer
      - .offset:         40
        .size:           8
        .value_kind:     by_value
      - .actual_access:  read_only
        .address_space:  global
        .offset:         48
        .size:           8
        .value_kind:     global_buffer
      - .actual_access:  read_only
        .address_space:  global
        .offset:         56
        .size:           8
        .value_kind:     global_buffer
      - .actual_access:  read_only
        .address_space:  global
        .offset:         64
        .size:           8
        .value_kind:     global_buffer
      - .actual_access:  read_only
        .address_space:  global
        .offset:         72
        .size:           8
        .value_kind:     global_buffer
      - .actual_access:  read_only
        .address_space:  global
        .offset:         80
        .size:           8
        .value_kind:     global_buffer
      - .actual_access:  read_only
        .address_space:  global
        .offset:         88
        .size:           8
        .value_kind:     global_buffer
      - .offset:         96
        .size:           8
        .value_kind:     by_value
      - .actual_access:  read_only
        .address_space:  global
        .offset:         104
        .size:           8
        .value_kind:     global_buffer
      - .actual_access:  read_only
        .address_space:  global
        .offset:         112
        .size:           8
        .value_kind:     global_buffer
      - .actual_access:  read_only
        .address_space:  global
        .offset:         120
        .size:           8
        .value_kind:     global_buffer
      - .actual_access:  read_only
        .address_space:  global
        .offset:         128
        .size:           8
        .value_kind:     global_buffer
      - .actual_access:  write_only
        .address_space:  global
        .offset:         136
        .size:           8
        .value_kind:     global_buffer
      - .actual_access:  write_only
        .address_space:  global
        .offset:         144
        .size:           8
        .value_kind:     global_buffer
      - .address_space:  global
        .offset:         152
        .size:           8
        .value_kind:     global_buffer
      - .offset:         160
        .size:           4
        .value_kind:     by_value
      - .offset:         164
        .size:           4
        .value_kind:     by_value
      - .offset:         168
        .size:           4
        .value_kind:     by_value
      - .offset:         172
        .size:           4
        .value_kind:     by_value
      - .offset:         176
        .size:           1
        .value_kind:     by_value
      - .offset:         177
        .size:           1
        .value_kind:     by_value
      - .offset:         178
        .size:           1
        .value_kind:     by_value
    .group_segment_fixed_size: 5384
    .kernarg_segment_align: 8
    .kernarg_segment_size: 180
    .language:       OpenCL C
    .language_version:
      - 2
      - 0
    .max_flat_workgroup_size: 256
    .name:           _ZN9rocsparseL38bsrgemm_block_per_row_atomic_multipassILj256ELj64ELj4EllfEEv20rocsparse_direction_T3_S2_PKS2_S4_NS_24const_host_device_scalarIT4_EEPKT2_S4_PKS6_SA_S4_SC_S7_SA_S4_SC_SA_PS2_PS6_PS8_21rocsparse_index_base_SG_SG_SG_bbb
    .private_segment_fixed_size: 0
    .sgpr_count:     98
    .sgpr_spill_count: 0
    .symbol:         _ZN9rocsparseL38bsrgemm_block_per_row_atomic_multipassILj256ELj64ELj4EllfEEv20rocsparse_direction_T3_S2_PKS2_S4_NS_24const_host_device_scalarIT4_EEPKT2_S4_PKS6_SA_S4_SC_S7_SA_S4_SC_SA_PS2_PS6_PS8_21rocsparse_index_base_SG_SG_SG_bbb.kd
    .uniform_work_group_size: 1
    .uses_dynamic_stack: false
    .vgpr_count:     60
    .vgpr_spill_count: 0
    .wavefront_size: 64
  - .agpr_count:     0
    .args:
      - .offset:         0
        .size:           4
        .value_kind:     by_value
      - .offset:         8
        .size:           8
        .value_kind:     by_value
      - .offset:         16
        .size:           8
        .value_kind:     by_value
      - .actual_access:  read_only
        .address_space:  global
        .offset:         24
        .size:           8
        .value_kind:     global_buffer
      - .actual_access:  read_only
        .address_space:  global
        .offset:         32
        .size:           8
        .value_kind:     global_buffer
      - .offset:         40
        .size:           8
        .value_kind:     by_value
      - .actual_access:  read_only
        .address_space:  global
        .offset:         48
        .size:           8
        .value_kind:     global_buffer
      - .actual_access:  read_only
        .address_space:  global
        .offset:         56
        .size:           8
        .value_kind:     global_buffer
      - .actual_access:  read_only
        .address_space:  global
        .offset:         64
        .size:           8
        .value_kind:     global_buffer
      - .actual_access:  read_only
        .address_space:  global
        .offset:         72
        .size:           8
        .value_kind:     global_buffer
      - .actual_access:  read_only
        .address_space:  global
        .offset:         80
        .size:           8
        .value_kind:     global_buffer
      - .actual_access:  read_only
        .address_space:  global
        .offset:         88
        .size:           8
        .value_kind:     global_buffer
      - .offset:         96
        .size:           8
        .value_kind:     by_value
      - .actual_access:  read_only
        .address_space:  global
        .offset:         104
        .size:           8
        .value_kind:     global_buffer
      - .actual_access:  read_only
        .address_space:  global
        .offset:         112
        .size:           8
        .value_kind:     global_buffer
      - .actual_access:  read_only
        .address_space:  global
        .offset:         120
        .size:           8
        .value_kind:     global_buffer
      - .actual_access:  read_only
        .address_space:  global
        .offset:         128
        .size:           8
        .value_kind:     global_buffer
      - .actual_access:  write_only
        .address_space:  global
        .offset:         136
        .size:           8
        .value_kind:     global_buffer
      - .actual_access:  write_only
        .address_space:  global
        .offset:         144
        .size:           8
        .value_kind:     global_buffer
      - .address_space:  global
        .offset:         152
        .size:           8
        .value_kind:     global_buffer
      - .offset:         160
        .size:           4
        .value_kind:     by_value
      - .offset:         164
        .size:           4
        .value_kind:     by_value
      - .offset:         168
        .size:           4
        .value_kind:     by_value
      - .offset:         172
        .size:           4
        .value_kind:     by_value
      - .offset:         176
        .size:           1
        .value_kind:     by_value
      - .offset:         177
        .size:           1
        .value_kind:     by_value
      - .offset:         178
        .size:           1
        .value_kind:     by_value
    .group_segment_fixed_size: 9736
    .kernarg_segment_align: 8
    .kernarg_segment_size: 180
    .language:       OpenCL C
    .language_version:
      - 2
      - 0
    .max_flat_workgroup_size: 256
    .name:           _ZN9rocsparseL38bsrgemm_block_per_row_atomic_multipassILj256ELj128ELj4EllfEEv20rocsparse_direction_T3_S2_PKS2_S4_NS_24const_host_device_scalarIT4_EEPKT2_S4_PKS6_SA_S4_SC_S7_SA_S4_SC_SA_PS2_PS6_PS8_21rocsparse_index_base_SG_SG_SG_bbb
    .private_segment_fixed_size: 0
    .sgpr_count:     100
    .sgpr_spill_count: 8
    .symbol:         _ZN9rocsparseL38bsrgemm_block_per_row_atomic_multipassILj256ELj128ELj4EllfEEv20rocsparse_direction_T3_S2_PKS2_S4_NS_24const_host_device_scalarIT4_EEPKT2_S4_PKS6_SA_S4_SC_S7_SA_S4_SC_SA_PS2_PS6_PS8_21rocsparse_index_base_SG_SG_SG_bbb.kd
    .uniform_work_group_size: 1
    .uses_dynamic_stack: false
    .vgpr_count:     62
    .vgpr_spill_count: 0
    .wavefront_size: 64
  - .agpr_count:     0
    .args:
      - .offset:         0
        .size:           4
        .value_kind:     by_value
      - .offset:         8
        .size:           8
        .value_kind:     by_value
      - .offset:         16
        .size:           8
        .value_kind:     by_value
      - .offset:         24
        .size:           8
        .value_kind:     by_value
      - .actual_access:  read_only
        .address_space:  global
        .offset:         32
        .size:           8
        .value_kind:     global_buffer
      - .actual_access:  read_only
        .address_space:  global
        .offset:         40
        .size:           8
        .value_kind:     global_buffer
      - .offset:         48
        .size:           8
        .value_kind:     by_value
      - .actual_access:  read_only
        .address_space:  global
        .offset:         56
        .size:           8
        .value_kind:     global_buffer
      - .actual_access:  read_only
        .address_space:  global
        .offset:         64
        .size:           8
        .value_kind:     global_buffer
      - .actual_access:  read_only
        .address_space:  global
        .offset:         72
        .size:           8
        .value_kind:     global_buffer
      - .actual_access:  read_only
        .address_space:  global
        .offset:         80
        .size:           8
        .value_kind:     global_buffer
      - .actual_access:  read_only
        .address_space:  global
        .offset:         88
        .size:           8
        .value_kind:     global_buffer
      - .actual_access:  read_only
        .address_space:  global
        .offset:         96
        .size:           8
        .value_kind:     global_buffer
      - .offset:         104
        .size:           8
        .value_kind:     by_value
      - .actual_access:  read_only
        .address_space:  global
        .offset:         112
        .size:           8
        .value_kind:     global_buffer
      - .actual_access:  read_only
        .address_space:  global
        .offset:         120
        .size:           8
        .value_kind:     global_buffer
      - .actual_access:  read_only
        .address_space:  global
        .offset:         128
        .size:           8
        .value_kind:     global_buffer
      - .actual_access:  read_only
        .address_space:  global
        .offset:         136
        .size:           8
        .value_kind:     global_buffer
      - .actual_access:  write_only
        .address_space:  global
        .offset:         144
        .size:           8
        .value_kind:     global_buffer
      - .actual_access:  write_only
        .address_space:  global
        .offset:         152
        .size:           8
        .value_kind:     global_buffer
      - .offset:         160
        .size:           4
        .value_kind:     by_value
      - .offset:         164
        .size:           4
        .value_kind:     by_value
      - .offset:         168
        .size:           4
        .value_kind:     by_value
      - .offset:         172
        .size:           4
        .value_kind:     by_value
      - .offset:         176
        .size:           1
        .value_kind:     by_value
      - .offset:         177
        .size:           1
        .value_kind:     by_value
      - .offset:         178
        .size:           1
        .value_kind:     by_value
    .group_segment_fixed_size: 8448
    .kernarg_segment_align: 8
    .kernarg_segment_size: 180
    .language:       OpenCL C
    .language_version:
      - 2
      - 0
    .max_flat_workgroup_size: 256
    .name:           _ZN9rocsparseL23bsrgemm_fill_wf_per_rowILj256ELj64ELj8ELj137ELj8EllfEEv20rocsparse_direction_T5_S2_S2_PKS2_S4_NS_24const_host_device_scalarIT6_EEPKT4_S4_PKS6_SA_S4_SC_S7_SA_S4_SC_SA_PS2_PS6_21rocsparse_index_base_SF_SF_SF_bbb
    .private_segment_fixed_size: 0
    .sgpr_count:     65
    .sgpr_spill_count: 0
    .symbol:         _ZN9rocsparseL23bsrgemm_fill_wf_per_rowILj256ELj64ELj8ELj137ELj8EllfEEv20rocsparse_direction_T5_S2_S2_PKS2_S4_NS_24const_host_device_scalarIT6_EEPKT4_S4_PKS6_SA_S4_SC_S7_SA_S4_SC_SA_PS2_PS6_21rocsparse_index_base_SF_SF_SF_bbb.kd
    .uniform_work_group_size: 1
    .uses_dynamic_stack: false
    .vgpr_count:     44
    .vgpr_spill_count: 0
    .wavefront_size: 64
  - .agpr_count:     0
    .args:
      - .offset:         0
        .size:           4
        .value_kind:     by_value
      - .offset:         8
        .size:           8
        .value_kind:     by_value
      - .offset:         16
        .size:           8
        .value_kind:     by_value
      - .actual_access:  read_only
        .address_space:  global
        .offset:         24
        .size:           8
        .value_kind:     global_buffer
      - .actual_access:  read_only
        .address_space:  global
        .offset:         32
        .size:           8
        .value_kind:     global_buffer
      - .offset:         40
        .size:           8
        .value_kind:     by_value
      - .actual_access:  read_only
        .address_space:  global
        .offset:         48
        .size:           8
        .value_kind:     global_buffer
      - .actual_access:  read_only
        .address_space:  global
        .offset:         56
        .size:           8
        .value_kind:     global_buffer
      - .actual_access:  read_only
        .address_space:  global
        .offset:         64
        .size:           8
        .value_kind:     global_buffer
      - .actual_access:  read_only
        .address_space:  global
        .offset:         72
        .size:           8
        .value_kind:     global_buffer
      - .actual_access:  read_only
        .address_space:  global
        .offset:         80
        .size:           8
        .value_kind:     global_buffer
      - .actual_access:  read_only
        .address_space:  global
        .offset:         88
        .size:           8
        .value_kind:     global_buffer
      - .offset:         96
        .size:           8
        .value_kind:     by_value
      - .actual_access:  read_only
        .address_space:  global
        .offset:         104
        .size:           8
        .value_kind:     global_buffer
      - .actual_access:  read_only
        .address_space:  global
        .offset:         112
        .size:           8
        .value_kind:     global_buffer
      - .actual_access:  read_only
        .address_space:  global
        .offset:         120
        .size:           8
        .value_kind:     global_buffer
      - .actual_access:  read_only
        .address_space:  global
        .offset:         128
        .size:           8
        .value_kind:     global_buffer
      - .actual_access:  write_only
        .address_space:  global
        .offset:         136
        .size:           8
        .value_kind:     global_buffer
      - .actual_access:  write_only
        .address_space:  global
        .offset:         144
        .size:           8
        .value_kind:     global_buffer
      - .address_space:  global
        .offset:         152
        .size:           8
        .value_kind:     global_buffer
      - .offset:         160
        .size:           4
        .value_kind:     by_value
      - .offset:         164
        .size:           4
        .value_kind:     by_value
      - .offset:         168
        .size:           4
        .value_kind:     by_value
      - .offset:         172
        .size:           4
        .value_kind:     by_value
      - .offset:         176
        .size:           1
        .value_kind:     by_value
      - .offset:         177
        .size:           1
        .value_kind:     by_value
      - .offset:         178
        .size:           1
        .value_kind:     by_value
    .group_segment_fixed_size: 5192
    .kernarg_segment_align: 8
    .kernarg_segment_size: 180
    .language:       OpenCL C
    .language_version:
      - 2
      - 0
    .max_flat_workgroup_size: 256
    .name:           _ZN9rocsparseL38bsrgemm_block_per_row_atomic_multipassILj256ELj16ELj8EllfEEv20rocsparse_direction_T3_S2_PKS2_S4_NS_24const_host_device_scalarIT4_EEPKT2_S4_PKS6_SA_S4_SC_S7_SA_S4_SC_SA_PS2_PS6_PS8_21rocsparse_index_base_SG_SG_SG_bbb
    .private_segment_fixed_size: 0
    .sgpr_count:     94
    .sgpr_spill_count: 0
    .symbol:         _ZN9rocsparseL38bsrgemm_block_per_row_atomic_multipassILj256ELj16ELj8EllfEEv20rocsparse_direction_T3_S2_PKS2_S4_NS_24const_host_device_scalarIT4_EEPKT2_S4_PKS6_SA_S4_SC_S7_SA_S4_SC_SA_PS2_PS6_PS8_21rocsparse_index_base_SG_SG_SG_bbb.kd
    .uniform_work_group_size: 1
    .uses_dynamic_stack: false
    .vgpr_count:     58
    .vgpr_spill_count: 0
    .wavefront_size: 64
  - .agpr_count:     0
    .args:
      - .offset:         0
        .size:           4
        .value_kind:     by_value
      - .offset:         8
        .size:           8
        .value_kind:     by_value
      - .offset:         16
        .size:           8
        .value_kind:     by_value
      - .actual_access:  read_only
        .address_space:  global
        .offset:         24
        .size:           8
        .value_kind:     global_buffer
      - .actual_access:  read_only
        .address_space:  global
        .offset:         32
        .size:           8
        .value_kind:     global_buffer
      - .offset:         40
        .size:           8
        .value_kind:     by_value
      - .actual_access:  read_only
        .address_space:  global
        .offset:         48
        .size:           8
        .value_kind:     global_buffer
      - .actual_access:  read_only
        .address_space:  global
        .offset:         56
        .size:           8
        .value_kind:     global_buffer
      - .actual_access:  read_only
        .address_space:  global
        .offset:         64
        .size:           8
        .value_kind:     global_buffer
      - .actual_access:  read_only
        .address_space:  global
        .offset:         72
        .size:           8
        .value_kind:     global_buffer
      - .actual_access:  read_only
        .address_space:  global
        .offset:         80
        .size:           8
        .value_kind:     global_buffer
      - .actual_access:  read_only
        .address_space:  global
        .offset:         88
        .size:           8
        .value_kind:     global_buffer
      - .offset:         96
        .size:           8
        .value_kind:     by_value
      - .actual_access:  read_only
        .address_space:  global
        .offset:         104
        .size:           8
        .value_kind:     global_buffer
      - .actual_access:  read_only
        .address_space:  global
        .offset:         112
        .size:           8
        .value_kind:     global_buffer
      - .actual_access:  read_only
        .address_space:  global
        .offset:         120
        .size:           8
        .value_kind:     global_buffer
      - .actual_access:  read_only
        .address_space:  global
        .offset:         128
        .size:           8
        .value_kind:     global_buffer
      - .actual_access:  write_only
        .address_space:  global
        .offset:         136
        .size:           8
        .value_kind:     global_buffer
      - .actual_access:  write_only
        .address_space:  global
        .offset:         144
        .size:           8
        .value_kind:     global_buffer
      - .address_space:  global
        .offset:         152
        .size:           8
        .value_kind:     global_buffer
      - .offset:         160
        .size:           4
        .value_kind:     by_value
      - .offset:         164
        .size:           4
        .value_kind:     by_value
      - .offset:         168
        .size:           4
        .value_kind:     by_value
      - .offset:         172
        .size:           4
        .value_kind:     by_value
      - .offset:         176
        .size:           1
        .value_kind:     by_value
      - .offset:         177
        .size:           1
        .value_kind:     by_value
      - .offset:         178
        .size:           1
        .value_kind:     by_value
    .group_segment_fixed_size: 9352
    .kernarg_segment_align: 8
    .kernarg_segment_size: 180
    .language:       OpenCL C
    .language_version:
      - 2
      - 0
    .max_flat_workgroup_size: 256
    .name:           _ZN9rocsparseL38bsrgemm_block_per_row_atomic_multipassILj256ELj32ELj8EllfEEv20rocsparse_direction_T3_S2_PKS2_S4_NS_24const_host_device_scalarIT4_EEPKT2_S4_PKS6_SA_S4_SC_S7_SA_S4_SC_SA_PS2_PS6_PS8_21rocsparse_index_base_SG_SG_SG_bbb
    .private_segment_fixed_size: 0
    .sgpr_count:     96
    .sgpr_spill_count: 0
    .symbol:         _ZN9rocsparseL38bsrgemm_block_per_row_atomic_multipassILj256ELj32ELj8EllfEEv20rocsparse_direction_T3_S2_PKS2_S4_NS_24const_host_device_scalarIT4_EEPKT2_S4_PKS6_SA_S4_SC_S7_SA_S4_SC_SA_PS2_PS6_PS8_21rocsparse_index_base_SG_SG_SG_bbb.kd
    .uniform_work_group_size: 1
    .uses_dynamic_stack: false
    .vgpr_count:     59
    .vgpr_spill_count: 0
    .wavefront_size: 64
  - .agpr_count:     0
    .args:
      - .offset:         0
        .size:           4
        .value_kind:     by_value
      - .offset:         8
        .size:           8
        .value_kind:     by_value
      - .offset:         16
        .size:           8
        .value_kind:     by_value
      - .actual_access:  read_only
        .address_space:  global
        .offset:         24
        .size:           8
        .value_kind:     global_buffer
      - .actual_access:  read_only
        .address_space:  global
        .offset:         32
        .size:           8
        .value_kind:     global_buffer
      - .offset:         40
        .size:           8
        .value_kind:     by_value
      - .actual_access:  read_only
        .address_space:  global
        .offset:         48
        .size:           8
        .value_kind:     global_buffer
      - .actual_access:  read_only
        .address_space:  global
        .offset:         56
        .size:           8
        .value_kind:     global_buffer
      - .actual_access:  read_only
        .address_space:  global
        .offset:         64
        .size:           8
        .value_kind:     global_buffer
      - .actual_access:  read_only
        .address_space:  global
        .offset:         72
        .size:           8
        .value_kind:     global_buffer
      - .actual_access:  read_only
        .address_space:  global
        .offset:         80
        .size:           8
        .value_kind:     global_buffer
      - .actual_access:  read_only
        .address_space:  global
        .offset:         88
        .size:           8
        .value_kind:     global_buffer
      - .offset:         96
        .size:           8
        .value_kind:     by_value
      - .actual_access:  read_only
        .address_space:  global
        .offset:         104
        .size:           8
        .value_kind:     global_buffer
      - .actual_access:  read_only
        .address_space:  global
        .offset:         112
        .size:           8
        .value_kind:     global_buffer
      - .actual_access:  read_only
        .address_space:  global
        .offset:         120
        .size:           8
        .value_kind:     global_buffer
      - .actual_access:  read_only
        .address_space:  global
        .offset:         128
        .size:           8
        .value_kind:     global_buffer
      - .actual_access:  write_only
        .address_space:  global
        .offset:         136
        .size:           8
        .value_kind:     global_buffer
      - .actual_access:  write_only
        .address_space:  global
        .offset:         144
        .size:           8
        .value_kind:     global_buffer
      - .address_space:  global
        .offset:         152
        .size:           8
        .value_kind:     global_buffer
      - .offset:         160
        .size:           4
        .value_kind:     by_value
      - .offset:         164
        .size:           4
        .value_kind:     by_value
      - .offset:         168
        .size:           4
        .value_kind:     by_value
      - .offset:         172
        .size:           4
        .value_kind:     by_value
      - .offset:         176
        .size:           1
        .value_kind:     by_value
      - .offset:         177
        .size:           1
        .value_kind:     by_value
      - .offset:         178
        .size:           1
        .value_kind:     by_value
    .group_segment_fixed_size: 8200
    .kernarg_segment_align: 8
    .kernarg_segment_size: 180
    .language:       OpenCL C
    .language_version:
      - 2
      - 0
    .max_flat_workgroup_size: 256
    .name:           _ZN9rocsparseL31bsrgemm_block_per_row_multipassILj256ELj8ELj16EllfEEv20rocsparse_direction_T3_S2_PKS2_S4_NS_24const_host_device_scalarIT4_EEPKT2_S4_PKS6_SA_S4_SC_S7_SA_S4_SC_SA_PS2_PS6_PS8_21rocsparse_index_base_SG_SG_SG_bbb
    .private_segment_fixed_size: 0
    .sgpr_count:     84
    .sgpr_spill_count: 0
    .symbol:         _ZN9rocsparseL31bsrgemm_block_per_row_multipassILj256ELj8ELj16EllfEEv20rocsparse_direction_T3_S2_PKS2_S4_NS_24const_host_device_scalarIT4_EEPKT2_S4_PKS6_SA_S4_SC_S7_SA_S4_SC_SA_PS2_PS6_PS8_21rocsparse_index_base_SG_SG_SG_bbb.kd
    .uniform_work_group_size: 1
    .uses_dynamic_stack: false
    .vgpr_count:     44
    .vgpr_spill_count: 0
    .wavefront_size: 64
  - .agpr_count:     0
    .args:
      - .offset:         0
        .size:           4
        .value_kind:     by_value
      - .offset:         8
        .size:           8
        .value_kind:     by_value
      - .offset:         16
        .size:           8
        .value_kind:     by_value
      - .actual_access:  read_only
        .address_space:  global
        .offset:         24
        .size:           8
        .value_kind:     global_buffer
      - .actual_access:  read_only
        .address_space:  global
        .offset:         32
        .size:           8
        .value_kind:     global_buffer
      - .offset:         40
        .size:           8
        .value_kind:     by_value
      - .actual_access:  read_only
        .address_space:  global
        .offset:         48
        .size:           8
        .value_kind:     global_buffer
      - .actual_access:  read_only
        .address_space:  global
        .offset:         56
        .size:           8
        .value_kind:     global_buffer
      - .actual_access:  read_only
        .address_space:  global
        .offset:         64
        .size:           8
        .value_kind:     global_buffer
      - .actual_access:  read_only
        .address_space:  global
        .offset:         72
        .size:           8
        .value_kind:     global_buffer
      - .actual_access:  read_only
        .address_space:  global
        .offset:         80
        .size:           8
        .value_kind:     global_buffer
      - .actual_access:  read_only
        .address_space:  global
        .offset:         88
        .size:           8
        .value_kind:     global_buffer
      - .offset:         96
        .size:           8
        .value_kind:     by_value
      - .actual_access:  read_only
        .address_space:  global
        .offset:         104
        .size:           8
        .value_kind:     global_buffer
      - .actual_access:  read_only
        .address_space:  global
        .offset:         112
        .size:           8
        .value_kind:     global_buffer
      - .actual_access:  read_only
        .address_space:  global
        .offset:         120
        .size:           8
        .value_kind:     global_buffer
      - .actual_access:  read_only
        .address_space:  global
        .offset:         128
        .size:           8
        .value_kind:     global_buffer
      - .actual_access:  write_only
        .address_space:  global
        .offset:         136
        .size:           8
        .value_kind:     global_buffer
      - .actual_access:  write_only
        .address_space:  global
        .offset:         144
        .size:           8
        .value_kind:     global_buffer
      - .address_space:  global
        .offset:         152
        .size:           8
        .value_kind:     global_buffer
      - .offset:         160
        .size:           4
        .value_kind:     by_value
      - .offset:         164
        .size:           4
        .value_kind:     by_value
      - .offset:         168
        .size:           4
        .value_kind:     by_value
      - .offset:         172
        .size:           4
        .value_kind:     by_value
      - .offset:         176
        .size:           1
        .value_kind:     by_value
      - .offset:         177
        .size:           1
        .value_kind:     by_value
      - .offset:         178
        .size:           1
        .value_kind:     by_value
    .group_segment_fixed_size: 8196
    .kernarg_segment_align: 8
    .kernarg_segment_size: 180
    .language:       OpenCL C
    .language_version:
      - 2
      - 0
    .max_flat_workgroup_size: 256
    .name:           _ZN9rocsparseL31bsrgemm_block_per_row_multipassILj256ELj2ELj32EllfEEv20rocsparse_direction_T3_S2_PKS2_S4_NS_24const_host_device_scalarIT4_EEPKT2_S4_PKS6_SA_S4_SC_S7_SA_S4_SC_SA_PS2_PS6_PS8_21rocsparse_index_base_SG_SG_SG_bbb
    .private_segment_fixed_size: 0
    .sgpr_count:     95
    .sgpr_spill_count: 0
    .symbol:         _ZN9rocsparseL31bsrgemm_block_per_row_multipassILj256ELj2ELj32EllfEEv20rocsparse_direction_T3_S2_PKS2_S4_NS_24const_host_device_scalarIT4_EEPKT2_S4_PKS6_SA_S4_SC_S7_SA_S4_SC_SA_PS2_PS6_PS8_21rocsparse_index_base_SG_SG_SG_bbb.kd
    .uniform_work_group_size: 1
    .uses_dynamic_stack: false
    .vgpr_count:     77
    .vgpr_spill_count: 0
    .wavefront_size: 64
  - .agpr_count:     0
    .args:
      - .offset:         0
        .size:           8
        .value_kind:     by_value
      - .actual_access:  read_only
        .address_space:  global
        .offset:         8
        .size:           8
        .value_kind:     global_buffer
      - .actual_access:  write_only
        .address_space:  global
        .offset:         16
        .size:           8
        .value_kind:     global_buffer
      - .actual_access:  write_only
        .address_space:  global
        .offset:         24
        .size:           8
        .value_kind:     global_buffer
      - .offset:         32
        .size:           4
        .value_kind:     hidden_block_count_x
      - .offset:         36
        .size:           4
        .value_kind:     hidden_block_count_y
      - .offset:         40
        .size:           4
        .value_kind:     hidden_block_count_z
      - .offset:         44
        .size:           2
        .value_kind:     hidden_group_size_x
      - .offset:         46
        .size:           2
        .value_kind:     hidden_group_size_y
      - .offset:         48
        .size:           2
        .value_kind:     hidden_group_size_z
      - .offset:         50
        .size:           2
        .value_kind:     hidden_remainder_x
      - .offset:         52
        .size:           2
        .value_kind:     hidden_remainder_y
      - .offset:         54
        .size:           2
        .value_kind:     hidden_remainder_z
      - .offset:         72
        .size:           8
        .value_kind:     hidden_global_offset_x
      - .offset:         80
        .size:           8
        .value_kind:     hidden_global_offset_y
      - .offset:         88
        .size:           8
        .value_kind:     hidden_global_offset_z
      - .offset:         96
        .size:           2
        .value_kind:     hidden_grid_dims
    .group_segment_fixed_size: 16384
    .kernarg_segment_align: 8
    .kernarg_segment_size: 288
    .language:       OpenCL C
    .language_version:
      - 2
      - 0
    .max_flat_workgroup_size: 256
    .name:           _ZN9rocsparseL26bsrgemm_group_reduce_part2ILj256ELj8ELj2EdllEEvT4_PKT3_PS1_Pi
    .private_segment_fixed_size: 0
    .sgpr_count:     42
    .sgpr_spill_count: 0
    .symbol:         _ZN9rocsparseL26bsrgemm_group_reduce_part2ILj256ELj8ELj2EdllEEvT4_PKT3_PS1_Pi.kd
    .uniform_work_group_size: 1
    .uses_dynamic_stack: false
    .vgpr_count:     26
    .vgpr_spill_count: 0
    .wavefront_size: 64
  - .agpr_count:     0
    .args:
      - .offset:         0
        .size:           8
        .value_kind:     by_value
      - .actual_access:  read_only
        .address_space:  global
        .offset:         8
        .size:           8
        .value_kind:     global_buffer
      - .actual_access:  write_only
        .address_space:  global
        .offset:         16
        .size:           8
        .value_kind:     global_buffer
      - .actual_access:  write_only
        .address_space:  global
        .offset:         24
        .size:           8
        .value_kind:     global_buffer
      - .offset:         32
        .size:           4
        .value_kind:     hidden_block_count_x
      - .offset:         36
        .size:           4
        .value_kind:     hidden_block_count_y
      - .offset:         40
        .size:           4
        .value_kind:     hidden_block_count_z
      - .offset:         44
        .size:           2
        .value_kind:     hidden_group_size_x
      - .offset:         46
        .size:           2
        .value_kind:     hidden_group_size_y
      - .offset:         48
        .size:           2
        .value_kind:     hidden_group_size_z
      - .offset:         50
        .size:           2
        .value_kind:     hidden_remainder_x
      - .offset:         52
        .size:           2
        .value_kind:     hidden_remainder_y
      - .offset:         54
        .size:           2
        .value_kind:     hidden_remainder_z
      - .offset:         72
        .size:           8
        .value_kind:     hidden_global_offset_x
      - .offset:         80
        .size:           8
        .value_kind:     hidden_global_offset_y
      - .offset:         88
        .size:           8
        .value_kind:     hidden_global_offset_z
      - .offset:         96
        .size:           2
        .value_kind:     hidden_grid_dims
    .group_segment_fixed_size: 16384
    .kernarg_segment_align: 8
    .kernarg_segment_size: 288
    .language:       OpenCL C
    .language_version:
      - 2
      - 0
    .max_flat_workgroup_size: 256
    .name:           _ZN9rocsparseL26bsrgemm_group_reduce_part2ILj256ELj8ELj8EdllEEvT4_PKT3_PS1_Pi
    .private_segment_fixed_size: 0
    .sgpr_count:     42
    .sgpr_spill_count: 0
    .symbol:         _ZN9rocsparseL26bsrgemm_group_reduce_part2ILj256ELj8ELj8EdllEEvT4_PKT3_PS1_Pi.kd
    .uniform_work_group_size: 1
    .uses_dynamic_stack: false
    .vgpr_count:     26
    .vgpr_spill_count: 0
    .wavefront_size: 64
  - .agpr_count:     0
    .args:
      - .offset:         0
        .size:           4
        .value_kind:     by_value
      - .offset:         8
        .size:           8
        .value_kind:     by_value
      - .offset:         16
        .size:           8
        .value_kind:     by_value
      - .actual_access:  read_only
        .address_space:  global
        .offset:         24
        .size:           8
        .value_kind:     global_buffer
      - .actual_access:  read_only
        .address_space:  global
        .offset:         32
        .size:           8
        .value_kind:     global_buffer
      - .offset:         40
        .size:           8
        .value_kind:     by_value
      - .actual_access:  read_only
        .address_space:  global
        .offset:         48
        .size:           8
        .value_kind:     global_buffer
      - .actual_access:  read_only
        .address_space:  global
        .offset:         56
        .size:           8
        .value_kind:     global_buffer
      - .actual_access:  read_only
        .address_space:  global
        .offset:         64
        .size:           8
        .value_kind:     global_buffer
      - .actual_access:  read_only
        .address_space:  global
        .offset:         72
        .size:           8
        .value_kind:     global_buffer
      - .actual_access:  read_only
        .address_space:  global
        .offset:         80
        .size:           8
        .value_kind:     global_buffer
      - .actual_access:  read_only
        .address_space:  global
        .offset:         88
        .size:           8
        .value_kind:     global_buffer
      - .offset:         96
        .size:           8
        .value_kind:     by_value
      - .actual_access:  read_only
        .address_space:  global
        .offset:         104
        .size:           8
        .value_kind:     global_buffer
      - .actual_access:  read_only
        .address_space:  global
        .offset:         112
        .size:           8
        .value_kind:     global_buffer
      - .actual_access:  read_only
        .address_space:  global
        .offset:         120
        .size:           8
        .value_kind:     global_buffer
      - .actual_access:  read_only
        .address_space:  global
        .offset:         128
        .size:           8
        .value_kind:     global_buffer
      - .actual_access:  write_only
        .address_space:  global
        .offset:         136
        .size:           8
        .value_kind:     global_buffer
      - .actual_access:  write_only
        .address_space:  global
        .offset:         144
        .size:           8
        .value_kind:     global_buffer
      - .offset:         152
        .size:           4
        .value_kind:     by_value
      - .offset:         156
        .size:           4
        .value_kind:     by_value
      - .offset:         160
        .size:           4
        .value_kind:     by_value
      - .offset:         164
        .size:           4
        .value_kind:     by_value
      - .offset:         168
        .size:           1
        .value_kind:     by_value
      - .offset:         169
        .size:           1
        .value_kind:     by_value
      - .offset:         170
        .size:           1
        .value_kind:     by_value
    .group_segment_fixed_size: 5120
    .kernarg_segment_align: 8
    .kernarg_segment_size: 172
    .language:       OpenCL C
    .language_version:
      - 2
      - 0
    .max_flat_workgroup_size: 256
    .name:           _ZN9rocsparseL27bsrgemm_fill_wf_per_row_2x2ILj256ELj16ELj8ELj137ElldEEv20rocsparse_direction_T4_S2_PKS2_S4_NS_24const_host_device_scalarIT5_EEPKT3_S4_PKS6_SA_S4_SC_S7_SA_S4_SC_SA_PS2_PS6_21rocsparse_index_base_SF_SF_SF_bbb
    .private_segment_fixed_size: 0
    .sgpr_count:     61
    .sgpr_spill_count: 0
    .symbol:         _ZN9rocsparseL27bsrgemm_fill_wf_per_row_2x2ILj256ELj16ELj8ELj137ElldEEv20rocsparse_direction_T4_S2_PKS2_S4_NS_24const_host_device_scalarIT5_EEPKT3_S4_PKS6_SA_S4_SC_S7_SA_S4_SC_SA_PS2_PS6_21rocsparse_index_base_SF_SF_SF_bbb.kd
    .uniform_work_group_size: 1
    .uses_dynamic_stack: false
    .vgpr_count:     45
    .vgpr_spill_count: 0
    .wavefront_size: 64
  - .agpr_count:     0
    .args:
      - .offset:         0
        .size:           4
        .value_kind:     by_value
      - .offset:         8
        .size:           8
        .value_kind:     by_value
      - .offset:         16
        .size:           8
        .value_kind:     by_value
      - .actual_access:  read_only
        .address_space:  global
        .offset:         24
        .size:           8
        .value_kind:     global_buffer
      - .actual_access:  read_only
        .address_space:  global
        .offset:         32
        .size:           8
        .value_kind:     global_buffer
      - .offset:         40
        .size:           8
        .value_kind:     by_value
      - .actual_access:  read_only
        .address_space:  global
        .offset:         48
        .size:           8
        .value_kind:     global_buffer
      - .actual_access:  read_only
        .address_space:  global
        .offset:         56
        .size:           8
        .value_kind:     global_buffer
      - .actual_access:  read_only
        .address_space:  global
        .offset:         64
        .size:           8
        .value_kind:     global_buffer
      - .actual_access:  read_only
        .address_space:  global
        .offset:         72
        .size:           8
        .value_kind:     global_buffer
      - .actual_access:  read_only
        .address_space:  global
        .offset:         80
        .size:           8
        .value_kind:     global_buffer
      - .actual_access:  read_only
        .address_space:  global
        .offset:         88
        .size:           8
        .value_kind:     global_buffer
      - .offset:         96
        .size:           8
        .value_kind:     by_value
      - .actual_access:  read_only
        .address_space:  global
        .offset:         104
        .size:           8
        .value_kind:     global_buffer
      - .actual_access:  read_only
        .address_space:  global
        .offset:         112
        .size:           8
        .value_kind:     global_buffer
      - .actual_access:  read_only
        .address_space:  global
        .offset:         120
        .size:           8
        .value_kind:     global_buffer
      - .actual_access:  read_only
        .address_space:  global
        .offset:         128
        .size:           8
        .value_kind:     global_buffer
      - .actual_access:  write_only
        .address_space:  global
        .offset:         136
        .size:           8
        .value_kind:     global_buffer
      - .actual_access:  write_only
        .address_space:  global
        .offset:         144
        .size:           8
        .value_kind:     global_buffer
      - .offset:         152
        .size:           4
        .value_kind:     by_value
      - .offset:         156
        .size:           4
        .value_kind:     by_value
      - .offset:         160
        .size:           4
        .value_kind:     by_value
      - .offset:         164
        .size:           4
        .value_kind:     by_value
      - .offset:         168
        .size:           1
        .value_kind:     by_value
      - .offset:         169
        .size:           1
        .value_kind:     by_value
      - .offset:         170
        .size:           1
        .value_kind:     by_value
    .group_segment_fixed_size: 10240
    .kernarg_segment_align: 8
    .kernarg_segment_size: 172
    .language:       OpenCL C
    .language_version:
      - 2
      - 0
    .max_flat_workgroup_size: 256
    .name:           _ZN9rocsparseL27bsrgemm_fill_wf_per_row_2x2ILj256ELj16ELj16ELj137ElldEEv20rocsparse_direction_T4_S2_PKS2_S4_NS_24const_host_device_scalarIT5_EEPKT3_S4_PKS6_SA_S4_SC_S7_SA_S4_SC_SA_PS2_PS6_21rocsparse_index_base_SF_SF_SF_bbb
    .private_segment_fixed_size: 0
    .sgpr_count:     59
    .sgpr_spill_count: 0
    .symbol:         _ZN9rocsparseL27bsrgemm_fill_wf_per_row_2x2ILj256ELj16ELj16ELj137ElldEEv20rocsparse_direction_T4_S2_PKS2_S4_NS_24const_host_device_scalarIT5_EEPKT3_S4_PKS6_SA_S4_SC_S7_SA_S4_SC_SA_PS2_PS6_21rocsparse_index_base_SF_SF_SF_bbb.kd
    .uniform_work_group_size: 1
    .uses_dynamic_stack: false
    .vgpr_count:     46
    .vgpr_spill_count: 0
    .wavefront_size: 64
  - .agpr_count:     0
    .args:
      - .offset:         0
        .size:           4
        .value_kind:     by_value
      - .offset:         8
        .size:           8
        .value_kind:     by_value
      - .offset:         16
        .size:           8
        .value_kind:     by_value
      - .actual_access:  read_only
        .address_space:  global
        .offset:         24
        .size:           8
        .value_kind:     global_buffer
      - .actual_access:  read_only
        .address_space:  global
        .offset:         32
        .size:           8
        .value_kind:     global_buffer
      - .offset:         40
        .size:           8
        .value_kind:     by_value
      - .actual_access:  read_only
        .address_space:  global
        .offset:         48
        .size:           8
        .value_kind:     global_buffer
      - .actual_access:  read_only
        .address_space:  global
        .offset:         56
        .size:           8
        .value_kind:     global_buffer
      - .actual_access:  read_only
        .address_space:  global
        .offset:         64
        .size:           8
        .value_kind:     global_buffer
      - .actual_access:  read_only
        .address_space:  global
        .offset:         72
        .size:           8
        .value_kind:     global_buffer
      - .actual_access:  read_only
        .address_space:  global
        .offset:         80
        .size:           8
        .value_kind:     global_buffer
      - .actual_access:  read_only
        .address_space:  global
        .offset:         88
        .size:           8
        .value_kind:     global_buffer
      - .offset:         96
        .size:           8
        .value_kind:     by_value
      - .actual_access:  read_only
        .address_space:  global
        .offset:         104
        .size:           8
        .value_kind:     global_buffer
      - .actual_access:  read_only
        .address_space:  global
        .offset:         112
        .size:           8
        .value_kind:     global_buffer
      - .actual_access:  read_only
        .address_space:  global
        .offset:         120
        .size:           8
        .value_kind:     global_buffer
      - .actual_access:  read_only
        .address_space:  global
        .offset:         128
        .size:           8
        .value_kind:     global_buffer
      - .actual_access:  write_only
        .address_space:  global
        .offset:         136
        .size:           8
        .value_kind:     global_buffer
      - .actual_access:  write_only
        .address_space:  global
        .offset:         144
        .size:           8
        .value_kind:     global_buffer
      - .offset:         152
        .size:           4
        .value_kind:     by_value
      - .offset:         156
        .size:           4
        .value_kind:     by_value
      - .offset:         160
        .size:           4
        .value_kind:     by_value
      - .offset:         164
        .size:           4
        .value_kind:     by_value
      - .offset:         168
        .size:           1
        .value_kind:     by_value
      - .offset:         169
        .size:           1
        .value_kind:     by_value
      - .offset:         170
        .size:           1
        .value_kind:     by_value
    .group_segment_fixed_size: 20480
    .kernarg_segment_align: 8
    .kernarg_segment_size: 172
    .language:       OpenCL C
    .language_version:
      - 2
      - 0
    .max_flat_workgroup_size: 256
    .name:           _ZN9rocsparseL27bsrgemm_fill_wf_per_row_2x2ILj256ELj16ELj32ELj137ElldEEv20rocsparse_direction_T4_S2_PKS2_S4_NS_24const_host_device_scalarIT5_EEPKT3_S4_PKS6_SA_S4_SC_S7_SA_S4_SC_SA_PS2_PS6_21rocsparse_index_base_SF_SF_SF_bbb
    .private_segment_fixed_size: 0
    .sgpr_count:     59
    .sgpr_spill_count: 0
    .symbol:         _ZN9rocsparseL27bsrgemm_fill_wf_per_row_2x2ILj256ELj16ELj32ELj137ElldEEv20rocsparse_direction_T4_S2_PKS2_S4_NS_24const_host_device_scalarIT5_EEPKT3_S4_PKS6_SA_S4_SC_S7_SA_S4_SC_SA_PS2_PS6_21rocsparse_index_base_SF_SF_SF_bbb.kd
    .uniform_work_group_size: 1
    .uses_dynamic_stack: false
    .vgpr_count:     47
    .vgpr_spill_count: 0
    .wavefront_size: 64
  - .agpr_count:     0
    .args:
      - .offset:         0
        .size:           4
        .value_kind:     by_value
      - .offset:         8
        .size:           8
        .value_kind:     by_value
      - .offset:         16
        .size:           8
        .value_kind:     by_value
      - .actual_access:  read_only
        .address_space:  global
        .offset:         24
        .size:           8
        .value_kind:     global_buffer
      - .actual_access:  read_only
        .address_space:  global
        .offset:         32
        .size:           8
        .value_kind:     global_buffer
      - .offset:         40
        .size:           8
        .value_kind:     by_value
      - .actual_access:  read_only
        .address_space:  global
        .offset:         48
        .size:           8
        .value_kind:     global_buffer
      - .actual_access:  read_only
        .address_space:  global
        .offset:         56
        .size:           8
        .value_kind:     global_buffer
      - .actual_access:  read_only
        .address_space:  global
        .offset:         64
        .size:           8
        .value_kind:     global_buffer
      - .actual_access:  read_only
        .address_space:  global
        .offset:         72
        .size:           8
        .value_kind:     global_buffer
      - .actual_access:  read_only
        .address_space:  global
        .offset:         80
        .size:           8
        .value_kind:     global_buffer
      - .actual_access:  read_only
        .address_space:  global
        .offset:         88
        .size:           8
        .value_kind:     global_buffer
      - .offset:         96
        .size:           8
        .value_kind:     by_value
      - .actual_access:  read_only
        .address_space:  global
        .offset:         104
        .size:           8
        .value_kind:     global_buffer
      - .actual_access:  read_only
        .address_space:  global
        .offset:         112
        .size:           8
        .value_kind:     global_buffer
      - .actual_access:  read_only
        .address_space:  global
        .offset:         120
        .size:           8
        .value_kind:     global_buffer
      - .actual_access:  read_only
        .address_space:  global
        .offset:         128
        .size:           8
        .value_kind:     global_buffer
      - .actual_access:  write_only
        .address_space:  global
        .offset:         136
        .size:           8
        .value_kind:     global_buffer
      - .actual_access:  write_only
        .address_space:  global
        .offset:         144
        .size:           8
        .value_kind:     global_buffer
      - .offset:         152
        .size:           4
        .value_kind:     by_value
      - .offset:         156
        .size:           4
        .value_kind:     by_value
      - .offset:         160
        .size:           4
        .value_kind:     by_value
      - .offset:         164
        .size:           4
        .value_kind:     by_value
      - .offset:         168
        .size:           1
        .value_kind:     by_value
      - .offset:         169
        .size:           1
        .value_kind:     by_value
      - .offset:         170
        .size:           1
        .value_kind:     by_value
    .group_segment_fixed_size: 0
    .kernarg_segment_align: 8
    .kernarg_segment_size: 172
    .language:       OpenCL C
    .language_version:
      - 2
      - 0
    .max_flat_workgroup_size: 256
    .name:           _ZN9rocsparseL30bsrgemm_fill_block_per_row_2x2ILj256ELj16ELj64ELj137ElldEEv20rocsparse_direction_T4_S2_PKS2_S4_NS_24const_host_device_scalarIT5_EEPKT3_S4_PKS6_SA_S4_SC_S7_SA_S4_SC_SA_PS2_PS6_21rocsparse_index_base_SF_SF_SF_bbb
    .private_segment_fixed_size: 0
    .sgpr_count:     55
    .sgpr_spill_count: 0
    .symbol:         _ZN9rocsparseL30bsrgemm_fill_block_per_row_2x2ILj256ELj16ELj64ELj137ElldEEv20rocsparse_direction_T4_S2_PKS2_S4_NS_24const_host_device_scalarIT5_EEPKT3_S4_PKS6_SA_S4_SC_S7_SA_S4_SC_SA_PS2_PS6_21rocsparse_index_base_SF_SF_SF_bbb.kd
    .uniform_work_group_size: 1
    .uses_dynamic_stack: false
    .vgpr_count:     44
    .vgpr_spill_count: 0
    .wavefront_size: 64
  - .agpr_count:     0
    .args:
      - .offset:         0
        .size:           4
        .value_kind:     by_value
      - .offset:         8
        .size:           8
        .value_kind:     by_value
      - .offset:         16
        .size:           8
        .value_kind:     by_value
      - .actual_access:  read_only
        .address_space:  global
        .offset:         24
        .size:           8
        .value_kind:     global_buffer
      - .actual_access:  read_only
        .address_space:  global
        .offset:         32
        .size:           8
        .value_kind:     global_buffer
      - .offset:         40
        .size:           8
        .value_kind:     by_value
      - .actual_access:  read_only
        .address_space:  global
        .offset:         48
        .size:           8
        .value_kind:     global_buffer
      - .actual_access:  read_only
        .address_space:  global
        .offset:         56
        .size:           8
        .value_kind:     global_buffer
      - .actual_access:  read_only
        .address_space:  global
        .offset:         64
        .size:           8
        .value_kind:     global_buffer
      - .actual_access:  read_only
        .address_space:  global
        .offset:         72
        .size:           8
        .value_kind:     global_buffer
      - .actual_access:  read_only
        .address_space:  global
        .offset:         80
        .size:           8
        .value_kind:     global_buffer
      - .actual_access:  read_only
        .address_space:  global
        .offset:         88
        .size:           8
        .value_kind:     global_buffer
      - .offset:         96
        .size:           8
        .value_kind:     by_value
      - .actual_access:  read_only
        .address_space:  global
        .offset:         104
        .size:           8
        .value_kind:     global_buffer
      - .actual_access:  read_only
        .address_space:  global
        .offset:         112
        .size:           8
        .value_kind:     global_buffer
      - .actual_access:  read_only
        .address_space:  global
        .offset:         120
        .size:           8
        .value_kind:     global_buffer
      - .actual_access:  read_only
        .address_space:  global
        .offset:         128
        .size:           8
        .value_kind:     global_buffer
      - .actual_access:  write_only
        .address_space:  global
        .offset:         136
        .size:           8
        .value_kind:     global_buffer
      - .actual_access:  write_only
        .address_space:  global
        .offset:         144
        .size:           8
        .value_kind:     global_buffer
      - .offset:         152
        .size:           4
        .value_kind:     by_value
      - .offset:         156
        .size:           4
        .value_kind:     by_value
      - .offset:         160
        .size:           4
        .value_kind:     by_value
      - .offset:         164
        .size:           4
        .value_kind:     by_value
      - .offset:         168
        .size:           1
        .value_kind:     by_value
      - .offset:         169
        .size:           1
        .value_kind:     by_value
      - .offset:         170
        .size:           1
        .value_kind:     by_value
    .group_segment_fixed_size: 0
    .kernarg_segment_align: 8
    .kernarg_segment_size: 172
    .language:       OpenCL C
    .language_version:
      - 2
      - 0
    .max_flat_workgroup_size: 256
    .name:           _ZN9rocsparseL30bsrgemm_fill_block_per_row_2x2ILj256ELj16ELj128ELj137ElldEEv20rocsparse_direction_T4_S2_PKS2_S4_NS_24const_host_device_scalarIT5_EEPKT3_S4_PKS6_SA_S4_SC_S7_SA_S4_SC_SA_PS2_PS6_21rocsparse_index_base_SF_SF_SF_bbb
    .private_segment_fixed_size: 0
    .sgpr_count:     65
    .sgpr_spill_count: 0
    .symbol:         _ZN9rocsparseL30bsrgemm_fill_block_per_row_2x2ILj256ELj16ELj128ELj137ElldEEv20rocsparse_direction_T4_S2_PKS2_S4_NS_24const_host_device_scalarIT5_EEPKT3_S4_PKS6_SA_S4_SC_S7_SA_S4_SC_SA_PS2_PS6_21rocsparse_index_base_SF_SF_SF_bbb.kd
    .uniform_work_group_size: 1
    .uses_dynamic_stack: false
    .vgpr_count:     44
    .vgpr_spill_count: 0
    .wavefront_size: 64
  - .agpr_count:     0
    .args:
      - .offset:         0
        .size:           4
        .value_kind:     by_value
      - .offset:         8
        .size:           8
        .value_kind:     by_value
      - .offset:         16
        .size:           8
        .value_kind:     by_value
      - .actual_access:  read_only
        .address_space:  global
        .offset:         24
        .size:           8
        .value_kind:     global_buffer
      - .actual_access:  read_only
        .address_space:  global
        .offset:         32
        .size:           8
        .value_kind:     global_buffer
      - .offset:         40
        .size:           8
        .value_kind:     by_value
      - .actual_access:  read_only
        .address_space:  global
        .offset:         48
        .size:           8
        .value_kind:     global_buffer
      - .actual_access:  read_only
        .address_space:  global
        .offset:         56
        .size:           8
        .value_kind:     global_buffer
      - .actual_access:  read_only
        .address_space:  global
        .offset:         64
        .size:           8
        .value_kind:     global_buffer
      - .actual_access:  read_only
        .address_space:  global
        .offset:         72
        .size:           8
        .value_kind:     global_buffer
      - .actual_access:  read_only
        .address_space:  global
        .offset:         80
        .size:           8
        .value_kind:     global_buffer
      - .actual_access:  read_only
        .address_space:  global
        .offset:         88
        .size:           8
        .value_kind:     global_buffer
      - .offset:         96
        .size:           8
        .value_kind:     by_value
      - .actual_access:  read_only
        .address_space:  global
        .offset:         104
        .size:           8
        .value_kind:     global_buffer
      - .actual_access:  read_only
        .address_space:  global
        .offset:         112
        .size:           8
        .value_kind:     global_buffer
      - .actual_access:  read_only
        .address_space:  global
        .offset:         120
        .size:           8
        .value_kind:     global_buffer
      - .actual_access:  read_only
        .address_space:  global
        .offset:         128
        .size:           8
        .value_kind:     global_buffer
      - .actual_access:  write_only
        .address_space:  global
        .offset:         136
        .size:           8
        .value_kind:     global_buffer
      - .actual_access:  write_only
        .address_space:  global
        .offset:         144
        .size:           8
        .value_kind:     global_buffer
      - .offset:         152
        .size:           4
        .value_kind:     by_value
      - .offset:         156
        .size:           4
        .value_kind:     by_value
      - .offset:         160
        .size:           4
        .value_kind:     by_value
      - .offset:         164
        .size:           4
        .value_kind:     by_value
      - .offset:         168
        .size:           1
        .value_kind:     by_value
      - .offset:         169
        .size:           1
        .value_kind:     by_value
      - .offset:         170
        .size:           1
        .value_kind:     by_value
    .group_segment_fixed_size: 0
    .kernarg_segment_align: 8
    .kernarg_segment_size: 172
    .language:       OpenCL C
    .language_version:
      - 2
      - 0
    .max_flat_workgroup_size: 256
    .name:           _ZN9rocsparseL30bsrgemm_fill_block_per_row_2x2ILj256ELj16ELj256ELj137ElldEEv20rocsparse_direction_T4_S2_PKS2_S4_NS_24const_host_device_scalarIT5_EEPKT3_S4_PKS6_SA_S4_SC_S7_SA_S4_SC_SA_PS2_PS6_21rocsparse_index_base_SF_SF_SF_bbb
    .private_segment_fixed_size: 0
    .sgpr_count:     65
    .sgpr_spill_count: 0
    .symbol:         _ZN9rocsparseL30bsrgemm_fill_block_per_row_2x2ILj256ELj16ELj256ELj137ElldEEv20rocsparse_direction_T4_S2_PKS2_S4_NS_24const_host_device_scalarIT5_EEPKT3_S4_PKS6_SA_S4_SC_S7_SA_S4_SC_SA_PS2_PS6_21rocsparse_index_base_SF_SF_SF_bbb.kd
    .uniform_work_group_size: 1
    .uses_dynamic_stack: false
    .vgpr_count:     44
    .vgpr_spill_count: 0
    .wavefront_size: 64
  - .agpr_count:     0
    .args:
      - .offset:         0
        .size:           4
        .value_kind:     by_value
      - .offset:         8
        .size:           8
        .value_kind:     by_value
      - .offset:         16
        .size:           8
        .value_kind:     by_value
      - .actual_access:  read_only
        .address_space:  global
        .offset:         24
        .size:           8
        .value_kind:     global_buffer
      - .actual_access:  read_only
        .address_space:  global
        .offset:         32
        .size:           8
        .value_kind:     global_buffer
      - .offset:         40
        .size:           8
        .value_kind:     by_value
      - .actual_access:  read_only
        .address_space:  global
        .offset:         48
        .size:           8
        .value_kind:     global_buffer
      - .actual_access:  read_only
        .address_space:  global
        .offset:         56
        .size:           8
        .value_kind:     global_buffer
      - .actual_access:  read_only
        .address_space:  global
        .offset:         64
        .size:           8
        .value_kind:     global_buffer
      - .actual_access:  read_only
        .address_space:  global
        .offset:         72
        .size:           8
        .value_kind:     global_buffer
      - .actual_access:  read_only
        .address_space:  global
        .offset:         80
        .size:           8
        .value_kind:     global_buffer
      - .actual_access:  read_only
        .address_space:  global
        .offset:         88
        .size:           8
        .value_kind:     global_buffer
      - .offset:         96
        .size:           8
        .value_kind:     by_value
      - .actual_access:  read_only
        .address_space:  global
        .offset:         104
        .size:           8
        .value_kind:     global_buffer
      - .actual_access:  read_only
        .address_space:  global
        .offset:         112
        .size:           8
        .value_kind:     global_buffer
      - .actual_access:  read_only
        .address_space:  global
        .offset:         120
        .size:           8
        .value_kind:     global_buffer
      - .actual_access:  read_only
        .address_space:  global
        .offset:         128
        .size:           8
        .value_kind:     global_buffer
      - .actual_access:  write_only
        .address_space:  global
        .offset:         136
        .size:           8
        .value_kind:     global_buffer
      - .actual_access:  write_only
        .address_space:  global
        .offset:         144
        .size:           8
        .value_kind:     global_buffer
      - .offset:         152
        .size:           4
        .value_kind:     by_value
      - .offset:         156
        .size:           4
        .value_kind:     by_value
      - .offset:         160
        .size:           4
        .value_kind:     by_value
      - .offset:         164
        .size:           4
        .value_kind:     by_value
      - .offset:         168
        .size:           1
        .value_kind:     by_value
      - .offset:         169
        .size:           1
        .value_kind:     by_value
      - .offset:         170
        .size:           1
        .value_kind:     by_value
    .group_segment_fixed_size: 0
    .kernarg_segment_align: 8
    .kernarg_segment_size: 172
    .language:       OpenCL C
    .language_version:
      - 2
      - 0
    .max_flat_workgroup_size: 256
    .name:           _ZN9rocsparseL30bsrgemm_fill_block_per_row_2x2ILj256ELj16ELj512ELj137ElldEEv20rocsparse_direction_T4_S2_PKS2_S4_NS_24const_host_device_scalarIT5_EEPKT3_S4_PKS6_SA_S4_SC_S7_SA_S4_SC_SA_PS2_PS6_21rocsparse_index_base_SF_SF_SF_bbb
    .private_segment_fixed_size: 0
    .sgpr_count:     65
    .sgpr_spill_count: 0
    .symbol:         _ZN9rocsparseL30bsrgemm_fill_block_per_row_2x2ILj256ELj16ELj512ELj137ElldEEv20rocsparse_direction_T4_S2_PKS2_S4_NS_24const_host_device_scalarIT5_EEPKT3_S4_PKS6_SA_S4_SC_S7_SA_S4_SC_SA_PS2_PS6_21rocsparse_index_base_SF_SF_SF_bbb.kd
    .uniform_work_group_size: 1
    .uses_dynamic_stack: false
    .vgpr_count:     43
    .vgpr_spill_count: 0
    .wavefront_size: 64
  - .agpr_count:     0
    .args:
      - .offset:         0
        .size:           4
        .value_kind:     by_value
      - .offset:         8
        .size:           8
        .value_kind:     by_value
      - .offset:         16
        .size:           8
        .value_kind:     by_value
      - .actual_access:  read_only
        .address_space:  global
        .offset:         24
        .size:           8
        .value_kind:     global_buffer
      - .actual_access:  read_only
        .address_space:  global
        .offset:         32
        .size:           8
        .value_kind:     global_buffer
      - .offset:         40
        .size:           8
        .value_kind:     by_value
      - .actual_access:  read_only
        .address_space:  global
        .offset:         48
        .size:           8
        .value_kind:     global_buffer
      - .actual_access:  read_only
        .address_space:  global
        .offset:         56
        .size:           8
        .value_kind:     global_buffer
      - .actual_access:  read_only
        .address_space:  global
        .offset:         64
        .size:           8
        .value_kind:     global_buffer
      - .actual_access:  read_only
        .address_space:  global
        .offset:         72
        .size:           8
        .value_kind:     global_buffer
      - .actual_access:  read_only
        .address_space:  global
        .offset:         80
        .size:           8
        .value_kind:     global_buffer
      - .actual_access:  read_only
        .address_space:  global
        .offset:         88
        .size:           8
        .value_kind:     global_buffer
      - .offset:         96
        .size:           8
        .value_kind:     by_value
      - .actual_access:  read_only
        .address_space:  global
        .offset:         104
        .size:           8
        .value_kind:     global_buffer
      - .actual_access:  read_only
        .address_space:  global
        .offset:         112
        .size:           8
        .value_kind:     global_buffer
      - .actual_access:  read_only
        .address_space:  global
        .offset:         120
        .size:           8
        .value_kind:     global_buffer
      - .actual_access:  read_only
        .address_space:  global
        .offset:         128
        .size:           8
        .value_kind:     global_buffer
      - .actual_access:  write_only
        .address_space:  global
        .offset:         136
        .size:           8
        .value_kind:     global_buffer
      - .actual_access:  write_only
        .address_space:  global
        .offset:         144
        .size:           8
        .value_kind:     global_buffer
      - .address_space:  global
        .offset:         152
        .size:           8
        .value_kind:     global_buffer
      - .offset:         160
        .size:           4
        .value_kind:     by_value
      - .offset:         164
        .size:           4
        .value_kind:     by_value
      - .offset:         168
        .size:           4
        .value_kind:     by_value
      - .offset:         172
        .size:           4
        .value_kind:     by_value
      - .offset:         176
        .size:           1
        .value_kind:     by_value
      - .offset:         177
        .size:           1
        .value_kind:     by_value
      - .offset:         178
        .size:           1
        .value_kind:     by_value
    .group_segment_fixed_size: 11272
    .kernarg_segment_align: 8
    .kernarg_segment_size: 180
    .language:       OpenCL C
    .language_version:
      - 2
      - 0
    .max_flat_workgroup_size: 256
    .name:           _ZN9rocsparseL38bsrgemm_block_per_row_atomic_multipassILj256ELj256ELj2ElldEEv20rocsparse_direction_T3_S2_PKS2_S4_NS_24const_host_device_scalarIT4_EEPKT2_S4_PKS6_SA_S4_SC_S7_SA_S4_SC_SA_PS2_PS6_PS8_21rocsparse_index_base_SG_SG_SG_bbb
    .private_segment_fixed_size: 0
    .sgpr_count:     100
    .sgpr_spill_count: 12
    .symbol:         _ZN9rocsparseL38bsrgemm_block_per_row_atomic_multipassILj256ELj256ELj2ElldEEv20rocsparse_direction_T3_S2_PKS2_S4_NS_24const_host_device_scalarIT4_EEPKT2_S4_PKS6_SA_S4_SC_S7_SA_S4_SC_SA_PS2_PS6_PS8_21rocsparse_index_base_SG_SG_SG_bbb.kd
    .uniform_work_group_size: 1
    .uses_dynamic_stack: false
    .vgpr_count:     71
    .vgpr_spill_count: 0
    .wavefront_size: 64
  - .agpr_count:     0
    .args:
      - .offset:         0
        .size:           4
        .value_kind:     by_value
      - .offset:         8
        .size:           8
        .value_kind:     by_value
      - .offset:         16
        .size:           8
        .value_kind:     by_value
      - .offset:         24
        .size:           8
        .value_kind:     by_value
      - .actual_access:  read_only
        .address_space:  global
        .offset:         32
        .size:           8
        .value_kind:     global_buffer
      - .actual_access:  read_only
        .address_space:  global
        .offset:         40
        .size:           8
        .value_kind:     global_buffer
      - .offset:         48
        .size:           8
        .value_kind:     by_value
      - .actual_access:  read_only
        .address_space:  global
        .offset:         56
        .size:           8
        .value_kind:     global_buffer
      - .actual_access:  read_only
        .address_space:  global
        .offset:         64
        .size:           8
        .value_kind:     global_buffer
      - .actual_access:  read_only
        .address_space:  global
        .offset:         72
        .size:           8
        .value_kind:     global_buffer
      - .actual_access:  read_only
        .address_space:  global
        .offset:         80
        .size:           8
        .value_kind:     global_buffer
      - .actual_access:  read_only
        .address_space:  global
        .offset:         88
        .size:           8
        .value_kind:     global_buffer
      - .actual_access:  read_only
        .address_space:  global
        .offset:         96
        .size:           8
        .value_kind:     global_buffer
      - .offset:         104
        .size:           8
        .value_kind:     by_value
      - .actual_access:  read_only
        .address_space:  global
        .offset:         112
        .size:           8
        .value_kind:     global_buffer
      - .actual_access:  read_only
        .address_space:  global
        .offset:         120
        .size:           8
        .value_kind:     global_buffer
      - .actual_access:  read_only
        .address_space:  global
        .offset:         128
        .size:           8
        .value_kind:     global_buffer
      - .actual_access:  read_only
        .address_space:  global
        .offset:         136
        .size:           8
        .value_kind:     global_buffer
      - .actual_access:  write_only
        .address_space:  global
        .offset:         144
        .size:           8
        .value_kind:     global_buffer
      - .actual_access:  write_only
        .address_space:  global
        .offset:         152
        .size:           8
        .value_kind:     global_buffer
      - .offset:         160
        .size:           4
        .value_kind:     by_value
      - .offset:         164
        .size:           4
        .value_kind:     by_value
      - .offset:         168
        .size:           4
        .value_kind:     by_value
      - .offset:         172
        .size:           4
        .value_kind:     by_value
      - .offset:         176
        .size:           1
        .value_kind:     by_value
      - .offset:         177
        .size:           1
        .value_kind:     by_value
      - .offset:         178
        .size:           1
        .value_kind:     by_value
    .group_segment_fixed_size: 4352
    .kernarg_segment_align: 8
    .kernarg_segment_size: 180
    .language:       OpenCL C
    .language_version:
      - 2
      - 0
    .max_flat_workgroup_size: 256
    .name:           _ZN9rocsparseL23bsrgemm_fill_wf_per_rowILj256ELj64ELj8ELj137ELj4ElldEEv20rocsparse_direction_T5_S2_S2_PKS2_S4_NS_24const_host_device_scalarIT6_EEPKT4_S4_PKS6_SA_S4_SC_S7_SA_S4_SC_SA_PS2_PS6_21rocsparse_index_base_SF_SF_SF_bbb
    .private_segment_fixed_size: 0
    .sgpr_count:     73
    .sgpr_spill_count: 0
    .symbol:         _ZN9rocsparseL23bsrgemm_fill_wf_per_rowILj256ELj64ELj8ELj137ELj4ElldEEv20rocsparse_direction_T5_S2_S2_PKS2_S4_NS_24const_host_device_scalarIT6_EEPKT4_S4_PKS6_SA_S4_SC_S7_SA_S4_SC_SA_PS2_PS6_21rocsparse_index_base_SF_SF_SF_bbb.kd
    .uniform_work_group_size: 1
    .uses_dynamic_stack: false
    .vgpr_count:     49
    .vgpr_spill_count: 0
    .wavefront_size: 64
  - .agpr_count:     0
    .args:
      - .offset:         0
        .size:           4
        .value_kind:     by_value
      - .offset:         8
        .size:           8
        .value_kind:     by_value
      - .offset:         16
        .size:           8
        .value_kind:     by_value
      - .offset:         24
        .size:           8
        .value_kind:     by_value
      - .actual_access:  read_only
        .address_space:  global
        .offset:         32
        .size:           8
        .value_kind:     global_buffer
      - .actual_access:  read_only
        .address_space:  global
        .offset:         40
        .size:           8
        .value_kind:     global_buffer
      - .offset:         48
        .size:           8
        .value_kind:     by_value
      - .actual_access:  read_only
        .address_space:  global
        .offset:         56
        .size:           8
        .value_kind:     global_buffer
      - .actual_access:  read_only
        .address_space:  global
        .offset:         64
        .size:           8
        .value_kind:     global_buffer
      - .actual_access:  read_only
        .address_space:  global
        .offset:         72
        .size:           8
        .value_kind:     global_buffer
      - .actual_access:  read_only
        .address_space:  global
        .offset:         80
        .size:           8
        .value_kind:     global_buffer
      - .actual_access:  read_only
        .address_space:  global
        .offset:         88
        .size:           8
        .value_kind:     global_buffer
      - .actual_access:  read_only
        .address_space:  global
        .offset:         96
        .size:           8
        .value_kind:     global_buffer
      - .offset:         104
        .size:           8
        .value_kind:     by_value
      - .actual_access:  read_only
        .address_space:  global
        .offset:         112
        .size:           8
        .value_kind:     global_buffer
      - .actual_access:  read_only
        .address_space:  global
        .offset:         120
        .size:           8
        .value_kind:     global_buffer
      - .actual_access:  read_only
        .address_space:  global
        .offset:         128
        .size:           8
        .value_kind:     global_buffer
      - .actual_access:  read_only
        .address_space:  global
        .offset:         136
        .size:           8
        .value_kind:     global_buffer
      - .actual_access:  write_only
        .address_space:  global
        .offset:         144
        .size:           8
        .value_kind:     global_buffer
      - .actual_access:  write_only
        .address_space:  global
        .offset:         152
        .size:           8
        .value_kind:     global_buffer
      - .offset:         160
        .size:           4
        .value_kind:     by_value
      - .offset:         164
        .size:           4
        .value_kind:     by_value
      - .offset:         168
        .size:           4
        .value_kind:     by_value
      - .offset:         172
        .size:           4
        .value_kind:     by_value
      - .offset:         176
        .size:           1
        .value_kind:     by_value
      - .offset:         177
        .size:           1
        .value_kind:     by_value
      - .offset:         178
        .size:           1
        .value_kind:     by_value
    .group_segment_fixed_size: 8704
    .kernarg_segment_align: 8
    .kernarg_segment_size: 180
    .language:       OpenCL C
    .language_version:
      - 2
      - 0
    .max_flat_workgroup_size: 256
    .name:           _ZN9rocsparseL23bsrgemm_fill_wf_per_rowILj256ELj64ELj16ELj137ELj4ElldEEv20rocsparse_direction_T5_S2_S2_PKS2_S4_NS_24const_host_device_scalarIT6_EEPKT4_S4_PKS6_SA_S4_SC_S7_SA_S4_SC_SA_PS2_PS6_21rocsparse_index_base_SF_SF_SF_bbb
    .private_segment_fixed_size: 0
    .sgpr_count:     73
    .sgpr_spill_count: 0
    .symbol:         _ZN9rocsparseL23bsrgemm_fill_wf_per_rowILj256ELj64ELj16ELj137ELj4ElldEEv20rocsparse_direction_T5_S2_S2_PKS2_S4_NS_24const_host_device_scalarIT6_EEPKT4_S4_PKS6_SA_S4_SC_S7_SA_S4_SC_SA_PS2_PS6_21rocsparse_index_base_SF_SF_SF_bbb.kd
    .uniform_work_group_size: 1
    .uses_dynamic_stack: false
    .vgpr_count:     49
    .vgpr_spill_count: 0
    .wavefront_size: 64
  - .agpr_count:     0
    .args:
      - .offset:         0
        .size:           4
        .value_kind:     by_value
      - .offset:         8
        .size:           8
        .value_kind:     by_value
      - .offset:         16
        .size:           8
        .value_kind:     by_value
      - .actual_access:  read_only
        .address_space:  global
        .offset:         24
        .size:           8
        .value_kind:     global_buffer
      - .actual_access:  read_only
        .address_space:  global
        .offset:         32
        .size:           8
        .value_kind:     global_buffer
      - .offset:         40
        .size:           8
        .value_kind:     by_value
      - .actual_access:  read_only
        .address_space:  global
        .offset:         48
        .size:           8
        .value_kind:     global_buffer
      - .actual_access:  read_only
        .address_space:  global
        .offset:         56
        .size:           8
        .value_kind:     global_buffer
      - .actual_access:  read_only
        .address_space:  global
        .offset:         64
        .size:           8
        .value_kind:     global_buffer
      - .actual_access:  read_only
        .address_space:  global
        .offset:         72
        .size:           8
        .value_kind:     global_buffer
      - .actual_access:  read_only
        .address_space:  global
        .offset:         80
        .size:           8
        .value_kind:     global_buffer
      - .actual_access:  read_only
        .address_space:  global
        .offset:         88
        .size:           8
        .value_kind:     global_buffer
      - .offset:         96
        .size:           8
        .value_kind:     by_value
      - .actual_access:  read_only
        .address_space:  global
        .offset:         104
        .size:           8
        .value_kind:     global_buffer
      - .actual_access:  read_only
        .address_space:  global
        .offset:         112
        .size:           8
        .value_kind:     global_buffer
      - .actual_access:  read_only
        .address_space:  global
        .offset:         120
        .size:           8
        .value_kind:     global_buffer
      - .actual_access:  read_only
        .address_space:  global
        .offset:         128
        .size:           8
        .value_kind:     global_buffer
      - .actual_access:  write_only
        .address_space:  global
        .offset:         136
        .size:           8
        .value_kind:     global_buffer
      - .actual_access:  write_only
        .address_space:  global
        .offset:         144
        .size:           8
        .value_kind:     global_buffer
      - .address_space:  global
        .offset:         152
        .size:           8
        .value_kind:     global_buffer
      - .offset:         160
        .size:           4
        .value_kind:     by_value
      - .offset:         164
        .size:           4
        .value_kind:     by_value
      - .offset:         168
        .size:           4
        .value_kind:     by_value
      - .offset:         172
        .size:           4
        .value_kind:     by_value
      - .offset:         176
        .size:           1
        .value_kind:     by_value
      - .offset:         177
        .size:           1
        .value_kind:     by_value
      - .offset:         178
        .size:           1
        .value_kind:     by_value
    .group_segment_fixed_size: 6280
    .kernarg_segment_align: 8
    .kernarg_segment_size: 180
    .language:       OpenCL C
    .language_version:
      - 2
      - 0
    .max_flat_workgroup_size: 256
    .name:           _ZN9rocsparseL38bsrgemm_block_per_row_atomic_multipassILj256ELj32ELj4ElldEEv20rocsparse_direction_T3_S2_PKS2_S4_NS_24const_host_device_scalarIT4_EEPKT2_S4_PKS6_SA_S4_SC_S7_SA_S4_SC_SA_PS2_PS6_PS8_21rocsparse_index_base_SG_SG_SG_bbb
    .private_segment_fixed_size: 0
    .sgpr_count:     98
    .sgpr_spill_count: 0
    .symbol:         _ZN9rocsparseL38bsrgemm_block_per_row_atomic_multipassILj256ELj32ELj4ElldEEv20rocsparse_direction_T3_S2_PKS2_S4_NS_24const_host_device_scalarIT4_EEPKT2_S4_PKS6_SA_S4_SC_S7_SA_S4_SC_SA_PS2_PS6_PS8_21rocsparse_index_base_SG_SG_SG_bbb.kd
    .uniform_work_group_size: 1
    .uses_dynamic_stack: false
    .vgpr_count:     66
    .vgpr_spill_count: 0
    .wavefront_size: 64
  - .agpr_count:     0
    .args:
      - .offset:         0
        .size:           4
        .value_kind:     by_value
      - .offset:         8
        .size:           8
        .value_kind:     by_value
      - .offset:         16
        .size:           8
        .value_kind:     by_value
      - .actual_access:  read_only
        .address_space:  global
        .offset:         24
        .size:           8
        .value_kind:     global_buffer
      - .actual_access:  read_only
        .address_space:  global
        .offset:         32
        .size:           8
        .value_kind:     global_buffer
      - .offset:         40
        .size:           8
        .value_kind:     by_value
      - .actual_access:  read_only
        .address_space:  global
        .offset:         48
        .size:           8
        .value_kind:     global_buffer
      - .actual_access:  read_only
        .address_space:  global
        .offset:         56
        .size:           8
        .value_kind:     global_buffer
      - .actual_access:  read_only
        .address_space:  global
        .offset:         64
        .size:           8
        .value_kind:     global_buffer
      - .actual_access:  read_only
        .address_space:  global
        .offset:         72
        .size:           8
        .value_kind:     global_buffer
      - .actual_access:  read_only
        .address_space:  global
        .offset:         80
        .size:           8
        .value_kind:     global_buffer
      - .actual_access:  read_only
        .address_space:  global
        .offset:         88
        .size:           8
        .value_kind:     global_buffer
      - .offset:         96
        .size:           8
        .value_kind:     by_value
      - .actual_access:  read_only
        .address_space:  global
        .offset:         104
        .size:           8
        .value_kind:     global_buffer
      - .actual_access:  read_only
        .address_space:  global
        .offset:         112
        .size:           8
        .value_kind:     global_buffer
      - .actual_access:  read_only
        .address_space:  global
        .offset:         120
        .size:           8
        .value_kind:     global_buffer
      - .actual_access:  read_only
        .address_space:  global
        .offset:         128
        .size:           8
        .value_kind:     global_buffer
      - .actual_access:  write_only
        .address_space:  global
        .offset:         136
        .size:           8
        .value_kind:     global_buffer
      - .actual_access:  write_only
        .address_space:  global
        .offset:         144
        .size:           8
        .value_kind:     global_buffer
      - .address_space:  global
        .offset:         152
        .size:           8
        .value_kind:     global_buffer
      - .offset:         160
        .size:           4
        .value_kind:     by_value
      - .offset:         164
        .size:           4
        .value_kind:     by_value
      - .offset:         168
        .size:           4
        .value_kind:     by_value
      - .offset:         172
        .size:           4
        .value_kind:     by_value
      - .offset:         176
        .size:           1
        .value_kind:     by_value
      - .offset:         177
        .size:           1
        .value_kind:     by_value
      - .offset:         178
        .size:           1
        .value_kind:     by_value
    .group_segment_fixed_size: 10504
    .kernarg_segment_align: 8
    .kernarg_segment_size: 180
    .language:       OpenCL C
    .language_version:
      - 2
      - 0
    .max_flat_workgroup_size: 256
    .name:           _ZN9rocsparseL38bsrgemm_block_per_row_atomic_multipassILj256ELj64ELj4ElldEEv20rocsparse_direction_T3_S2_PKS2_S4_NS_24const_host_device_scalarIT4_EEPKT2_S4_PKS6_SA_S4_SC_S7_SA_S4_SC_SA_PS2_PS6_PS8_21rocsparse_index_base_SG_SG_SG_bbb
    .private_segment_fixed_size: 0
    .sgpr_count:     99
    .sgpr_spill_count: 0
    .symbol:         _ZN9rocsparseL38bsrgemm_block_per_row_atomic_multipassILj256ELj64ELj4ElldEEv20rocsparse_direction_T3_S2_PKS2_S4_NS_24const_host_device_scalarIT4_EEPKT2_S4_PKS6_SA_S4_SC_S7_SA_S4_SC_SA_PS2_PS6_PS8_21rocsparse_index_base_SG_SG_SG_bbb.kd
    .uniform_work_group_size: 1
    .uses_dynamic_stack: false
    .vgpr_count:     68
    .vgpr_spill_count: 0
    .wavefront_size: 64
  - .agpr_count:     0
    .args:
      - .offset:         0
        .size:           4
        .value_kind:     by_value
      - .offset:         8
        .size:           8
        .value_kind:     by_value
      - .offset:         16
        .size:           8
        .value_kind:     by_value
      - .actual_access:  read_only
        .address_space:  global
        .offset:         24
        .size:           8
        .value_kind:     global_buffer
      - .actual_access:  read_only
        .address_space:  global
        .offset:         32
        .size:           8
        .value_kind:     global_buffer
      - .offset:         40
        .size:           8
        .value_kind:     by_value
      - .actual_access:  read_only
        .address_space:  global
        .offset:         48
        .size:           8
        .value_kind:     global_buffer
      - .actual_access:  read_only
        .address_space:  global
        .offset:         56
        .size:           8
        .value_kind:     global_buffer
      - .actual_access:  read_only
        .address_space:  global
        .offset:         64
        .size:           8
        .value_kind:     global_buffer
      - .actual_access:  read_only
        .address_space:  global
        .offset:         72
        .size:           8
        .value_kind:     global_buffer
      - .actual_access:  read_only
        .address_space:  global
        .offset:         80
        .size:           8
        .value_kind:     global_buffer
      - .actual_access:  read_only
        .address_space:  global
        .offset:         88
        .size:           8
        .value_kind:     global_buffer
      - .offset:         96
        .size:           8
        .value_kind:     by_value
      - .actual_access:  read_only
        .address_space:  global
        .offset:         104
        .size:           8
        .value_kind:     global_buffer
      - .actual_access:  read_only
        .address_space:  global
        .offset:         112
        .size:           8
        .value_kind:     global_buffer
      - .actual_access:  read_only
        .address_space:  global
        .offset:         120
        .size:           8
        .value_kind:     global_buffer
      - .actual_access:  read_only
        .address_space:  global
        .offset:         128
        .size:           8
        .value_kind:     global_buffer
      - .actual_access:  write_only
        .address_space:  global
        .offset:         136
        .size:           8
        .value_kind:     global_buffer
      - .actual_access:  write_only
        .address_space:  global
        .offset:         144
        .size:           8
        .value_kind:     global_buffer
      - .address_space:  global
        .offset:         152
        .size:           8
        .value_kind:     global_buffer
      - .offset:         160
        .size:           4
        .value_kind:     by_value
      - .offset:         164
        .size:           4
        .value_kind:     by_value
      - .offset:         168
        .size:           4
        .value_kind:     by_value
      - .offset:         172
        .size:           4
        .value_kind:     by_value
      - .offset:         176
        .size:           1
        .value_kind:     by_value
      - .offset:         177
        .size:           1
        .value_kind:     by_value
      - .offset:         178
        .size:           1
        .value_kind:     by_value
    .group_segment_fixed_size: 18952
    .kernarg_segment_align: 8
    .kernarg_segment_size: 180
    .language:       OpenCL C
    .language_version:
      - 2
      - 0
    .max_flat_workgroup_size: 256
    .name:           _ZN9rocsparseL38bsrgemm_block_per_row_atomic_multipassILj256ELj128ELj4ElldEEv20rocsparse_direction_T3_S2_PKS2_S4_NS_24const_host_device_scalarIT4_EEPKT2_S4_PKS6_SA_S4_SC_S7_SA_S4_SC_SA_PS2_PS6_PS8_21rocsparse_index_base_SG_SG_SG_bbb
    .private_segment_fixed_size: 0
    .sgpr_count:     100
    .sgpr_spill_count: 12
    .symbol:         _ZN9rocsparseL38bsrgemm_block_per_row_atomic_multipassILj256ELj128ELj4ElldEEv20rocsparse_direction_T3_S2_PKS2_S4_NS_24const_host_device_scalarIT4_EEPKT2_S4_PKS6_SA_S4_SC_S7_SA_S4_SC_SA_PS2_PS6_PS8_21rocsparse_index_base_SG_SG_SG_bbb.kd
    .uniform_work_group_size: 1
    .uses_dynamic_stack: false
    .vgpr_count:     72
    .vgpr_spill_count: 0
    .wavefront_size: 64
  - .agpr_count:     0
    .args:
      - .offset:         0
        .size:           4
        .value_kind:     by_value
      - .offset:         8
        .size:           8
        .value_kind:     by_value
      - .offset:         16
        .size:           8
        .value_kind:     by_value
      - .offset:         24
        .size:           8
        .value_kind:     by_value
      - .actual_access:  read_only
        .address_space:  global
        .offset:         32
        .size:           8
        .value_kind:     global_buffer
      - .actual_access:  read_only
        .address_space:  global
        .offset:         40
        .size:           8
        .value_kind:     global_buffer
      - .offset:         48
        .size:           8
        .value_kind:     by_value
      - .actual_access:  read_only
        .address_space:  global
        .offset:         56
        .size:           8
        .value_kind:     global_buffer
      - .actual_access:  read_only
        .address_space:  global
        .offset:         64
        .size:           8
        .value_kind:     global_buffer
      - .actual_access:  read_only
        .address_space:  global
        .offset:         72
        .size:           8
        .value_kind:     global_buffer
      - .actual_access:  read_only
        .address_space:  global
        .offset:         80
        .size:           8
        .value_kind:     global_buffer
      - .actual_access:  read_only
        .address_space:  global
        .offset:         88
        .size:           8
        .value_kind:     global_buffer
      - .actual_access:  read_only
        .address_space:  global
        .offset:         96
        .size:           8
        .value_kind:     global_buffer
      - .offset:         104
        .size:           8
        .value_kind:     by_value
      - .actual_access:  read_only
        .address_space:  global
        .offset:         112
        .size:           8
        .value_kind:     global_buffer
      - .actual_access:  read_only
        .address_space:  global
        .offset:         120
        .size:           8
        .value_kind:     global_buffer
      - .actual_access:  read_only
        .address_space:  global
        .offset:         128
        .size:           8
        .value_kind:     global_buffer
      - .actual_access:  read_only
        .address_space:  global
        .offset:         136
        .size:           8
        .value_kind:     global_buffer
      - .actual_access:  write_only
        .address_space:  global
        .offset:         144
        .size:           8
        .value_kind:     global_buffer
      - .actual_access:  write_only
        .address_space:  global
        .offset:         152
        .size:           8
        .value_kind:     global_buffer
      - .offset:         160
        .size:           4
        .value_kind:     by_value
      - .offset:         164
        .size:           4
        .value_kind:     by_value
      - .offset:         168
        .size:           4
        .value_kind:     by_value
      - .offset:         172
        .size:           4
        .value_kind:     by_value
      - .offset:         176
        .size:           1
        .value_kind:     by_value
      - .offset:         177
        .size:           1
        .value_kind:     by_value
      - .offset:         178
        .size:           1
        .value_kind:     by_value
    .group_segment_fixed_size: 16640
    .kernarg_segment_align: 8
    .kernarg_segment_size: 180
    .language:       OpenCL C
    .language_version:
      - 2
      - 0
    .max_flat_workgroup_size: 256
    .name:           _ZN9rocsparseL23bsrgemm_fill_wf_per_rowILj256ELj64ELj8ELj137ELj8ElldEEv20rocsparse_direction_T5_S2_S2_PKS2_S4_NS_24const_host_device_scalarIT6_EEPKT4_S4_PKS6_SA_S4_SC_S7_SA_S4_SC_SA_PS2_PS6_21rocsparse_index_base_SF_SF_SF_bbb
    .private_segment_fixed_size: 0
    .sgpr_count:     71
    .sgpr_spill_count: 0
    .symbol:         _ZN9rocsparseL23bsrgemm_fill_wf_per_rowILj256ELj64ELj8ELj137ELj8ElldEEv20rocsparse_direction_T5_S2_S2_PKS2_S4_NS_24const_host_device_scalarIT6_EEPKT4_S4_PKS6_SA_S4_SC_S7_SA_S4_SC_SA_PS2_PS6_21rocsparse_index_base_SF_SF_SF_bbb.kd
    .uniform_work_group_size: 1
    .uses_dynamic_stack: false
    .vgpr_count:     50
    .vgpr_spill_count: 0
    .wavefront_size: 64
  - .agpr_count:     0
    .args:
      - .offset:         0
        .size:           4
        .value_kind:     by_value
      - .offset:         8
        .size:           8
        .value_kind:     by_value
      - .offset:         16
        .size:           8
        .value_kind:     by_value
      - .actual_access:  read_only
        .address_space:  global
        .offset:         24
        .size:           8
        .value_kind:     global_buffer
      - .actual_access:  read_only
        .address_space:  global
        .offset:         32
        .size:           8
        .value_kind:     global_buffer
      - .offset:         40
        .size:           8
        .value_kind:     by_value
      - .actual_access:  read_only
        .address_space:  global
        .offset:         48
        .size:           8
        .value_kind:     global_buffer
      - .actual_access:  read_only
        .address_space:  global
        .offset:         56
        .size:           8
        .value_kind:     global_buffer
      - .actual_access:  read_only
        .address_space:  global
        .offset:         64
        .size:           8
        .value_kind:     global_buffer
      - .actual_access:  read_only
        .address_space:  global
        .offset:         72
        .size:           8
        .value_kind:     global_buffer
      - .actual_access:  read_only
        .address_space:  global
        .offset:         80
        .size:           8
        .value_kind:     global_buffer
      - .actual_access:  read_only
        .address_space:  global
        .offset:         88
        .size:           8
        .value_kind:     global_buffer
      - .offset:         96
        .size:           8
        .value_kind:     by_value
      - .actual_access:  read_only
        .address_space:  global
        .offset:         104
        .size:           8
        .value_kind:     global_buffer
      - .actual_access:  read_only
        .address_space:  global
        .offset:         112
        .size:           8
        .value_kind:     global_buffer
      - .actual_access:  read_only
        .address_space:  global
        .offset:         120
        .size:           8
        .value_kind:     global_buffer
      - .actual_access:  read_only
        .address_space:  global
        .offset:         128
        .size:           8
        .value_kind:     global_buffer
      - .actual_access:  write_only
        .address_space:  global
        .offset:         136
        .size:           8
        .value_kind:     global_buffer
      - .actual_access:  write_only
        .address_space:  global
        .offset:         144
        .size:           8
        .value_kind:     global_buffer
      - .address_space:  global
        .offset:         152
        .size:           8
        .value_kind:     global_buffer
      - .offset:         160
        .size:           4
        .value_kind:     by_value
      - .offset:         164
        .size:           4
        .value_kind:     by_value
      - .offset:         168
        .size:           4
        .value_kind:     by_value
      - .offset:         172
        .size:           4
        .value_kind:     by_value
      - .offset:         176
        .size:           1
        .value_kind:     by_value
      - .offset:         177
        .size:           1
        .value_kind:     by_value
      - .offset:         178
        .size:           1
        .value_kind:     by_value
    .group_segment_fixed_size: 10312
    .kernarg_segment_align: 8
    .kernarg_segment_size: 180
    .language:       OpenCL C
    .language_version:
      - 2
      - 0
    .max_flat_workgroup_size: 256
    .name:           _ZN9rocsparseL38bsrgemm_block_per_row_atomic_multipassILj256ELj16ELj8ElldEEv20rocsparse_direction_T3_S2_PKS2_S4_NS_24const_host_device_scalarIT4_EEPKT2_S4_PKS6_SA_S4_SC_S7_SA_S4_SC_SA_PS2_PS6_PS8_21rocsparse_index_base_SG_SG_SG_bbb
    .private_segment_fixed_size: 0
    .sgpr_count:     95
    .sgpr_spill_count: 0
    .symbol:         _ZN9rocsparseL38bsrgemm_block_per_row_atomic_multipassILj256ELj16ELj8ElldEEv20rocsparse_direction_T3_S2_PKS2_S4_NS_24const_host_device_scalarIT4_EEPKT2_S4_PKS6_SA_S4_SC_S7_SA_S4_SC_SA_PS2_PS6_PS8_21rocsparse_index_base_SG_SG_SG_bbb.kd
    .uniform_work_group_size: 1
    .uses_dynamic_stack: false
    .vgpr_count:     66
    .vgpr_spill_count: 0
    .wavefront_size: 64
  - .agpr_count:     0
    .args:
      - .offset:         0
        .size:           4
        .value_kind:     by_value
      - .offset:         8
        .size:           8
        .value_kind:     by_value
      - .offset:         16
        .size:           8
        .value_kind:     by_value
      - .actual_access:  read_only
        .address_space:  global
        .offset:         24
        .size:           8
        .value_kind:     global_buffer
      - .actual_access:  read_only
        .address_space:  global
        .offset:         32
        .size:           8
        .value_kind:     global_buffer
      - .offset:         40
        .size:           8
        .value_kind:     by_value
      - .actual_access:  read_only
        .address_space:  global
        .offset:         48
        .size:           8
        .value_kind:     global_buffer
      - .actual_access:  read_only
        .address_space:  global
        .offset:         56
        .size:           8
        .value_kind:     global_buffer
      - .actual_access:  read_only
        .address_space:  global
        .offset:         64
        .size:           8
        .value_kind:     global_buffer
      - .actual_access:  read_only
        .address_space:  global
        .offset:         72
        .size:           8
        .value_kind:     global_buffer
      - .actual_access:  read_only
        .address_space:  global
        .offset:         80
        .size:           8
        .value_kind:     global_buffer
      - .actual_access:  read_only
        .address_space:  global
        .offset:         88
        .size:           8
        .value_kind:     global_buffer
      - .offset:         96
        .size:           8
        .value_kind:     by_value
      - .actual_access:  read_only
        .address_space:  global
        .offset:         104
        .size:           8
        .value_kind:     global_buffer
      - .actual_access:  read_only
        .address_space:  global
        .offset:         112
        .size:           8
        .value_kind:     global_buffer
      - .actual_access:  read_only
        .address_space:  global
        .offset:         120
        .size:           8
        .value_kind:     global_buffer
      - .actual_access:  read_only
        .address_space:  global
        .offset:         128
        .size:           8
        .value_kind:     global_buffer
      - .actual_access:  write_only
        .address_space:  global
        .offset:         136
        .size:           8
        .value_kind:     global_buffer
      - .actual_access:  write_only
        .address_space:  global
        .offset:         144
        .size:           8
        .value_kind:     global_buffer
      - .address_space:  global
        .offset:         152
        .size:           8
        .value_kind:     global_buffer
      - .offset:         160
        .size:           4
        .value_kind:     by_value
      - .offset:         164
        .size:           4
        .value_kind:     by_value
      - .offset:         168
        .size:           4
        .value_kind:     by_value
      - .offset:         172
        .size:           4
        .value_kind:     by_value
      - .offset:         176
        .size:           1
        .value_kind:     by_value
      - .offset:         177
        .size:           1
        .value_kind:     by_value
      - .offset:         178
        .size:           1
        .value_kind:     by_value
    .group_segment_fixed_size: 18568
    .kernarg_segment_align: 8
    .kernarg_segment_size: 180
    .language:       OpenCL C
    .language_version:
      - 2
      - 0
    .max_flat_workgroup_size: 256
    .name:           _ZN9rocsparseL38bsrgemm_block_per_row_atomic_multipassILj256ELj32ELj8ElldEEv20rocsparse_direction_T3_S2_PKS2_S4_NS_24const_host_device_scalarIT4_EEPKT2_S4_PKS6_SA_S4_SC_S7_SA_S4_SC_SA_PS2_PS6_PS8_21rocsparse_index_base_SG_SG_SG_bbb
    .private_segment_fixed_size: 0
    .sgpr_count:     100
    .sgpr_spill_count: 0
    .symbol:         _ZN9rocsparseL38bsrgemm_block_per_row_atomic_multipassILj256ELj32ELj8ElldEEv20rocsparse_direction_T3_S2_PKS2_S4_NS_24const_host_device_scalarIT4_EEPKT2_S4_PKS6_SA_S4_SC_S7_SA_S4_SC_SA_PS2_PS6_PS8_21rocsparse_index_base_SG_SG_SG_bbb.kd
    .uniform_work_group_size: 1
    .uses_dynamic_stack: false
    .vgpr_count:     70
    .vgpr_spill_count: 0
    .wavefront_size: 64
  - .agpr_count:     0
    .args:
      - .offset:         0
        .size:           4
        .value_kind:     by_value
      - .offset:         8
        .size:           8
        .value_kind:     by_value
      - .offset:         16
        .size:           8
        .value_kind:     by_value
      - .actual_access:  read_only
        .address_space:  global
        .offset:         24
        .size:           8
        .value_kind:     global_buffer
      - .actual_access:  read_only
        .address_space:  global
        .offset:         32
        .size:           8
        .value_kind:     global_buffer
      - .offset:         40
        .size:           8
        .value_kind:     by_value
      - .actual_access:  read_only
        .address_space:  global
        .offset:         48
        .size:           8
        .value_kind:     global_buffer
      - .actual_access:  read_only
        .address_space:  global
        .offset:         56
        .size:           8
        .value_kind:     global_buffer
      - .actual_access:  read_only
        .address_space:  global
        .offset:         64
        .size:           8
        .value_kind:     global_buffer
      - .actual_access:  read_only
        .address_space:  global
        .offset:         72
        .size:           8
        .value_kind:     global_buffer
      - .actual_access:  read_only
        .address_space:  global
        .offset:         80
        .size:           8
        .value_kind:     global_buffer
      - .actual_access:  read_only
        .address_space:  global
        .offset:         88
        .size:           8
        .value_kind:     global_buffer
      - .offset:         96
        .size:           8
        .value_kind:     by_value
      - .actual_access:  read_only
        .address_space:  global
        .offset:         104
        .size:           8
        .value_kind:     global_buffer
      - .actual_access:  read_only
        .address_space:  global
        .offset:         112
        .size:           8
        .value_kind:     global_buffer
      - .actual_access:  read_only
        .address_space:  global
        .offset:         120
        .size:           8
        .value_kind:     global_buffer
      - .actual_access:  read_only
        .address_space:  global
        .offset:         128
        .size:           8
        .value_kind:     global_buffer
      - .actual_access:  write_only
        .address_space:  global
        .offset:         136
        .size:           8
        .value_kind:     global_buffer
      - .actual_access:  write_only
        .address_space:  global
        .offset:         144
        .size:           8
        .value_kind:     global_buffer
      - .address_space:  global
        .offset:         152
        .size:           8
        .value_kind:     global_buffer
      - .offset:         160
        .size:           4
        .value_kind:     by_value
      - .offset:         164
        .size:           4
        .value_kind:     by_value
      - .offset:         168
        .size:           4
        .value_kind:     by_value
      - .offset:         172
        .size:           4
        .value_kind:     by_value
      - .offset:         176
        .size:           1
        .value_kind:     by_value
      - .offset:         177
        .size:           1
        .value_kind:     by_value
      - .offset:         178
        .size:           1
        .value_kind:     by_value
    .group_segment_fixed_size: 16392
    .kernarg_segment_align: 8
    .kernarg_segment_size: 180
    .language:       OpenCL C
    .language_version:
      - 2
      - 0
    .max_flat_workgroup_size: 256
    .name:           _ZN9rocsparseL31bsrgemm_block_per_row_multipassILj256ELj8ELj16ElldEEv20rocsparse_direction_T3_S2_PKS2_S4_NS_24const_host_device_scalarIT4_EEPKT2_S4_PKS6_SA_S4_SC_S7_SA_S4_SC_SA_PS2_PS6_PS8_21rocsparse_index_base_SG_SG_SG_bbb
    .private_segment_fixed_size: 0
    .sgpr_count:     87
    .sgpr_spill_count: 0
    .symbol:         _ZN9rocsparseL31bsrgemm_block_per_row_multipassILj256ELj8ELj16ElldEEv20rocsparse_direction_T3_S2_PKS2_S4_NS_24const_host_device_scalarIT4_EEPKT2_S4_PKS6_SA_S4_SC_S7_SA_S4_SC_SA_PS2_PS6_PS8_21rocsparse_index_base_SG_SG_SG_bbb.kd
    .uniform_work_group_size: 1
    .uses_dynamic_stack: false
    .vgpr_count:     58
    .vgpr_spill_count: 0
    .wavefront_size: 64
  - .agpr_count:     0
    .args:
      - .offset:         0
        .size:           4
        .value_kind:     by_value
      - .offset:         8
        .size:           8
        .value_kind:     by_value
      - .offset:         16
        .size:           8
        .value_kind:     by_value
      - .actual_access:  read_only
        .address_space:  global
        .offset:         24
        .size:           8
        .value_kind:     global_buffer
      - .actual_access:  read_only
        .address_space:  global
        .offset:         32
        .size:           8
        .value_kind:     global_buffer
      - .offset:         40
        .size:           8
        .value_kind:     by_value
      - .actual_access:  read_only
        .address_space:  global
        .offset:         48
        .size:           8
        .value_kind:     global_buffer
      - .actual_access:  read_only
        .address_space:  global
        .offset:         56
        .size:           8
        .value_kind:     global_buffer
      - .actual_access:  read_only
        .address_space:  global
        .offset:         64
        .size:           8
        .value_kind:     global_buffer
      - .actual_access:  read_only
        .address_space:  global
        .offset:         72
        .size:           8
        .value_kind:     global_buffer
      - .actual_access:  read_only
        .address_space:  global
        .offset:         80
        .size:           8
        .value_kind:     global_buffer
      - .actual_access:  read_only
        .address_space:  global
        .offset:         88
        .size:           8
        .value_kind:     global_buffer
      - .offset:         96
        .size:           8
        .value_kind:     by_value
      - .actual_access:  read_only
        .address_space:  global
        .offset:         104
        .size:           8
        .value_kind:     global_buffer
      - .actual_access:  read_only
        .address_space:  global
        .offset:         112
        .size:           8
        .value_kind:     global_buffer
      - .actual_access:  read_only
        .address_space:  global
        .offset:         120
        .size:           8
        .value_kind:     global_buffer
      - .actual_access:  read_only
        .address_space:  global
        .offset:         128
        .size:           8
        .value_kind:     global_buffer
      - .actual_access:  write_only
        .address_space:  global
        .offset:         136
        .size:           8
        .value_kind:     global_buffer
      - .actual_access:  write_only
        .address_space:  global
        .offset:         144
        .size:           8
        .value_kind:     global_buffer
      - .address_space:  global
        .offset:         152
        .size:           8
        .value_kind:     global_buffer
      - .offset:         160
        .size:           4
        .value_kind:     by_value
      - .offset:         164
        .size:           4
        .value_kind:     by_value
      - .offset:         168
        .size:           4
        .value_kind:     by_value
      - .offset:         172
        .size:           4
        .value_kind:     by_value
      - .offset:         176
        .size:           1
        .value_kind:     by_value
      - .offset:         177
        .size:           1
        .value_kind:     by_value
      - .offset:         178
        .size:           1
        .value_kind:     by_value
    .group_segment_fixed_size: 16392
    .kernarg_segment_align: 8
    .kernarg_segment_size: 180
    .language:       OpenCL C
    .language_version:
      - 2
      - 0
    .max_flat_workgroup_size: 256
    .name:           _ZN9rocsparseL31bsrgemm_block_per_row_multipassILj256ELj2ELj32ElldEEv20rocsparse_direction_T3_S2_PKS2_S4_NS_24const_host_device_scalarIT4_EEPKT2_S4_PKS6_SA_S4_SC_S7_SA_S4_SC_SA_PS2_PS6_PS8_21rocsparse_index_base_SG_SG_SG_bbb
    .private_segment_fixed_size: 0
    .sgpr_count:     100
    .sgpr_spill_count: 0
    .symbol:         _ZN9rocsparseL31bsrgemm_block_per_row_multipassILj256ELj2ELj32ElldEEv20rocsparse_direction_T3_S2_PKS2_S4_NS_24const_host_device_scalarIT4_EEPKT2_S4_PKS6_SA_S4_SC_S7_SA_S4_SC_SA_PS2_PS6_PS8_21rocsparse_index_base_SG_SG_SG_bbb.kd
    .uniform_work_group_size: 1
    .uses_dynamic_stack: false
    .vgpr_count:     86
    .vgpr_spill_count: 0
    .wavefront_size: 64
  - .agpr_count:     0
    .args:
      - .offset:         0
        .size:           8
        .value_kind:     by_value
      - .actual_access:  read_only
        .address_space:  global
        .offset:         8
        .size:           8
        .value_kind:     global_buffer
      - .actual_access:  write_only
        .address_space:  global
        .offset:         16
        .size:           8
        .value_kind:     global_buffer
      - .actual_access:  write_only
        .address_space:  global
        .offset:         24
        .size:           8
        .value_kind:     global_buffer
      - .offset:         32
        .size:           4
        .value_kind:     hidden_block_count_x
      - .offset:         36
        .size:           4
        .value_kind:     hidden_block_count_y
      - .offset:         40
        .size:           4
        .value_kind:     hidden_block_count_z
      - .offset:         44
        .size:           2
        .value_kind:     hidden_group_size_x
      - .offset:         46
        .size:           2
        .value_kind:     hidden_group_size_y
      - .offset:         48
        .size:           2
        .value_kind:     hidden_group_size_z
      - .offset:         50
        .size:           2
        .value_kind:     hidden_remainder_x
      - .offset:         52
        .size:           2
        .value_kind:     hidden_remainder_y
      - .offset:         54
        .size:           2
        .value_kind:     hidden_remainder_z
      - .offset:         72
        .size:           8
        .value_kind:     hidden_global_offset_x
      - .offset:         80
        .size:           8
        .value_kind:     hidden_global_offset_y
      - .offset:         88
        .size:           8
        .value_kind:     hidden_global_offset_z
      - .offset:         96
        .size:           2
        .value_kind:     hidden_grid_dims
    .group_segment_fixed_size: 16384
    .kernarg_segment_align: 8
    .kernarg_segment_size: 288
    .language:       OpenCL C
    .language_version:
      - 2
      - 0
    .max_flat_workgroup_size: 256
    .name:           _ZN9rocsparseL26bsrgemm_group_reduce_part2ILj256ELj8ELj2E21rocsparse_complex_numIfEllEEvT4_PKT3_PS3_Pi
    .private_segment_fixed_size: 0
    .sgpr_count:     42
    .sgpr_spill_count: 0
    .symbol:         _ZN9rocsparseL26bsrgemm_group_reduce_part2ILj256ELj8ELj2E21rocsparse_complex_numIfEllEEvT4_PKT3_PS3_Pi.kd
    .uniform_work_group_size: 1
    .uses_dynamic_stack: false
    .vgpr_count:     26
    .vgpr_spill_count: 0
    .wavefront_size: 64
  - .agpr_count:     0
    .args:
      - .offset:         0
        .size:           8
        .value_kind:     by_value
      - .actual_access:  read_only
        .address_space:  global
        .offset:         8
        .size:           8
        .value_kind:     global_buffer
      - .actual_access:  write_only
        .address_space:  global
        .offset:         16
        .size:           8
        .value_kind:     global_buffer
      - .actual_access:  write_only
        .address_space:  global
        .offset:         24
        .size:           8
        .value_kind:     global_buffer
      - .offset:         32
        .size:           4
        .value_kind:     hidden_block_count_x
      - .offset:         36
        .size:           4
        .value_kind:     hidden_block_count_y
      - .offset:         40
        .size:           4
        .value_kind:     hidden_block_count_z
      - .offset:         44
        .size:           2
        .value_kind:     hidden_group_size_x
      - .offset:         46
        .size:           2
        .value_kind:     hidden_group_size_y
      - .offset:         48
        .size:           2
        .value_kind:     hidden_group_size_z
      - .offset:         50
        .size:           2
        .value_kind:     hidden_remainder_x
      - .offset:         52
        .size:           2
        .value_kind:     hidden_remainder_y
      - .offset:         54
        .size:           2
        .value_kind:     hidden_remainder_z
      - .offset:         72
        .size:           8
        .value_kind:     hidden_global_offset_x
      - .offset:         80
        .size:           8
        .value_kind:     hidden_global_offset_y
      - .offset:         88
        .size:           8
        .value_kind:     hidden_global_offset_z
      - .offset:         96
        .size:           2
        .value_kind:     hidden_grid_dims
    .group_segment_fixed_size: 16384
    .kernarg_segment_align: 8
    .kernarg_segment_size: 288
    .language:       OpenCL C
    .language_version:
      - 2
      - 0
    .max_flat_workgroup_size: 256
    .name:           _ZN9rocsparseL26bsrgemm_group_reduce_part2ILj256ELj8ELj8E21rocsparse_complex_numIfEllEEvT4_PKT3_PS3_Pi
    .private_segment_fixed_size: 0
    .sgpr_count:     42
    .sgpr_spill_count: 0
    .symbol:         _ZN9rocsparseL26bsrgemm_group_reduce_part2ILj256ELj8ELj8E21rocsparse_complex_numIfEllEEvT4_PKT3_PS3_Pi.kd
    .uniform_work_group_size: 1
    .uses_dynamic_stack: false
    .vgpr_count:     26
    .vgpr_spill_count: 0
    .wavefront_size: 64
  - .agpr_count:     0
    .args:
      - .offset:         0
        .size:           4
        .value_kind:     by_value
      - .offset:         8
        .size:           8
        .value_kind:     by_value
      - .offset:         16
        .size:           8
        .value_kind:     by_value
      - .actual_access:  read_only
        .address_space:  global
        .offset:         24
        .size:           8
        .value_kind:     global_buffer
      - .actual_access:  read_only
        .address_space:  global
        .offset:         32
        .size:           8
        .value_kind:     global_buffer
      - .offset:         40
        .size:           8
        .value_kind:     by_value
      - .actual_access:  read_only
        .address_space:  global
        .offset:         48
        .size:           8
        .value_kind:     global_buffer
      - .actual_access:  read_only
        .address_space:  global
        .offset:         56
        .size:           8
        .value_kind:     global_buffer
      - .actual_access:  read_only
        .address_space:  global
        .offset:         64
        .size:           8
        .value_kind:     global_buffer
      - .actual_access:  read_only
        .address_space:  global
        .offset:         72
        .size:           8
        .value_kind:     global_buffer
      - .actual_access:  read_only
        .address_space:  global
        .offset:         80
        .size:           8
        .value_kind:     global_buffer
      - .actual_access:  read_only
        .address_space:  global
        .offset:         88
        .size:           8
        .value_kind:     global_buffer
      - .offset:         96
        .size:           8
        .value_kind:     by_value
      - .actual_access:  read_only
        .address_space:  global
        .offset:         104
        .size:           8
        .value_kind:     global_buffer
      - .actual_access:  read_only
        .address_space:  global
        .offset:         112
        .size:           8
        .value_kind:     global_buffer
      - .actual_access:  read_only
        .address_space:  global
        .offset:         120
        .size:           8
        .value_kind:     global_buffer
      - .actual_access:  read_only
        .address_space:  global
        .offset:         128
        .size:           8
        .value_kind:     global_buffer
      - .actual_access:  write_only
        .address_space:  global
        .offset:         136
        .size:           8
        .value_kind:     global_buffer
      - .actual_access:  write_only
        .address_space:  global
        .offset:         144
        .size:           8
        .value_kind:     global_buffer
      - .offset:         152
        .size:           4
        .value_kind:     by_value
      - .offset:         156
        .size:           4
        .value_kind:     by_value
      - .offset:         160
        .size:           4
        .value_kind:     by_value
      - .offset:         164
        .size:           4
        .value_kind:     by_value
      - .offset:         168
        .size:           1
        .value_kind:     by_value
      - .offset:         169
        .size:           1
        .value_kind:     by_value
      - .offset:         170
        .size:           1
        .value_kind:     by_value
    .group_segment_fixed_size: 5120
    .kernarg_segment_align: 8
    .kernarg_segment_size: 172
    .language:       OpenCL C
    .language_version:
      - 2
      - 0
    .max_flat_workgroup_size: 256
    .name:           _ZN9rocsparseL27bsrgemm_fill_wf_per_row_2x2ILj256ELj16ELj8ELj137Ell21rocsparse_complex_numIfEEEv20rocsparse_direction_T4_S4_PKS4_S6_NS_24const_host_device_scalarIT5_EEPKT3_S6_PKS8_SC_S6_SE_S9_SC_S6_SE_SC_PS4_PS8_21rocsparse_index_base_SH_SH_SH_bbb
    .private_segment_fixed_size: 0
    .sgpr_count:     65
    .sgpr_spill_count: 0
    .symbol:         _ZN9rocsparseL27bsrgemm_fill_wf_per_row_2x2ILj256ELj16ELj8ELj137Ell21rocsparse_complex_numIfEEEv20rocsparse_direction_T4_S4_PKS4_S6_NS_24const_host_device_scalarIT5_EEPKT3_S6_PKS8_SC_S6_SE_S9_SC_S6_SE_SC_PS4_PS8_21rocsparse_index_base_SH_SH_SH_bbb.kd
    .uniform_work_group_size: 1
    .uses_dynamic_stack: false
    .vgpr_count:     41
    .vgpr_spill_count: 0
    .wavefront_size: 64
  - .agpr_count:     0
    .args:
      - .offset:         0
        .size:           4
        .value_kind:     by_value
      - .offset:         8
        .size:           8
        .value_kind:     by_value
      - .offset:         16
        .size:           8
        .value_kind:     by_value
      - .actual_access:  read_only
        .address_space:  global
        .offset:         24
        .size:           8
        .value_kind:     global_buffer
      - .actual_access:  read_only
        .address_space:  global
        .offset:         32
        .size:           8
        .value_kind:     global_buffer
      - .offset:         40
        .size:           8
        .value_kind:     by_value
      - .actual_access:  read_only
        .address_space:  global
        .offset:         48
        .size:           8
        .value_kind:     global_buffer
      - .actual_access:  read_only
        .address_space:  global
        .offset:         56
        .size:           8
        .value_kind:     global_buffer
      - .actual_access:  read_only
        .address_space:  global
        .offset:         64
        .size:           8
        .value_kind:     global_buffer
      - .actual_access:  read_only
        .address_space:  global
        .offset:         72
        .size:           8
        .value_kind:     global_buffer
      - .actual_access:  read_only
        .address_space:  global
        .offset:         80
        .size:           8
        .value_kind:     global_buffer
      - .actual_access:  read_only
        .address_space:  global
        .offset:         88
        .size:           8
        .value_kind:     global_buffer
      - .offset:         96
        .size:           8
        .value_kind:     by_value
      - .actual_access:  read_only
        .address_space:  global
        .offset:         104
        .size:           8
        .value_kind:     global_buffer
      - .actual_access:  read_only
        .address_space:  global
        .offset:         112
        .size:           8
        .value_kind:     global_buffer
      - .actual_access:  read_only
        .address_space:  global
        .offset:         120
        .size:           8
        .value_kind:     global_buffer
      - .actual_access:  read_only
        .address_space:  global
        .offset:         128
        .size:           8
        .value_kind:     global_buffer
      - .actual_access:  write_only
        .address_space:  global
        .offset:         136
        .size:           8
        .value_kind:     global_buffer
      - .actual_access:  write_only
        .address_space:  global
        .offset:         144
        .size:           8
        .value_kind:     global_buffer
      - .offset:         152
        .size:           4
        .value_kind:     by_value
      - .offset:         156
        .size:           4
        .value_kind:     by_value
      - .offset:         160
        .size:           4
        .value_kind:     by_value
      - .offset:         164
        .size:           4
        .value_kind:     by_value
      - .offset:         168
        .size:           1
        .value_kind:     by_value
      - .offset:         169
        .size:           1
        .value_kind:     by_value
      - .offset:         170
        .size:           1
        .value_kind:     by_value
    .group_segment_fixed_size: 10240
    .kernarg_segment_align: 8
    .kernarg_segment_size: 172
    .language:       OpenCL C
    .language_version:
      - 2
      - 0
    .max_flat_workgroup_size: 256
    .name:           _ZN9rocsparseL27bsrgemm_fill_wf_per_row_2x2ILj256ELj16ELj16ELj137Ell21rocsparse_complex_numIfEEEv20rocsparse_direction_T4_S4_PKS4_S6_NS_24const_host_device_scalarIT5_EEPKT3_S6_PKS8_SC_S6_SE_S9_SC_S6_SE_SC_PS4_PS8_21rocsparse_index_base_SH_SH_SH_bbb
    .private_segment_fixed_size: 0
    .sgpr_count:     63
    .sgpr_spill_count: 0
    .symbol:         _ZN9rocsparseL27bsrgemm_fill_wf_per_row_2x2ILj256ELj16ELj16ELj137Ell21rocsparse_complex_numIfEEEv20rocsparse_direction_T4_S4_PKS4_S6_NS_24const_host_device_scalarIT5_EEPKT3_S6_PKS8_SC_S6_SE_S9_SC_S6_SE_SC_PS4_PS8_21rocsparse_index_base_SH_SH_SH_bbb.kd
    .uniform_work_group_size: 1
    .uses_dynamic_stack: false
    .vgpr_count:     42
    .vgpr_spill_count: 0
    .wavefront_size: 64
  - .agpr_count:     0
    .args:
      - .offset:         0
        .size:           4
        .value_kind:     by_value
      - .offset:         8
        .size:           8
        .value_kind:     by_value
      - .offset:         16
        .size:           8
        .value_kind:     by_value
      - .actual_access:  read_only
        .address_space:  global
        .offset:         24
        .size:           8
        .value_kind:     global_buffer
      - .actual_access:  read_only
        .address_space:  global
        .offset:         32
        .size:           8
        .value_kind:     global_buffer
      - .offset:         40
        .size:           8
        .value_kind:     by_value
      - .actual_access:  read_only
        .address_space:  global
        .offset:         48
        .size:           8
        .value_kind:     global_buffer
      - .actual_access:  read_only
        .address_space:  global
        .offset:         56
        .size:           8
        .value_kind:     global_buffer
      - .actual_access:  read_only
        .address_space:  global
        .offset:         64
        .size:           8
        .value_kind:     global_buffer
      - .actual_access:  read_only
        .address_space:  global
        .offset:         72
        .size:           8
        .value_kind:     global_buffer
      - .actual_access:  read_only
        .address_space:  global
        .offset:         80
        .size:           8
        .value_kind:     global_buffer
      - .actual_access:  read_only
        .address_space:  global
        .offset:         88
        .size:           8
        .value_kind:     global_buffer
      - .offset:         96
        .size:           8
        .value_kind:     by_value
      - .actual_access:  read_only
        .address_space:  global
        .offset:         104
        .size:           8
        .value_kind:     global_buffer
      - .actual_access:  read_only
        .address_space:  global
        .offset:         112
        .size:           8
        .value_kind:     global_buffer
      - .actual_access:  read_only
        .address_space:  global
        .offset:         120
        .size:           8
        .value_kind:     global_buffer
      - .actual_access:  read_only
        .address_space:  global
        .offset:         128
        .size:           8
        .value_kind:     global_buffer
      - .actual_access:  write_only
        .address_space:  global
        .offset:         136
        .size:           8
        .value_kind:     global_buffer
      - .actual_access:  write_only
        .address_space:  global
        .offset:         144
        .size:           8
        .value_kind:     global_buffer
      - .offset:         152
        .size:           4
        .value_kind:     by_value
      - .offset:         156
        .size:           4
        .value_kind:     by_value
      - .offset:         160
        .size:           4
        .value_kind:     by_value
      - .offset:         164
        .size:           4
        .value_kind:     by_value
      - .offset:         168
        .size:           1
        .value_kind:     by_value
      - .offset:         169
        .size:           1
        .value_kind:     by_value
      - .offset:         170
        .size:           1
        .value_kind:     by_value
    .group_segment_fixed_size: 20480
    .kernarg_segment_align: 8
    .kernarg_segment_size: 172
    .language:       OpenCL C
    .language_version:
      - 2
      - 0
    .max_flat_workgroup_size: 256
    .name:           _ZN9rocsparseL27bsrgemm_fill_wf_per_row_2x2ILj256ELj16ELj32ELj137Ell21rocsparse_complex_numIfEEEv20rocsparse_direction_T4_S4_PKS4_S6_NS_24const_host_device_scalarIT5_EEPKT3_S6_PKS8_SC_S6_SE_S9_SC_S6_SE_SC_PS4_PS8_21rocsparse_index_base_SH_SH_SH_bbb
    .private_segment_fixed_size: 0
    .sgpr_count:     63
    .sgpr_spill_count: 0
    .symbol:         _ZN9rocsparseL27bsrgemm_fill_wf_per_row_2x2ILj256ELj16ELj32ELj137Ell21rocsparse_complex_numIfEEEv20rocsparse_direction_T4_S4_PKS4_S6_NS_24const_host_device_scalarIT5_EEPKT3_S6_PKS8_SC_S6_SE_S9_SC_S6_SE_SC_PS4_PS8_21rocsparse_index_base_SH_SH_SH_bbb.kd
    .uniform_work_group_size: 1
    .uses_dynamic_stack: false
    .vgpr_count:     43
    .vgpr_spill_count: 0
    .wavefront_size: 64
  - .agpr_count:     0
    .args:
      - .offset:         0
        .size:           4
        .value_kind:     by_value
      - .offset:         8
        .size:           8
        .value_kind:     by_value
      - .offset:         16
        .size:           8
        .value_kind:     by_value
      - .actual_access:  read_only
        .address_space:  global
        .offset:         24
        .size:           8
        .value_kind:     global_buffer
      - .actual_access:  read_only
        .address_space:  global
        .offset:         32
        .size:           8
        .value_kind:     global_buffer
      - .offset:         40
        .size:           8
        .value_kind:     by_value
      - .actual_access:  read_only
        .address_space:  global
        .offset:         48
        .size:           8
        .value_kind:     global_buffer
      - .actual_access:  read_only
        .address_space:  global
        .offset:         56
        .size:           8
        .value_kind:     global_buffer
      - .actual_access:  read_only
        .address_space:  global
        .offset:         64
        .size:           8
        .value_kind:     global_buffer
      - .actual_access:  read_only
        .address_space:  global
        .offset:         72
        .size:           8
        .value_kind:     global_buffer
      - .actual_access:  read_only
        .address_space:  global
        .offset:         80
        .size:           8
        .value_kind:     global_buffer
      - .actual_access:  read_only
        .address_space:  global
        .offset:         88
        .size:           8
        .value_kind:     global_buffer
      - .offset:         96
        .size:           8
        .value_kind:     by_value
      - .actual_access:  read_only
        .address_space:  global
        .offset:         104
        .size:           8
        .value_kind:     global_buffer
      - .actual_access:  read_only
        .address_space:  global
        .offset:         112
        .size:           8
        .value_kind:     global_buffer
      - .actual_access:  read_only
        .address_space:  global
        .offset:         120
        .size:           8
        .value_kind:     global_buffer
      - .actual_access:  read_only
        .address_space:  global
        .offset:         128
        .size:           8
        .value_kind:     global_buffer
      - .actual_access:  write_only
        .address_space:  global
        .offset:         136
        .size:           8
        .value_kind:     global_buffer
      - .actual_access:  write_only
        .address_space:  global
        .offset:         144
        .size:           8
        .value_kind:     global_buffer
      - .offset:         152
        .size:           4
        .value_kind:     by_value
      - .offset:         156
        .size:           4
        .value_kind:     by_value
      - .offset:         160
        .size:           4
        .value_kind:     by_value
      - .offset:         164
        .size:           4
        .value_kind:     by_value
      - .offset:         168
        .size:           1
        .value_kind:     by_value
      - .offset:         169
        .size:           1
        .value_kind:     by_value
      - .offset:         170
        .size:           1
        .value_kind:     by_value
    .group_segment_fixed_size: 0
    .kernarg_segment_align: 8
    .kernarg_segment_size: 172
    .language:       OpenCL C
    .language_version:
      - 2
      - 0
    .max_flat_workgroup_size: 256
    .name:           _ZN9rocsparseL30bsrgemm_fill_block_per_row_2x2ILj256ELj16ELj64ELj137Ell21rocsparse_complex_numIfEEEv20rocsparse_direction_T4_S4_PKS4_S6_NS_24const_host_device_scalarIT5_EEPKT3_S6_PKS8_SC_S6_SE_S9_SC_S6_SE_SC_PS4_PS8_21rocsparse_index_base_SH_SH_SH_bbb
    .private_segment_fixed_size: 0
    .sgpr_count:     69
    .sgpr_spill_count: 0
    .symbol:         _ZN9rocsparseL30bsrgemm_fill_block_per_row_2x2ILj256ELj16ELj64ELj137Ell21rocsparse_complex_numIfEEEv20rocsparse_direction_T4_S4_PKS4_S6_NS_24const_host_device_scalarIT5_EEPKT3_S6_PKS8_SC_S6_SE_S9_SC_S6_SE_SC_PS4_PS8_21rocsparse_index_base_SH_SH_SH_bbb.kd
    .uniform_work_group_size: 1
    .uses_dynamic_stack: false
    .vgpr_count:     40
    .vgpr_spill_count: 0
    .wavefront_size: 64
  - .agpr_count:     0
    .args:
      - .offset:         0
        .size:           4
        .value_kind:     by_value
      - .offset:         8
        .size:           8
        .value_kind:     by_value
      - .offset:         16
        .size:           8
        .value_kind:     by_value
      - .actual_access:  read_only
        .address_space:  global
        .offset:         24
        .size:           8
        .value_kind:     global_buffer
      - .actual_access:  read_only
        .address_space:  global
        .offset:         32
        .size:           8
        .value_kind:     global_buffer
      - .offset:         40
        .size:           8
        .value_kind:     by_value
      - .actual_access:  read_only
        .address_space:  global
        .offset:         48
        .size:           8
        .value_kind:     global_buffer
      - .actual_access:  read_only
        .address_space:  global
        .offset:         56
        .size:           8
        .value_kind:     global_buffer
      - .actual_access:  read_only
        .address_space:  global
        .offset:         64
        .size:           8
        .value_kind:     global_buffer
      - .actual_access:  read_only
        .address_space:  global
        .offset:         72
        .size:           8
        .value_kind:     global_buffer
      - .actual_access:  read_only
        .address_space:  global
        .offset:         80
        .size:           8
        .value_kind:     global_buffer
      - .actual_access:  read_only
        .address_space:  global
        .offset:         88
        .size:           8
        .value_kind:     global_buffer
      - .offset:         96
        .size:           8
        .value_kind:     by_value
      - .actual_access:  read_only
        .address_space:  global
        .offset:         104
        .size:           8
        .value_kind:     global_buffer
      - .actual_access:  read_only
        .address_space:  global
        .offset:         112
        .size:           8
        .value_kind:     global_buffer
      - .actual_access:  read_only
        .address_space:  global
        .offset:         120
        .size:           8
        .value_kind:     global_buffer
      - .actual_access:  read_only
        .address_space:  global
        .offset:         128
        .size:           8
        .value_kind:     global_buffer
      - .actual_access:  write_only
        .address_space:  global
        .offset:         136
        .size:           8
        .value_kind:     global_buffer
      - .actual_access:  write_only
        .address_space:  global
        .offset:         144
        .size:           8
        .value_kind:     global_buffer
      - .offset:         152
        .size:           4
        .value_kind:     by_value
      - .offset:         156
        .size:           4
        .value_kind:     by_value
      - .offset:         160
        .size:           4
        .value_kind:     by_value
      - .offset:         164
        .size:           4
        .value_kind:     by_value
      - .offset:         168
        .size:           1
        .value_kind:     by_value
      - .offset:         169
        .size:           1
        .value_kind:     by_value
      - .offset:         170
        .size:           1
        .value_kind:     by_value
    .group_segment_fixed_size: 0
    .kernarg_segment_align: 8
    .kernarg_segment_size: 172
    .language:       OpenCL C
    .language_version:
      - 2
      - 0
    .max_flat_workgroup_size: 256
    .name:           _ZN9rocsparseL30bsrgemm_fill_block_per_row_2x2ILj256ELj16ELj128ELj137Ell21rocsparse_complex_numIfEEEv20rocsparse_direction_T4_S4_PKS4_S6_NS_24const_host_device_scalarIT5_EEPKT3_S6_PKS8_SC_S6_SE_S9_SC_S6_SE_SC_PS4_PS8_21rocsparse_index_base_SH_SH_SH_bbb
    .private_segment_fixed_size: 0
    .sgpr_count:     69
    .sgpr_spill_count: 0
    .symbol:         _ZN9rocsparseL30bsrgemm_fill_block_per_row_2x2ILj256ELj16ELj128ELj137Ell21rocsparse_complex_numIfEEEv20rocsparse_direction_T4_S4_PKS4_S6_NS_24const_host_device_scalarIT5_EEPKT3_S6_PKS8_SC_S6_SE_S9_SC_S6_SE_SC_PS4_PS8_21rocsparse_index_base_SH_SH_SH_bbb.kd
    .uniform_work_group_size: 1
    .uses_dynamic_stack: false
    .vgpr_count:     40
    .vgpr_spill_count: 0
    .wavefront_size: 64
  - .agpr_count:     0
    .args:
      - .offset:         0
        .size:           4
        .value_kind:     by_value
      - .offset:         8
        .size:           8
        .value_kind:     by_value
      - .offset:         16
        .size:           8
        .value_kind:     by_value
      - .actual_access:  read_only
        .address_space:  global
        .offset:         24
        .size:           8
        .value_kind:     global_buffer
      - .actual_access:  read_only
        .address_space:  global
        .offset:         32
        .size:           8
        .value_kind:     global_buffer
      - .offset:         40
        .size:           8
        .value_kind:     by_value
      - .actual_access:  read_only
        .address_space:  global
        .offset:         48
        .size:           8
        .value_kind:     global_buffer
      - .actual_access:  read_only
        .address_space:  global
        .offset:         56
        .size:           8
        .value_kind:     global_buffer
      - .actual_access:  read_only
        .address_space:  global
        .offset:         64
        .size:           8
        .value_kind:     global_buffer
      - .actual_access:  read_only
        .address_space:  global
        .offset:         72
        .size:           8
        .value_kind:     global_buffer
      - .actual_access:  read_only
        .address_space:  global
        .offset:         80
        .size:           8
        .value_kind:     global_buffer
      - .actual_access:  read_only
        .address_space:  global
        .offset:         88
        .size:           8
        .value_kind:     global_buffer
      - .offset:         96
        .size:           8
        .value_kind:     by_value
      - .actual_access:  read_only
        .address_space:  global
        .offset:         104
        .size:           8
        .value_kind:     global_buffer
      - .actual_access:  read_only
        .address_space:  global
        .offset:         112
        .size:           8
        .value_kind:     global_buffer
      - .actual_access:  read_only
        .address_space:  global
        .offset:         120
        .size:           8
        .value_kind:     global_buffer
      - .actual_access:  read_only
        .address_space:  global
        .offset:         128
        .size:           8
        .value_kind:     global_buffer
      - .actual_access:  write_only
        .address_space:  global
        .offset:         136
        .size:           8
        .value_kind:     global_buffer
      - .actual_access:  write_only
        .address_space:  global
        .offset:         144
        .size:           8
        .value_kind:     global_buffer
      - .offset:         152
        .size:           4
        .value_kind:     by_value
      - .offset:         156
        .size:           4
        .value_kind:     by_value
      - .offset:         160
        .size:           4
        .value_kind:     by_value
      - .offset:         164
        .size:           4
        .value_kind:     by_value
      - .offset:         168
        .size:           1
        .value_kind:     by_value
      - .offset:         169
        .size:           1
        .value_kind:     by_value
      - .offset:         170
        .size:           1
        .value_kind:     by_value
    .group_segment_fixed_size: 0
    .kernarg_segment_align: 8
    .kernarg_segment_size: 172
    .language:       OpenCL C
    .language_version:
      - 2
      - 0
    .max_flat_workgroup_size: 256
    .name:           _ZN9rocsparseL30bsrgemm_fill_block_per_row_2x2ILj256ELj16ELj256ELj137Ell21rocsparse_complex_numIfEEEv20rocsparse_direction_T4_S4_PKS4_S6_NS_24const_host_device_scalarIT5_EEPKT3_S6_PKS8_SC_S6_SE_S9_SC_S6_SE_SC_PS4_PS8_21rocsparse_index_base_SH_SH_SH_bbb
    .private_segment_fixed_size: 0
    .sgpr_count:     69
    .sgpr_spill_count: 0
    .symbol:         _ZN9rocsparseL30bsrgemm_fill_block_per_row_2x2ILj256ELj16ELj256ELj137Ell21rocsparse_complex_numIfEEEv20rocsparse_direction_T4_S4_PKS4_S6_NS_24const_host_device_scalarIT5_EEPKT3_S6_PKS8_SC_S6_SE_S9_SC_S6_SE_SC_PS4_PS8_21rocsparse_index_base_SH_SH_SH_bbb.kd
    .uniform_work_group_size: 1
    .uses_dynamic_stack: false
    .vgpr_count:     40
    .vgpr_spill_count: 0
    .wavefront_size: 64
  - .agpr_count:     0
    .args:
      - .offset:         0
        .size:           4
        .value_kind:     by_value
      - .offset:         8
        .size:           8
        .value_kind:     by_value
      - .offset:         16
        .size:           8
        .value_kind:     by_value
      - .actual_access:  read_only
        .address_space:  global
        .offset:         24
        .size:           8
        .value_kind:     global_buffer
      - .actual_access:  read_only
        .address_space:  global
        .offset:         32
        .size:           8
        .value_kind:     global_buffer
      - .offset:         40
        .size:           8
        .value_kind:     by_value
      - .actual_access:  read_only
        .address_space:  global
        .offset:         48
        .size:           8
        .value_kind:     global_buffer
      - .actual_access:  read_only
        .address_space:  global
        .offset:         56
        .size:           8
        .value_kind:     global_buffer
      - .actual_access:  read_only
        .address_space:  global
        .offset:         64
        .size:           8
        .value_kind:     global_buffer
      - .actual_access:  read_only
        .address_space:  global
        .offset:         72
        .size:           8
        .value_kind:     global_buffer
      - .actual_access:  read_only
        .address_space:  global
        .offset:         80
        .size:           8
        .value_kind:     global_buffer
      - .actual_access:  read_only
        .address_space:  global
        .offset:         88
        .size:           8
        .value_kind:     global_buffer
      - .offset:         96
        .size:           8
        .value_kind:     by_value
      - .actual_access:  read_only
        .address_space:  global
        .offset:         104
        .size:           8
        .value_kind:     global_buffer
      - .actual_access:  read_only
        .address_space:  global
        .offset:         112
        .size:           8
        .value_kind:     global_buffer
      - .actual_access:  read_only
        .address_space:  global
        .offset:         120
        .size:           8
        .value_kind:     global_buffer
      - .actual_access:  read_only
        .address_space:  global
        .offset:         128
        .size:           8
        .value_kind:     global_buffer
      - .actual_access:  write_only
        .address_space:  global
        .offset:         136
        .size:           8
        .value_kind:     global_buffer
      - .actual_access:  write_only
        .address_space:  global
        .offset:         144
        .size:           8
        .value_kind:     global_buffer
      - .offset:         152
        .size:           4
        .value_kind:     by_value
      - .offset:         156
        .size:           4
        .value_kind:     by_value
      - .offset:         160
        .size:           4
        .value_kind:     by_value
      - .offset:         164
        .size:           4
        .value_kind:     by_value
      - .offset:         168
        .size:           1
        .value_kind:     by_value
      - .offset:         169
        .size:           1
        .value_kind:     by_value
      - .offset:         170
        .size:           1
        .value_kind:     by_value
    .group_segment_fixed_size: 0
    .kernarg_segment_align: 8
    .kernarg_segment_size: 172
    .language:       OpenCL C
    .language_version:
      - 2
      - 0
    .max_flat_workgroup_size: 256
    .name:           _ZN9rocsparseL30bsrgemm_fill_block_per_row_2x2ILj256ELj16ELj512ELj137Ell21rocsparse_complex_numIfEEEv20rocsparse_direction_T4_S4_PKS4_S6_NS_24const_host_device_scalarIT5_EEPKT3_S6_PKS8_SC_S6_SE_S9_SC_S6_SE_SC_PS4_PS8_21rocsparse_index_base_SH_SH_SH_bbb
    .private_segment_fixed_size: 0
    .sgpr_count:     69
    .sgpr_spill_count: 0
    .symbol:         _ZN9rocsparseL30bsrgemm_fill_block_per_row_2x2ILj256ELj16ELj512ELj137Ell21rocsparse_complex_numIfEEEv20rocsparse_direction_T4_S4_PKS4_S6_NS_24const_host_device_scalarIT5_EEPKT3_S6_PKS8_SC_S6_SE_S9_SC_S6_SE_SC_PS4_PS8_21rocsparse_index_base_SH_SH_SH_bbb.kd
    .uniform_work_group_size: 1
    .uses_dynamic_stack: false
    .vgpr_count:     39
    .vgpr_spill_count: 0
    .wavefront_size: 64
  - .agpr_count:     0
    .args:
      - .offset:         0
        .size:           4
        .value_kind:     by_value
      - .offset:         8
        .size:           8
        .value_kind:     by_value
      - .offset:         16
        .size:           8
        .value_kind:     by_value
      - .actual_access:  read_only
        .address_space:  global
        .offset:         24
        .size:           8
        .value_kind:     global_buffer
      - .actual_access:  read_only
        .address_space:  global
        .offset:         32
        .size:           8
        .value_kind:     global_buffer
      - .offset:         40
        .size:           8
        .value_kind:     by_value
      - .actual_access:  read_only
        .address_space:  global
        .offset:         48
        .size:           8
        .value_kind:     global_buffer
      - .actual_access:  read_only
        .address_space:  global
        .offset:         56
        .size:           8
        .value_kind:     global_buffer
      - .actual_access:  read_only
        .address_space:  global
        .offset:         64
        .size:           8
        .value_kind:     global_buffer
      - .actual_access:  read_only
        .address_space:  global
        .offset:         72
        .size:           8
        .value_kind:     global_buffer
      - .actual_access:  read_only
        .address_space:  global
        .offset:         80
        .size:           8
        .value_kind:     global_buffer
      - .actual_access:  read_only
        .address_space:  global
        .offset:         88
        .size:           8
        .value_kind:     global_buffer
      - .offset:         96
        .size:           8
        .value_kind:     by_value
      - .actual_access:  read_only
        .address_space:  global
        .offset:         104
        .size:           8
        .value_kind:     global_buffer
      - .actual_access:  read_only
        .address_space:  global
        .offset:         112
        .size:           8
        .value_kind:     global_buffer
      - .actual_access:  read_only
        .address_space:  global
        .offset:         120
        .size:           8
        .value_kind:     global_buffer
      - .actual_access:  read_only
        .address_space:  global
        .offset:         128
        .size:           8
        .value_kind:     global_buffer
      - .actual_access:  write_only
        .address_space:  global
        .offset:         136
        .size:           8
        .value_kind:     global_buffer
      - .actual_access:  write_only
        .address_space:  global
        .offset:         144
        .size:           8
        .value_kind:     global_buffer
      - .address_space:  global
        .offset:         152
        .size:           8
        .value_kind:     global_buffer
      - .offset:         160
        .size:           4
        .value_kind:     by_value
      - .offset:         164
        .size:           4
        .value_kind:     by_value
      - .offset:         168
        .size:           4
        .value_kind:     by_value
      - .offset:         172
        .size:           4
        .value_kind:     by_value
      - .offset:         176
        .size:           1
        .value_kind:     by_value
      - .offset:         177
        .size:           1
        .value_kind:     by_value
      - .offset:         178
        .size:           1
        .value_kind:     by_value
    .group_segment_fixed_size: 11272
    .kernarg_segment_align: 8
    .kernarg_segment_size: 180
    .language:       OpenCL C
    .language_version:
      - 2
      - 0
    .max_flat_workgroup_size: 256
    .name:           _ZN9rocsparseL38bsrgemm_block_per_row_atomic_multipassILj256ELj256ELj2Ell21rocsparse_complex_numIfEEEv20rocsparse_direction_T3_S4_PKS4_S6_NS_24const_host_device_scalarIT4_EEPKT2_S6_PKS8_SC_S6_SE_S9_SC_S6_SE_SC_PS4_PS8_PSA_21rocsparse_index_base_SI_SI_SI_bbb
    .private_segment_fixed_size: 0
    .sgpr_count:     100
    .sgpr_spill_count: 16
    .symbol:         _ZN9rocsparseL38bsrgemm_block_per_row_atomic_multipassILj256ELj256ELj2Ell21rocsparse_complex_numIfEEEv20rocsparse_direction_T3_S4_PKS4_S6_NS_24const_host_device_scalarIT4_EEPKT2_S6_PKS8_SC_S6_SE_S9_SC_S6_SE_SC_PS4_PS8_PSA_21rocsparse_index_base_SI_SI_SI_bbb.kd
    .uniform_work_group_size: 1
    .uses_dynamic_stack: false
    .vgpr_count:     67
    .vgpr_spill_count: 0
    .wavefront_size: 64
  - .agpr_count:     0
    .args:
      - .offset:         0
        .size:           4
        .value_kind:     by_value
      - .offset:         8
        .size:           8
        .value_kind:     by_value
      - .offset:         16
        .size:           8
        .value_kind:     by_value
      - .offset:         24
        .size:           8
        .value_kind:     by_value
      - .actual_access:  read_only
        .address_space:  global
        .offset:         32
        .size:           8
        .value_kind:     global_buffer
      - .actual_access:  read_only
        .address_space:  global
        .offset:         40
        .size:           8
        .value_kind:     global_buffer
      - .offset:         48
        .size:           8
        .value_kind:     by_value
      - .actual_access:  read_only
        .address_space:  global
        .offset:         56
        .size:           8
        .value_kind:     global_buffer
      - .actual_access:  read_only
        .address_space:  global
        .offset:         64
        .size:           8
        .value_kind:     global_buffer
      - .actual_access:  read_only
        .address_space:  global
        .offset:         72
        .size:           8
        .value_kind:     global_buffer
      - .actual_access:  read_only
        .address_space:  global
        .offset:         80
        .size:           8
        .value_kind:     global_buffer
      - .actual_access:  read_only
        .address_space:  global
        .offset:         88
        .size:           8
        .value_kind:     global_buffer
      - .actual_access:  read_only
        .address_space:  global
        .offset:         96
        .size:           8
        .value_kind:     global_buffer
      - .offset:         104
        .size:           8
        .value_kind:     by_value
      - .actual_access:  read_only
        .address_space:  global
        .offset:         112
        .size:           8
        .value_kind:     global_buffer
      - .actual_access:  read_only
        .address_space:  global
        .offset:         120
        .size:           8
        .value_kind:     global_buffer
      - .actual_access:  read_only
        .address_space:  global
        .offset:         128
        .size:           8
        .value_kind:     global_buffer
      - .actual_access:  read_only
        .address_space:  global
        .offset:         136
        .size:           8
        .value_kind:     global_buffer
      - .actual_access:  write_only
        .address_space:  global
        .offset:         144
        .size:           8
        .value_kind:     global_buffer
      - .actual_access:  write_only
        .address_space:  global
        .offset:         152
        .size:           8
        .value_kind:     global_buffer
      - .offset:         160
        .size:           4
        .value_kind:     by_value
      - .offset:         164
        .size:           4
        .value_kind:     by_value
      - .offset:         168
        .size:           4
        .value_kind:     by_value
      - .offset:         172
        .size:           4
        .value_kind:     by_value
      - .offset:         176
        .size:           1
        .value_kind:     by_value
      - .offset:         177
        .size:           1
        .value_kind:     by_value
      - .offset:         178
        .size:           1
        .value_kind:     by_value
    .group_segment_fixed_size: 4352
    .kernarg_segment_align: 8
    .kernarg_segment_size: 180
    .language:       OpenCL C
    .language_version:
      - 2
      - 0
    .max_flat_workgroup_size: 256
    .name:           _ZN9rocsparseL23bsrgemm_fill_wf_per_rowILj256ELj64ELj8ELj137ELj4Ell21rocsparse_complex_numIfEEEv20rocsparse_direction_T5_S4_S4_PKS4_S6_NS_24const_host_device_scalarIT6_EEPKT4_S6_PKS8_SC_S6_SE_S9_SC_S6_SE_SC_PS4_PS8_21rocsparse_index_base_SH_SH_SH_bbb
    .private_segment_fixed_size: 0
    .sgpr_count:     77
    .sgpr_spill_count: 0
    .symbol:         _ZN9rocsparseL23bsrgemm_fill_wf_per_rowILj256ELj64ELj8ELj137ELj4Ell21rocsparse_complex_numIfEEEv20rocsparse_direction_T5_S4_S4_PKS4_S6_NS_24const_host_device_scalarIT6_EEPKT4_S6_PKS8_SC_S6_SE_S9_SC_S6_SE_SC_PS4_PS8_21rocsparse_index_base_SH_SH_SH_bbb.kd
    .uniform_work_group_size: 1
    .uses_dynamic_stack: false
    .vgpr_count:     45
    .vgpr_spill_count: 0
    .wavefront_size: 64
  - .agpr_count:     0
    .args:
      - .offset:         0
        .size:           4
        .value_kind:     by_value
      - .offset:         8
        .size:           8
        .value_kind:     by_value
      - .offset:         16
        .size:           8
        .value_kind:     by_value
      - .offset:         24
        .size:           8
        .value_kind:     by_value
      - .actual_access:  read_only
        .address_space:  global
        .offset:         32
        .size:           8
        .value_kind:     global_buffer
      - .actual_access:  read_only
        .address_space:  global
        .offset:         40
        .size:           8
        .value_kind:     global_buffer
      - .offset:         48
        .size:           8
        .value_kind:     by_value
      - .actual_access:  read_only
        .address_space:  global
        .offset:         56
        .size:           8
        .value_kind:     global_buffer
      - .actual_access:  read_only
        .address_space:  global
        .offset:         64
        .size:           8
        .value_kind:     global_buffer
      - .actual_access:  read_only
        .address_space:  global
        .offset:         72
        .size:           8
        .value_kind:     global_buffer
      - .actual_access:  read_only
        .address_space:  global
        .offset:         80
        .size:           8
        .value_kind:     global_buffer
      - .actual_access:  read_only
        .address_space:  global
        .offset:         88
        .size:           8
        .value_kind:     global_buffer
      - .actual_access:  read_only
        .address_space:  global
        .offset:         96
        .size:           8
        .value_kind:     global_buffer
      - .offset:         104
        .size:           8
        .value_kind:     by_value
      - .actual_access:  read_only
        .address_space:  global
        .offset:         112
        .size:           8
        .value_kind:     global_buffer
      - .actual_access:  read_only
        .address_space:  global
        .offset:         120
        .size:           8
        .value_kind:     global_buffer
      - .actual_access:  read_only
        .address_space:  global
        .offset:         128
        .size:           8
        .value_kind:     global_buffer
      - .actual_access:  read_only
        .address_space:  global
        .offset:         136
        .size:           8
        .value_kind:     global_buffer
      - .actual_access:  write_only
        .address_space:  global
        .offset:         144
        .size:           8
        .value_kind:     global_buffer
      - .actual_access:  write_only
        .address_space:  global
        .offset:         152
        .size:           8
        .value_kind:     global_buffer
      - .offset:         160
        .size:           4
        .value_kind:     by_value
      - .offset:         164
        .size:           4
        .value_kind:     by_value
      - .offset:         168
        .size:           4
        .value_kind:     by_value
      - .offset:         172
        .size:           4
        .value_kind:     by_value
      - .offset:         176
        .size:           1
        .value_kind:     by_value
      - .offset:         177
        .size:           1
        .value_kind:     by_value
      - .offset:         178
        .size:           1
        .value_kind:     by_value
    .group_segment_fixed_size: 8704
    .kernarg_segment_align: 8
    .kernarg_segment_size: 180
    .language:       OpenCL C
    .language_version:
      - 2
      - 0
    .max_flat_workgroup_size: 256
    .name:           _ZN9rocsparseL23bsrgemm_fill_wf_per_rowILj256ELj64ELj16ELj137ELj4Ell21rocsparse_complex_numIfEEEv20rocsparse_direction_T5_S4_S4_PKS4_S6_NS_24const_host_device_scalarIT6_EEPKT4_S6_PKS8_SC_S6_SE_S9_SC_S6_SE_SC_PS4_PS8_21rocsparse_index_base_SH_SH_SH_bbb
    .private_segment_fixed_size: 0
    .sgpr_count:     77
    .sgpr_spill_count: 0
    .symbol:         _ZN9rocsparseL23bsrgemm_fill_wf_per_rowILj256ELj64ELj16ELj137ELj4Ell21rocsparse_complex_numIfEEEv20rocsparse_direction_T5_S4_S4_PKS4_S6_NS_24const_host_device_scalarIT6_EEPKT4_S6_PKS8_SC_S6_SE_S9_SC_S6_SE_SC_PS4_PS8_21rocsparse_index_base_SH_SH_SH_bbb.kd
    .uniform_work_group_size: 1
    .uses_dynamic_stack: false
    .vgpr_count:     45
    .vgpr_spill_count: 0
    .wavefront_size: 64
  - .agpr_count:     0
    .args:
      - .offset:         0
        .size:           4
        .value_kind:     by_value
      - .offset:         8
        .size:           8
        .value_kind:     by_value
      - .offset:         16
        .size:           8
        .value_kind:     by_value
      - .actual_access:  read_only
        .address_space:  global
        .offset:         24
        .size:           8
        .value_kind:     global_buffer
      - .actual_access:  read_only
        .address_space:  global
        .offset:         32
        .size:           8
        .value_kind:     global_buffer
      - .offset:         40
        .size:           8
        .value_kind:     by_value
      - .actual_access:  read_only
        .address_space:  global
        .offset:         48
        .size:           8
        .value_kind:     global_buffer
      - .actual_access:  read_only
        .address_space:  global
        .offset:         56
        .size:           8
        .value_kind:     global_buffer
      - .actual_access:  read_only
        .address_space:  global
        .offset:         64
        .size:           8
        .value_kind:     global_buffer
      - .actual_access:  read_only
        .address_space:  global
        .offset:         72
        .size:           8
        .value_kind:     global_buffer
      - .actual_access:  read_only
        .address_space:  global
        .offset:         80
        .size:           8
        .value_kind:     global_buffer
      - .actual_access:  read_only
        .address_space:  global
        .offset:         88
        .size:           8
        .value_kind:     global_buffer
      - .offset:         96
        .size:           8
        .value_kind:     by_value
      - .actual_access:  read_only
        .address_space:  global
        .offset:         104
        .size:           8
        .value_kind:     global_buffer
      - .actual_access:  read_only
        .address_space:  global
        .offset:         112
        .size:           8
        .value_kind:     global_buffer
      - .actual_access:  read_only
        .address_space:  global
        .offset:         120
        .size:           8
        .value_kind:     global_buffer
      - .actual_access:  read_only
        .address_space:  global
        .offset:         128
        .size:           8
        .value_kind:     global_buffer
      - .actual_access:  write_only
        .address_space:  global
        .offset:         136
        .size:           8
        .value_kind:     global_buffer
      - .actual_access:  write_only
        .address_space:  global
        .offset:         144
        .size:           8
        .value_kind:     global_buffer
      - .address_space:  global
        .offset:         152
        .size:           8
        .value_kind:     global_buffer
      - .offset:         160
        .size:           4
        .value_kind:     by_value
      - .offset:         164
        .size:           4
        .value_kind:     by_value
      - .offset:         168
        .size:           4
        .value_kind:     by_value
      - .offset:         172
        .size:           4
        .value_kind:     by_value
      - .offset:         176
        .size:           1
        .value_kind:     by_value
      - .offset:         177
        .size:           1
        .value_kind:     by_value
      - .offset:         178
        .size:           1
        .value_kind:     by_value
    .group_segment_fixed_size: 6280
    .kernarg_segment_align: 8
    .kernarg_segment_size: 180
    .language:       OpenCL C
    .language_version:
      - 2
      - 0
    .max_flat_workgroup_size: 256
    .name:           _ZN9rocsparseL38bsrgemm_block_per_row_atomic_multipassILj256ELj32ELj4Ell21rocsparse_complex_numIfEEEv20rocsparse_direction_T3_S4_PKS4_S6_NS_24const_host_device_scalarIT4_EEPKT2_S6_PKS8_SC_S6_SE_S9_SC_S6_SE_SC_PS4_PS8_PSA_21rocsparse_index_base_SI_SI_SI_bbb
    .private_segment_fixed_size: 0
    .sgpr_count:     100
    .sgpr_spill_count: 8
    .symbol:         _ZN9rocsparseL38bsrgemm_block_per_row_atomic_multipassILj256ELj32ELj4Ell21rocsparse_complex_numIfEEEv20rocsparse_direction_T3_S4_PKS4_S6_NS_24const_host_device_scalarIT4_EEPKT2_S6_PKS8_SC_S6_SE_S9_SC_S6_SE_SC_PS4_PS8_PSA_21rocsparse_index_base_SI_SI_SI_bbb.kd
    .uniform_work_group_size: 1
    .uses_dynamic_stack: false
    .vgpr_count:     63
    .vgpr_spill_count: 0
    .wavefront_size: 64
  - .agpr_count:     0
    .args:
      - .offset:         0
        .size:           4
        .value_kind:     by_value
      - .offset:         8
        .size:           8
        .value_kind:     by_value
      - .offset:         16
        .size:           8
        .value_kind:     by_value
      - .actual_access:  read_only
        .address_space:  global
        .offset:         24
        .size:           8
        .value_kind:     global_buffer
      - .actual_access:  read_only
        .address_space:  global
        .offset:         32
        .size:           8
        .value_kind:     global_buffer
      - .offset:         40
        .size:           8
        .value_kind:     by_value
      - .actual_access:  read_only
        .address_space:  global
        .offset:         48
        .size:           8
        .value_kind:     global_buffer
      - .actual_access:  read_only
        .address_space:  global
        .offset:         56
        .size:           8
        .value_kind:     global_buffer
      - .actual_access:  read_only
        .address_space:  global
        .offset:         64
        .size:           8
        .value_kind:     global_buffer
      - .actual_access:  read_only
        .address_space:  global
        .offset:         72
        .size:           8
        .value_kind:     global_buffer
      - .actual_access:  read_only
        .address_space:  global
        .offset:         80
        .size:           8
        .value_kind:     global_buffer
      - .actual_access:  read_only
        .address_space:  global
        .offset:         88
        .size:           8
        .value_kind:     global_buffer
      - .offset:         96
        .size:           8
        .value_kind:     by_value
      - .actual_access:  read_only
        .address_space:  global
        .offset:         104
        .size:           8
        .value_kind:     global_buffer
      - .actual_access:  read_only
        .address_space:  global
        .offset:         112
        .size:           8
        .value_kind:     global_buffer
      - .actual_access:  read_only
        .address_space:  global
        .offset:         120
        .size:           8
        .value_kind:     global_buffer
      - .actual_access:  read_only
        .address_space:  global
        .offset:         128
        .size:           8
        .value_kind:     global_buffer
      - .actual_access:  write_only
        .address_space:  global
        .offset:         136
        .size:           8
        .value_kind:     global_buffer
      - .actual_access:  write_only
        .address_space:  global
        .offset:         144
        .size:           8
        .value_kind:     global_buffer
      - .address_space:  global
        .offset:         152
        .size:           8
        .value_kind:     global_buffer
      - .offset:         160
        .size:           4
        .value_kind:     by_value
      - .offset:         164
        .size:           4
        .value_kind:     by_value
      - .offset:         168
        .size:           4
        .value_kind:     by_value
      - .offset:         172
        .size:           4
        .value_kind:     by_value
      - .offset:         176
        .size:           1
        .value_kind:     by_value
      - .offset:         177
        .size:           1
        .value_kind:     by_value
      - .offset:         178
        .size:           1
        .value_kind:     by_value
    .group_segment_fixed_size: 10504
    .kernarg_segment_align: 8
    .kernarg_segment_size: 180
    .language:       OpenCL C
    .language_version:
      - 2
      - 0
    .max_flat_workgroup_size: 256
    .name:           _ZN9rocsparseL38bsrgemm_block_per_row_atomic_multipassILj256ELj64ELj4Ell21rocsparse_complex_numIfEEEv20rocsparse_direction_T3_S4_PKS4_S6_NS_24const_host_device_scalarIT4_EEPKT2_S6_PKS8_SC_S6_SE_S9_SC_S6_SE_SC_PS4_PS8_PSA_21rocsparse_index_base_SI_SI_SI_bbb
    .private_segment_fixed_size: 0
    .sgpr_count:     100
    .sgpr_spill_count: 12
    .symbol:         _ZN9rocsparseL38bsrgemm_block_per_row_atomic_multipassILj256ELj64ELj4Ell21rocsparse_complex_numIfEEEv20rocsparse_direction_T3_S4_PKS4_S6_NS_24const_host_device_scalarIT4_EEPKT2_S6_PKS8_SC_S6_SE_S9_SC_S6_SE_SC_PS4_PS8_PSA_21rocsparse_index_base_SI_SI_SI_bbb.kd
    .uniform_work_group_size: 1
    .uses_dynamic_stack: false
    .vgpr_count:     66
    .vgpr_spill_count: 0
    .wavefront_size: 64
  - .agpr_count:     0
    .args:
      - .offset:         0
        .size:           4
        .value_kind:     by_value
      - .offset:         8
        .size:           8
        .value_kind:     by_value
      - .offset:         16
        .size:           8
        .value_kind:     by_value
      - .actual_access:  read_only
        .address_space:  global
        .offset:         24
        .size:           8
        .value_kind:     global_buffer
      - .actual_access:  read_only
        .address_space:  global
        .offset:         32
        .size:           8
        .value_kind:     global_buffer
      - .offset:         40
        .size:           8
        .value_kind:     by_value
      - .actual_access:  read_only
        .address_space:  global
        .offset:         48
        .size:           8
        .value_kind:     global_buffer
      - .actual_access:  read_only
        .address_space:  global
        .offset:         56
        .size:           8
        .value_kind:     global_buffer
      - .actual_access:  read_only
        .address_space:  global
        .offset:         64
        .size:           8
        .value_kind:     global_buffer
      - .actual_access:  read_only
        .address_space:  global
        .offset:         72
        .size:           8
        .value_kind:     global_buffer
      - .actual_access:  read_only
        .address_space:  global
        .offset:         80
        .size:           8
        .value_kind:     global_buffer
      - .actual_access:  read_only
        .address_space:  global
        .offset:         88
        .size:           8
        .value_kind:     global_buffer
      - .offset:         96
        .size:           8
        .value_kind:     by_value
      - .actual_access:  read_only
        .address_space:  global
        .offset:         104
        .size:           8
        .value_kind:     global_buffer
      - .actual_access:  read_only
        .address_space:  global
        .offset:         112
        .size:           8
        .value_kind:     global_buffer
      - .actual_access:  read_only
        .address_space:  global
        .offset:         120
        .size:           8
        .value_kind:     global_buffer
      - .actual_access:  read_only
        .address_space:  global
        .offset:         128
        .size:           8
        .value_kind:     global_buffer
      - .actual_access:  write_only
        .address_space:  global
        .offset:         136
        .size:           8
        .value_kind:     global_buffer
      - .actual_access:  write_only
        .address_space:  global
        .offset:         144
        .size:           8
        .value_kind:     global_buffer
      - .address_space:  global
        .offset:         152
        .size:           8
        .value_kind:     global_buffer
      - .offset:         160
        .size:           4
        .value_kind:     by_value
      - .offset:         164
        .size:           4
        .value_kind:     by_value
      - .offset:         168
        .size:           4
        .value_kind:     by_value
      - .offset:         172
        .size:           4
        .value_kind:     by_value
      - .offset:         176
        .size:           1
        .value_kind:     by_value
      - .offset:         177
        .size:           1
        .value_kind:     by_value
      - .offset:         178
        .size:           1
        .value_kind:     by_value
    .group_segment_fixed_size: 18952
    .kernarg_segment_align: 8
    .kernarg_segment_size: 180
    .language:       OpenCL C
    .language_version:
      - 2
      - 0
    .max_flat_workgroup_size: 256
    .name:           _ZN9rocsparseL38bsrgemm_block_per_row_atomic_multipassILj256ELj128ELj4Ell21rocsparse_complex_numIfEEEv20rocsparse_direction_T3_S4_PKS4_S6_NS_24const_host_device_scalarIT4_EEPKT2_S6_PKS8_SC_S6_SE_S9_SC_S6_SE_SC_PS4_PS8_PSA_21rocsparse_index_base_SI_SI_SI_bbb
    .private_segment_fixed_size: 0
    .sgpr_count:     100
    .sgpr_spill_count: 20
    .symbol:         _ZN9rocsparseL38bsrgemm_block_per_row_atomic_multipassILj256ELj128ELj4Ell21rocsparse_complex_numIfEEEv20rocsparse_direction_T3_S4_PKS4_S6_NS_24const_host_device_scalarIT4_EEPKT2_S6_PKS8_SC_S6_SE_S9_SC_S6_SE_SC_PS4_PS8_PSA_21rocsparse_index_base_SI_SI_SI_bbb.kd
    .uniform_work_group_size: 1
    .uses_dynamic_stack: false
    .vgpr_count:     66
    .vgpr_spill_count: 0
    .wavefront_size: 64
  - .agpr_count:     0
    .args:
      - .offset:         0
        .size:           4
        .value_kind:     by_value
      - .offset:         8
        .size:           8
        .value_kind:     by_value
      - .offset:         16
        .size:           8
        .value_kind:     by_value
      - .offset:         24
        .size:           8
        .value_kind:     by_value
      - .actual_access:  read_only
        .address_space:  global
        .offset:         32
        .size:           8
        .value_kind:     global_buffer
      - .actual_access:  read_only
        .address_space:  global
        .offset:         40
        .size:           8
        .value_kind:     global_buffer
      - .offset:         48
        .size:           8
        .value_kind:     by_value
      - .actual_access:  read_only
        .address_space:  global
        .offset:         56
        .size:           8
        .value_kind:     global_buffer
      - .actual_access:  read_only
        .address_space:  global
        .offset:         64
        .size:           8
        .value_kind:     global_buffer
      - .actual_access:  read_only
        .address_space:  global
        .offset:         72
        .size:           8
        .value_kind:     global_buffer
      - .actual_access:  read_only
        .address_space:  global
        .offset:         80
        .size:           8
        .value_kind:     global_buffer
      - .actual_access:  read_only
        .address_space:  global
        .offset:         88
        .size:           8
        .value_kind:     global_buffer
      - .actual_access:  read_only
        .address_space:  global
        .offset:         96
        .size:           8
        .value_kind:     global_buffer
      - .offset:         104
        .size:           8
        .value_kind:     by_value
      - .actual_access:  read_only
        .address_space:  global
        .offset:         112
        .size:           8
        .value_kind:     global_buffer
      - .actual_access:  read_only
        .address_space:  global
        .offset:         120
        .size:           8
        .value_kind:     global_buffer
      - .actual_access:  read_only
        .address_space:  global
        .offset:         128
        .size:           8
        .value_kind:     global_buffer
      - .actual_access:  read_only
        .address_space:  global
        .offset:         136
        .size:           8
        .value_kind:     global_buffer
      - .actual_access:  write_only
        .address_space:  global
        .offset:         144
        .size:           8
        .value_kind:     global_buffer
      - .actual_access:  write_only
        .address_space:  global
        .offset:         152
        .size:           8
        .value_kind:     global_buffer
      - .offset:         160
        .size:           4
        .value_kind:     by_value
      - .offset:         164
        .size:           4
        .value_kind:     by_value
      - .offset:         168
        .size:           4
        .value_kind:     by_value
      - .offset:         172
        .size:           4
        .value_kind:     by_value
      - .offset:         176
        .size:           1
        .value_kind:     by_value
      - .offset:         177
        .size:           1
        .value_kind:     by_value
      - .offset:         178
        .size:           1
        .value_kind:     by_value
    .group_segment_fixed_size: 16640
    .kernarg_segment_align: 8
    .kernarg_segment_size: 180
    .language:       OpenCL C
    .language_version:
      - 2
      - 0
    .max_flat_workgroup_size: 256
    .name:           _ZN9rocsparseL23bsrgemm_fill_wf_per_rowILj256ELj64ELj8ELj137ELj8Ell21rocsparse_complex_numIfEEEv20rocsparse_direction_T5_S4_S4_PKS4_S6_NS_24const_host_device_scalarIT6_EEPKT4_S6_PKS8_SC_S6_SE_S9_SC_S6_SE_SC_PS4_PS8_21rocsparse_index_base_SH_SH_SH_bbb
    .private_segment_fixed_size: 0
    .sgpr_count:     75
    .sgpr_spill_count: 0
    .symbol:         _ZN9rocsparseL23bsrgemm_fill_wf_per_rowILj256ELj64ELj8ELj137ELj8Ell21rocsparse_complex_numIfEEEv20rocsparse_direction_T5_S4_S4_PKS4_S6_NS_24const_host_device_scalarIT6_EEPKT4_S6_PKS8_SC_S6_SE_S9_SC_S6_SE_SC_PS4_PS8_21rocsparse_index_base_SH_SH_SH_bbb.kd
    .uniform_work_group_size: 1
    .uses_dynamic_stack: false
    .vgpr_count:     46
    .vgpr_spill_count: 0
    .wavefront_size: 64
  - .agpr_count:     0
    .args:
      - .offset:         0
        .size:           4
        .value_kind:     by_value
      - .offset:         8
        .size:           8
        .value_kind:     by_value
      - .offset:         16
        .size:           8
        .value_kind:     by_value
      - .actual_access:  read_only
        .address_space:  global
        .offset:         24
        .size:           8
        .value_kind:     global_buffer
      - .actual_access:  read_only
        .address_space:  global
        .offset:         32
        .size:           8
        .value_kind:     global_buffer
      - .offset:         40
        .size:           8
        .value_kind:     by_value
      - .actual_access:  read_only
        .address_space:  global
        .offset:         48
        .size:           8
        .value_kind:     global_buffer
      - .actual_access:  read_only
        .address_space:  global
        .offset:         56
        .size:           8
        .value_kind:     global_buffer
      - .actual_access:  read_only
        .address_space:  global
        .offset:         64
        .size:           8
        .value_kind:     global_buffer
      - .actual_access:  read_only
        .address_space:  global
        .offset:         72
        .size:           8
        .value_kind:     global_buffer
      - .actual_access:  read_only
        .address_space:  global
        .offset:         80
        .size:           8
        .value_kind:     global_buffer
      - .actual_access:  read_only
        .address_space:  global
        .offset:         88
        .size:           8
        .value_kind:     global_buffer
      - .offset:         96
        .size:           8
        .value_kind:     by_value
      - .actual_access:  read_only
        .address_space:  global
        .offset:         104
        .size:           8
        .value_kind:     global_buffer
      - .actual_access:  read_only
        .address_space:  global
        .offset:         112
        .size:           8
        .value_kind:     global_buffer
      - .actual_access:  read_only
        .address_space:  global
        .offset:         120
        .size:           8
        .value_kind:     global_buffer
      - .actual_access:  read_only
        .address_space:  global
        .offset:         128
        .size:           8
        .value_kind:     global_buffer
      - .actual_access:  write_only
        .address_space:  global
        .offset:         136
        .size:           8
        .value_kind:     global_buffer
      - .actual_access:  write_only
        .address_space:  global
        .offset:         144
        .size:           8
        .value_kind:     global_buffer
      - .address_space:  global
        .offset:         152
        .size:           8
        .value_kind:     global_buffer
      - .offset:         160
        .size:           4
        .value_kind:     by_value
      - .offset:         164
        .size:           4
        .value_kind:     by_value
      - .offset:         168
        .size:           4
        .value_kind:     by_value
      - .offset:         172
        .size:           4
        .value_kind:     by_value
      - .offset:         176
        .size:           1
        .value_kind:     by_value
      - .offset:         177
        .size:           1
        .value_kind:     by_value
      - .offset:         178
        .size:           1
        .value_kind:     by_value
    .group_segment_fixed_size: 10312
    .kernarg_segment_align: 8
    .kernarg_segment_size: 180
    .language:       OpenCL C
    .language_version:
      - 2
      - 0
    .max_flat_workgroup_size: 256
    .name:           _ZN9rocsparseL38bsrgemm_block_per_row_atomic_multipassILj256ELj16ELj8Ell21rocsparse_complex_numIfEEEv20rocsparse_direction_T3_S4_PKS4_S6_NS_24const_host_device_scalarIT4_EEPKT2_S6_PKS8_SC_S6_SE_S9_SC_S6_SE_SC_PS4_PS8_PSA_21rocsparse_index_base_SI_SI_SI_bbb
    .private_segment_fixed_size: 0
    .sgpr_count:     99
    .sgpr_spill_count: 0
    .symbol:         _ZN9rocsparseL38bsrgemm_block_per_row_atomic_multipassILj256ELj16ELj8Ell21rocsparse_complex_numIfEEEv20rocsparse_direction_T3_S4_PKS4_S6_NS_24const_host_device_scalarIT4_EEPKT2_S6_PKS8_SC_S6_SE_S9_SC_S6_SE_SC_PS4_PS8_PSA_21rocsparse_index_base_SI_SI_SI_bbb.kd
    .uniform_work_group_size: 1
    .uses_dynamic_stack: false
    .vgpr_count:     64
    .vgpr_spill_count: 0
    .wavefront_size: 64
  - .agpr_count:     0
    .args:
      - .offset:         0
        .size:           4
        .value_kind:     by_value
      - .offset:         8
        .size:           8
        .value_kind:     by_value
      - .offset:         16
        .size:           8
        .value_kind:     by_value
      - .actual_access:  read_only
        .address_space:  global
        .offset:         24
        .size:           8
        .value_kind:     global_buffer
      - .actual_access:  read_only
        .address_space:  global
        .offset:         32
        .size:           8
        .value_kind:     global_buffer
      - .offset:         40
        .size:           8
        .value_kind:     by_value
      - .actual_access:  read_only
        .address_space:  global
        .offset:         48
        .size:           8
        .value_kind:     global_buffer
      - .actual_access:  read_only
        .address_space:  global
        .offset:         56
        .size:           8
        .value_kind:     global_buffer
      - .actual_access:  read_only
        .address_space:  global
        .offset:         64
        .size:           8
        .value_kind:     global_buffer
      - .actual_access:  read_only
        .address_space:  global
        .offset:         72
        .size:           8
        .value_kind:     global_buffer
      - .actual_access:  read_only
        .address_space:  global
        .offset:         80
        .size:           8
        .value_kind:     global_buffer
      - .actual_access:  read_only
        .address_space:  global
        .offset:         88
        .size:           8
        .value_kind:     global_buffer
      - .offset:         96
        .size:           8
        .value_kind:     by_value
      - .actual_access:  read_only
        .address_space:  global
        .offset:         104
        .size:           8
        .value_kind:     global_buffer
      - .actual_access:  read_only
        .address_space:  global
        .offset:         112
        .size:           8
        .value_kind:     global_buffer
      - .actual_access:  read_only
        .address_space:  global
        .offset:         120
        .size:           8
        .value_kind:     global_buffer
      - .actual_access:  read_only
        .address_space:  global
        .offset:         128
        .size:           8
        .value_kind:     global_buffer
      - .actual_access:  write_only
        .address_space:  global
        .offset:         136
        .size:           8
        .value_kind:     global_buffer
      - .actual_access:  write_only
        .address_space:  global
        .offset:         144
        .size:           8
        .value_kind:     global_buffer
      - .address_space:  global
        .offset:         152
        .size:           8
        .value_kind:     global_buffer
      - .offset:         160
        .size:           4
        .value_kind:     by_value
      - .offset:         164
        .size:           4
        .value_kind:     by_value
      - .offset:         168
        .size:           4
        .value_kind:     by_value
      - .offset:         172
        .size:           4
        .value_kind:     by_value
      - .offset:         176
        .size:           1
        .value_kind:     by_value
      - .offset:         177
        .size:           1
        .value_kind:     by_value
      - .offset:         178
        .size:           1
        .value_kind:     by_value
    .group_segment_fixed_size: 18568
    .kernarg_segment_align: 8
    .kernarg_segment_size: 180
    .language:       OpenCL C
    .language_version:
      - 2
      - 0
    .max_flat_workgroup_size: 256
    .name:           _ZN9rocsparseL38bsrgemm_block_per_row_atomic_multipassILj256ELj32ELj8Ell21rocsparse_complex_numIfEEEv20rocsparse_direction_T3_S4_PKS4_S6_NS_24const_host_device_scalarIT4_EEPKT2_S6_PKS8_SC_S6_SE_S9_SC_S6_SE_SC_PS4_PS8_PSA_21rocsparse_index_base_SI_SI_SI_bbb
    .private_segment_fixed_size: 0
    .sgpr_count:     100
    .sgpr_spill_count: 12
    .symbol:         _ZN9rocsparseL38bsrgemm_block_per_row_atomic_multipassILj256ELj32ELj8Ell21rocsparse_complex_numIfEEEv20rocsparse_direction_T3_S4_PKS4_S6_NS_24const_host_device_scalarIT4_EEPKT2_S6_PKS8_SC_S6_SE_S9_SC_S6_SE_SC_PS4_PS8_PSA_21rocsparse_index_base_SI_SI_SI_bbb.kd
    .uniform_work_group_size: 1
    .uses_dynamic_stack: false
    .vgpr_count:     64
    .vgpr_spill_count: 0
    .wavefront_size: 64
  - .agpr_count:     0
    .args:
      - .offset:         0
        .size:           4
        .value_kind:     by_value
      - .offset:         8
        .size:           8
        .value_kind:     by_value
      - .offset:         16
        .size:           8
        .value_kind:     by_value
      - .actual_access:  read_only
        .address_space:  global
        .offset:         24
        .size:           8
        .value_kind:     global_buffer
      - .actual_access:  read_only
        .address_space:  global
        .offset:         32
        .size:           8
        .value_kind:     global_buffer
      - .offset:         40
        .size:           8
        .value_kind:     by_value
      - .actual_access:  read_only
        .address_space:  global
        .offset:         48
        .size:           8
        .value_kind:     global_buffer
      - .actual_access:  read_only
        .address_space:  global
        .offset:         56
        .size:           8
        .value_kind:     global_buffer
      - .actual_access:  read_only
        .address_space:  global
        .offset:         64
        .size:           8
        .value_kind:     global_buffer
      - .actual_access:  read_only
        .address_space:  global
        .offset:         72
        .size:           8
        .value_kind:     global_buffer
      - .actual_access:  read_only
        .address_space:  global
        .offset:         80
        .size:           8
        .value_kind:     global_buffer
      - .actual_access:  read_only
        .address_space:  global
        .offset:         88
        .size:           8
        .value_kind:     global_buffer
      - .offset:         96
        .size:           8
        .value_kind:     by_value
      - .actual_access:  read_only
        .address_space:  global
        .offset:         104
        .size:           8
        .value_kind:     global_buffer
      - .actual_access:  read_only
        .address_space:  global
        .offset:         112
        .size:           8
        .value_kind:     global_buffer
      - .actual_access:  read_only
        .address_space:  global
        .offset:         120
        .size:           8
        .value_kind:     global_buffer
      - .actual_access:  read_only
        .address_space:  global
        .offset:         128
        .size:           8
        .value_kind:     global_buffer
      - .actual_access:  write_only
        .address_space:  global
        .offset:         136
        .size:           8
        .value_kind:     global_buffer
      - .actual_access:  write_only
        .address_space:  global
        .offset:         144
        .size:           8
        .value_kind:     global_buffer
      - .address_space:  global
        .offset:         152
        .size:           8
        .value_kind:     global_buffer
      - .offset:         160
        .size:           4
        .value_kind:     by_value
      - .offset:         164
        .size:           4
        .value_kind:     by_value
      - .offset:         168
        .size:           4
        .value_kind:     by_value
      - .offset:         172
        .size:           4
        .value_kind:     by_value
      - .offset:         176
        .size:           1
        .value_kind:     by_value
      - .offset:         177
        .size:           1
        .value_kind:     by_value
      - .offset:         178
        .size:           1
        .value_kind:     by_value
    .group_segment_fixed_size: 16392
    .kernarg_segment_align: 8
    .kernarg_segment_size: 180
    .language:       OpenCL C
    .language_version:
      - 2
      - 0
    .max_flat_workgroup_size: 256
    .name:           _ZN9rocsparseL31bsrgemm_block_per_row_multipassILj256ELj8ELj16Ell21rocsparse_complex_numIfEEEv20rocsparse_direction_T3_S4_PKS4_S6_NS_24const_host_device_scalarIT4_EEPKT2_S6_PKS8_SC_S6_SE_S9_SC_S6_SE_SC_PS4_PS8_PSA_21rocsparse_index_base_SI_SI_SI_bbb
    .private_segment_fixed_size: 0
    .sgpr_count:     97
    .sgpr_spill_count: 0
    .symbol:         _ZN9rocsparseL31bsrgemm_block_per_row_multipassILj256ELj8ELj16Ell21rocsparse_complex_numIfEEEv20rocsparse_direction_T3_S4_PKS4_S6_NS_24const_host_device_scalarIT4_EEPKT2_S6_PKS8_SC_S6_SE_S9_SC_S6_SE_SC_PS4_PS8_PSA_21rocsparse_index_base_SI_SI_SI_bbb.kd
    .uniform_work_group_size: 1
    .uses_dynamic_stack: false
    .vgpr_count:     52
    .vgpr_spill_count: 0
    .wavefront_size: 64
  - .agpr_count:     0
    .args:
      - .offset:         0
        .size:           4
        .value_kind:     by_value
      - .offset:         8
        .size:           8
        .value_kind:     by_value
      - .offset:         16
        .size:           8
        .value_kind:     by_value
      - .actual_access:  read_only
        .address_space:  global
        .offset:         24
        .size:           8
        .value_kind:     global_buffer
      - .actual_access:  read_only
        .address_space:  global
        .offset:         32
        .size:           8
        .value_kind:     global_buffer
      - .offset:         40
        .size:           8
        .value_kind:     by_value
      - .actual_access:  read_only
        .address_space:  global
        .offset:         48
        .size:           8
        .value_kind:     global_buffer
      - .actual_access:  read_only
        .address_space:  global
        .offset:         56
        .size:           8
        .value_kind:     global_buffer
      - .actual_access:  read_only
        .address_space:  global
        .offset:         64
        .size:           8
        .value_kind:     global_buffer
      - .actual_access:  read_only
        .address_space:  global
        .offset:         72
        .size:           8
        .value_kind:     global_buffer
      - .actual_access:  read_only
        .address_space:  global
        .offset:         80
        .size:           8
        .value_kind:     global_buffer
      - .actual_access:  read_only
        .address_space:  global
        .offset:         88
        .size:           8
        .value_kind:     global_buffer
      - .offset:         96
        .size:           8
        .value_kind:     by_value
      - .actual_access:  read_only
        .address_space:  global
        .offset:         104
        .size:           8
        .value_kind:     global_buffer
      - .actual_access:  read_only
        .address_space:  global
        .offset:         112
        .size:           8
        .value_kind:     global_buffer
      - .actual_access:  read_only
        .address_space:  global
        .offset:         120
        .size:           8
        .value_kind:     global_buffer
      - .actual_access:  read_only
        .address_space:  global
        .offset:         128
        .size:           8
        .value_kind:     global_buffer
      - .actual_access:  write_only
        .address_space:  global
        .offset:         136
        .size:           8
        .value_kind:     global_buffer
      - .actual_access:  write_only
        .address_space:  global
        .offset:         144
        .size:           8
        .value_kind:     global_buffer
      - .address_space:  global
        .offset:         152
        .size:           8
        .value_kind:     global_buffer
      - .offset:         160
        .size:           4
        .value_kind:     by_value
      - .offset:         164
        .size:           4
        .value_kind:     by_value
      - .offset:         168
        .size:           4
        .value_kind:     by_value
      - .offset:         172
        .size:           4
        .value_kind:     by_value
      - .offset:         176
        .size:           1
        .value_kind:     by_value
      - .offset:         177
        .size:           1
        .value_kind:     by_value
      - .offset:         178
        .size:           1
        .value_kind:     by_value
    .group_segment_fixed_size: 16388
    .kernarg_segment_align: 8
    .kernarg_segment_size: 180
    .language:       OpenCL C
    .language_version:
      - 2
      - 0
    .max_flat_workgroup_size: 256
    .name:           _ZN9rocsparseL31bsrgemm_block_per_row_multipassILj256ELj2ELj32Ell21rocsparse_complex_numIfEEEv20rocsparse_direction_T3_S4_PKS4_S6_NS_24const_host_device_scalarIT4_EEPKT2_S6_PKS8_SC_S6_SE_S9_SC_S6_SE_SC_PS4_PS8_PSA_21rocsparse_index_base_SI_SI_SI_bbb
    .private_segment_fixed_size: 0
    .sgpr_count:     100
    .sgpr_spill_count: 15
    .symbol:         _ZN9rocsparseL31bsrgemm_block_per_row_multipassILj256ELj2ELj32Ell21rocsparse_complex_numIfEEEv20rocsparse_direction_T3_S4_PKS4_S6_NS_24const_host_device_scalarIT4_EEPKT2_S6_PKS8_SC_S6_SE_S9_SC_S6_SE_SC_PS4_PS8_PSA_21rocsparse_index_base_SI_SI_SI_bbb.kd
    .uniform_work_group_size: 1
    .uses_dynamic_stack: false
    .vgpr_count:     79
    .vgpr_spill_count: 0
    .wavefront_size: 64
  - .agpr_count:     0
    .args:
      - .offset:         0
        .size:           8
        .value_kind:     by_value
      - .actual_access:  read_only
        .address_space:  global
        .offset:         8
        .size:           8
        .value_kind:     global_buffer
      - .actual_access:  write_only
        .address_space:  global
        .offset:         16
        .size:           8
        .value_kind:     global_buffer
      - .actual_access:  write_only
        .address_space:  global
        .offset:         24
        .size:           8
        .value_kind:     global_buffer
      - .offset:         32
        .size:           4
        .value_kind:     hidden_block_count_x
      - .offset:         36
        .size:           4
        .value_kind:     hidden_block_count_y
      - .offset:         40
        .size:           4
        .value_kind:     hidden_block_count_z
      - .offset:         44
        .size:           2
        .value_kind:     hidden_group_size_x
      - .offset:         46
        .size:           2
        .value_kind:     hidden_group_size_y
      - .offset:         48
        .size:           2
        .value_kind:     hidden_group_size_z
      - .offset:         50
        .size:           2
        .value_kind:     hidden_remainder_x
      - .offset:         52
        .size:           2
        .value_kind:     hidden_remainder_y
      - .offset:         54
        .size:           2
        .value_kind:     hidden_remainder_z
      - .offset:         72
        .size:           8
        .value_kind:     hidden_global_offset_x
      - .offset:         80
        .size:           8
        .value_kind:     hidden_global_offset_y
      - .offset:         88
        .size:           8
        .value_kind:     hidden_global_offset_z
      - .offset:         96
        .size:           2
        .value_kind:     hidden_grid_dims
    .group_segment_fixed_size: 16384
    .kernarg_segment_align: 8
    .kernarg_segment_size: 288
    .language:       OpenCL C
    .language_version:
      - 2
      - 0
    .max_flat_workgroup_size: 256
    .name:           _ZN9rocsparseL26bsrgemm_group_reduce_part2ILj256ELj8ELj2E21rocsparse_complex_numIdEllEEvT4_PKT3_PS3_Pi
    .private_segment_fixed_size: 0
    .sgpr_count:     36
    .sgpr_spill_count: 0
    .symbol:         _ZN9rocsparseL26bsrgemm_group_reduce_part2ILj256ELj8ELj2E21rocsparse_complex_numIdEllEEvT4_PKT3_PS3_Pi.kd
    .uniform_work_group_size: 1
    .uses_dynamic_stack: false
    .vgpr_count:     26
    .vgpr_spill_count: 0
    .wavefront_size: 64
  - .agpr_count:     0
    .args:
      - .offset:         0
        .size:           8
        .value_kind:     by_value
      - .actual_access:  read_only
        .address_space:  global
        .offset:         8
        .size:           8
        .value_kind:     global_buffer
      - .actual_access:  write_only
        .address_space:  global
        .offset:         16
        .size:           8
        .value_kind:     global_buffer
      - .actual_access:  write_only
        .address_space:  global
        .offset:         24
        .size:           8
        .value_kind:     global_buffer
      - .offset:         32
        .size:           4
        .value_kind:     hidden_block_count_x
      - .offset:         36
        .size:           4
        .value_kind:     hidden_block_count_y
      - .offset:         40
        .size:           4
        .value_kind:     hidden_block_count_z
      - .offset:         44
        .size:           2
        .value_kind:     hidden_group_size_x
      - .offset:         46
        .size:           2
        .value_kind:     hidden_group_size_y
      - .offset:         48
        .size:           2
        .value_kind:     hidden_group_size_z
      - .offset:         50
        .size:           2
        .value_kind:     hidden_remainder_x
      - .offset:         52
        .size:           2
        .value_kind:     hidden_remainder_y
      - .offset:         54
        .size:           2
        .value_kind:     hidden_remainder_z
      - .offset:         72
        .size:           8
        .value_kind:     hidden_global_offset_x
      - .offset:         80
        .size:           8
        .value_kind:     hidden_global_offset_y
      - .offset:         88
        .size:           8
        .value_kind:     hidden_global_offset_z
      - .offset:         96
        .size:           2
        .value_kind:     hidden_grid_dims
    .group_segment_fixed_size: 16384
    .kernarg_segment_align: 8
    .kernarg_segment_size: 288
    .language:       OpenCL C
    .language_version:
      - 2
      - 0
    .max_flat_workgroup_size: 256
    .name:           _ZN9rocsparseL26bsrgemm_group_reduce_part2ILj256ELj8ELj8E21rocsparse_complex_numIdEllEEvT4_PKT3_PS3_Pi
    .private_segment_fixed_size: 0
    .sgpr_count:     42
    .sgpr_spill_count: 0
    .symbol:         _ZN9rocsparseL26bsrgemm_group_reduce_part2ILj256ELj8ELj8E21rocsparse_complex_numIdEllEEvT4_PKT3_PS3_Pi.kd
    .uniform_work_group_size: 1
    .uses_dynamic_stack: false
    .vgpr_count:     26
    .vgpr_spill_count: 0
    .wavefront_size: 64
  - .agpr_count:     0
    .args:
      - .offset:         0
        .size:           4
        .value_kind:     by_value
      - .offset:         8
        .size:           8
        .value_kind:     by_value
      - .offset:         16
        .size:           8
        .value_kind:     by_value
      - .actual_access:  read_only
        .address_space:  global
        .offset:         24
        .size:           8
        .value_kind:     global_buffer
      - .actual_access:  read_only
        .address_space:  global
        .offset:         32
        .size:           8
        .value_kind:     global_buffer
      - .offset:         40
        .size:           16
        .value_kind:     by_value
      - .actual_access:  read_only
        .address_space:  global
        .offset:         56
        .size:           8
        .value_kind:     global_buffer
      - .actual_access:  read_only
        .address_space:  global
        .offset:         64
        .size:           8
        .value_kind:     global_buffer
      - .actual_access:  read_only
        .address_space:  global
        .offset:         72
        .size:           8
        .value_kind:     global_buffer
      - .actual_access:  read_only
        .address_space:  global
        .offset:         80
        .size:           8
        .value_kind:     global_buffer
      - .actual_access:  read_only
        .address_space:  global
        .offset:         88
        .size:           8
        .value_kind:     global_buffer
      - .actual_access:  read_only
        .address_space:  global
        .offset:         96
        .size:           8
        .value_kind:     global_buffer
      - .offset:         104
        .size:           16
        .value_kind:     by_value
      - .actual_access:  read_only
        .address_space:  global
        .offset:         120
        .size:           8
        .value_kind:     global_buffer
      - .actual_access:  read_only
        .address_space:  global
        .offset:         128
        .size:           8
        .value_kind:     global_buffer
      - .actual_access:  read_only
        .address_space:  global
        .offset:         136
        .size:           8
        .value_kind:     global_buffer
      - .actual_access:  read_only
        .address_space:  global
        .offset:         144
        .size:           8
        .value_kind:     global_buffer
      - .actual_access:  write_only
        .address_space:  global
        .offset:         152
        .size:           8
        .value_kind:     global_buffer
      - .actual_access:  write_only
        .address_space:  global
        .offset:         160
        .size:           8
        .value_kind:     global_buffer
      - .offset:         168
        .size:           4
        .value_kind:     by_value
      - .offset:         172
        .size:           4
        .value_kind:     by_value
      - .offset:         176
        .size:           4
        .value_kind:     by_value
      - .offset:         180
        .size:           4
        .value_kind:     by_value
      - .offset:         184
        .size:           1
        .value_kind:     by_value
      - .offset:         185
        .size:           1
        .value_kind:     by_value
      - .offset:         186
        .size:           1
        .value_kind:     by_value
    .group_segment_fixed_size: 9216
    .kernarg_segment_align: 8
    .kernarg_segment_size: 188
    .language:       OpenCL C
    .language_version:
      - 2
      - 0
    .max_flat_workgroup_size: 256
    .name:           _ZN9rocsparseL27bsrgemm_fill_wf_per_row_2x2ILj256ELj16ELj8ELj137Ell21rocsparse_complex_numIdEEEv20rocsparse_direction_T4_S4_PKS4_S6_NS_24const_host_device_scalarIT5_EEPKT3_S6_PKS8_SC_S6_SE_S9_SC_S6_SE_SC_PS4_PS8_21rocsparse_index_base_SH_SH_SH_bbb
    .private_segment_fixed_size: 24
    .sgpr_count:     67
    .sgpr_spill_count: 0
    .symbol:         _ZN9rocsparseL27bsrgemm_fill_wf_per_row_2x2ILj256ELj16ELj8ELj137Ell21rocsparse_complex_numIdEEEv20rocsparse_direction_T4_S4_PKS4_S6_NS_24const_host_device_scalarIT5_EEPKT3_S6_PKS8_SC_S6_SE_S9_SC_S6_SE_SC_PS4_PS8_21rocsparse_index_base_SH_SH_SH_bbb.kd
    .uniform_work_group_size: 1
    .uses_dynamic_stack: false
    .vgpr_count:     67
    .vgpr_spill_count: 0
    .wavefront_size: 64
  - .agpr_count:     0
    .args:
      - .offset:         0
        .size:           4
        .value_kind:     by_value
      - .offset:         8
        .size:           8
        .value_kind:     by_value
      - .offset:         16
        .size:           8
        .value_kind:     by_value
      - .actual_access:  read_only
        .address_space:  global
        .offset:         24
        .size:           8
        .value_kind:     global_buffer
      - .actual_access:  read_only
        .address_space:  global
        .offset:         32
        .size:           8
        .value_kind:     global_buffer
      - .offset:         40
        .size:           16
        .value_kind:     by_value
      - .actual_access:  read_only
        .address_space:  global
        .offset:         56
        .size:           8
        .value_kind:     global_buffer
      - .actual_access:  read_only
        .address_space:  global
        .offset:         64
        .size:           8
        .value_kind:     global_buffer
      - .actual_access:  read_only
        .address_space:  global
        .offset:         72
        .size:           8
        .value_kind:     global_buffer
      - .actual_access:  read_only
        .address_space:  global
        .offset:         80
        .size:           8
        .value_kind:     global_buffer
      - .actual_access:  read_only
        .address_space:  global
        .offset:         88
        .size:           8
        .value_kind:     global_buffer
      - .actual_access:  read_only
        .address_space:  global
        .offset:         96
        .size:           8
        .value_kind:     global_buffer
      - .offset:         104
        .size:           16
        .value_kind:     by_value
      - .actual_access:  read_only
        .address_space:  global
        .offset:         120
        .size:           8
        .value_kind:     global_buffer
      - .actual_access:  read_only
        .address_space:  global
        .offset:         128
        .size:           8
        .value_kind:     global_buffer
      - .actual_access:  read_only
        .address_space:  global
        .offset:         136
        .size:           8
        .value_kind:     global_buffer
      - .actual_access:  read_only
        .address_space:  global
        .offset:         144
        .size:           8
        .value_kind:     global_buffer
      - .actual_access:  write_only
        .address_space:  global
        .offset:         152
        .size:           8
        .value_kind:     global_buffer
      - .actual_access:  write_only
        .address_space:  global
        .offset:         160
        .size:           8
        .value_kind:     global_buffer
      - .offset:         168
        .size:           4
        .value_kind:     by_value
      - .offset:         172
        .size:           4
        .value_kind:     by_value
      - .offset:         176
        .size:           4
        .value_kind:     by_value
      - .offset:         180
        .size:           4
        .value_kind:     by_value
      - .offset:         184
        .size:           1
        .value_kind:     by_value
      - .offset:         185
        .size:           1
        .value_kind:     by_value
      - .offset:         186
        .size:           1
        .value_kind:     by_value
    .group_segment_fixed_size: 20480
    .kernarg_segment_align: 8
    .kernarg_segment_size: 188
    .language:       OpenCL C
    .language_version:
      - 2
      - 0
    .max_flat_workgroup_size: 256
    .name:           _ZN9rocsparseL27bsrgemm_fill_wf_per_row_2x2ILj256ELj16ELj16ELj137Ell21rocsparse_complex_numIdEEEv20rocsparse_direction_T4_S4_PKS4_S6_NS_24const_host_device_scalarIT5_EEPKT3_S6_PKS8_SC_S6_SE_S9_SC_S6_SE_SC_PS4_PS8_21rocsparse_index_base_SH_SH_SH_bbb
    .private_segment_fixed_size: 16
    .sgpr_count:     66
    .sgpr_spill_count: 0
    .symbol:         _ZN9rocsparseL27bsrgemm_fill_wf_per_row_2x2ILj256ELj16ELj16ELj137Ell21rocsparse_complex_numIdEEEv20rocsparse_direction_T4_S4_PKS4_S6_NS_24const_host_device_scalarIT5_EEPKT3_S6_PKS8_SC_S6_SE_S9_SC_S6_SE_SC_PS4_PS8_21rocsparse_index_base_SH_SH_SH_bbb.kd
    .uniform_work_group_size: 1
    .uses_dynamic_stack: false
    .vgpr_count:     68
    .vgpr_spill_count: 0
    .wavefront_size: 64
  - .agpr_count:     0
    .args:
      - .offset:         0
        .size:           4
        .value_kind:     by_value
      - .offset:         8
        .size:           8
        .value_kind:     by_value
      - .offset:         16
        .size:           8
        .value_kind:     by_value
      - .actual_access:  read_only
        .address_space:  global
        .offset:         24
        .size:           8
        .value_kind:     global_buffer
      - .actual_access:  read_only
        .address_space:  global
        .offset:         32
        .size:           8
        .value_kind:     global_buffer
      - .offset:         40
        .size:           16
        .value_kind:     by_value
      - .actual_access:  read_only
        .address_space:  global
        .offset:         56
        .size:           8
        .value_kind:     global_buffer
      - .actual_access:  read_only
        .address_space:  global
        .offset:         64
        .size:           8
        .value_kind:     global_buffer
      - .actual_access:  read_only
        .address_space:  global
        .offset:         72
        .size:           8
        .value_kind:     global_buffer
      - .actual_access:  read_only
        .address_space:  global
        .offset:         80
        .size:           8
        .value_kind:     global_buffer
      - .actual_access:  read_only
        .address_space:  global
        .offset:         88
        .size:           8
        .value_kind:     global_buffer
      - .actual_access:  read_only
        .address_space:  global
        .offset:         96
        .size:           8
        .value_kind:     global_buffer
      - .offset:         104
        .size:           16
        .value_kind:     by_value
      - .actual_access:  read_only
        .address_space:  global
        .offset:         120
        .size:           8
        .value_kind:     global_buffer
      - .actual_access:  read_only
        .address_space:  global
        .offset:         128
        .size:           8
        .value_kind:     global_buffer
      - .actual_access:  read_only
        .address_space:  global
        .offset:         136
        .size:           8
        .value_kind:     global_buffer
      - .actual_access:  read_only
        .address_space:  global
        .offset:         144
        .size:           8
        .value_kind:     global_buffer
      - .actual_access:  write_only
        .address_space:  global
        .offset:         152
        .size:           8
        .value_kind:     global_buffer
      - .actual_access:  write_only
        .address_space:  global
        .offset:         160
        .size:           8
        .value_kind:     global_buffer
      - .offset:         168
        .size:           4
        .value_kind:     by_value
      - .offset:         172
        .size:           4
        .value_kind:     by_value
      - .offset:         176
        .size:           4
        .value_kind:     by_value
      - .offset:         180
        .size:           4
        .value_kind:     by_value
      - .offset:         184
        .size:           1
        .value_kind:     by_value
      - .offset:         185
        .size:           1
        .value_kind:     by_value
      - .offset:         186
        .size:           1
        .value_kind:     by_value
    .group_segment_fixed_size: 40960
    .kernarg_segment_align: 8
    .kernarg_segment_size: 188
    .language:       OpenCL C
    .language_version:
      - 2
      - 0
    .max_flat_workgroup_size: 256
    .name:           _ZN9rocsparseL27bsrgemm_fill_wf_per_row_2x2ILj256ELj16ELj32ELj137Ell21rocsparse_complex_numIdEEEv20rocsparse_direction_T4_S4_PKS4_S6_NS_24const_host_device_scalarIT5_EEPKT3_S6_PKS8_SC_S6_SE_S9_SC_S6_SE_SC_PS4_PS8_21rocsparse_index_base_SH_SH_SH_bbb
    .private_segment_fixed_size: 0
    .sgpr_count:     60
    .sgpr_spill_count: 0
    .symbol:         _ZN9rocsparseL27bsrgemm_fill_wf_per_row_2x2ILj256ELj16ELj32ELj137Ell21rocsparse_complex_numIdEEEv20rocsparse_direction_T4_S4_PKS4_S6_NS_24const_host_device_scalarIT5_EEPKT3_S6_PKS8_SC_S6_SE_S9_SC_S6_SE_SC_PS4_PS8_21rocsparse_index_base_SH_SH_SH_bbb.kd
    .uniform_work_group_size: 1
    .uses_dynamic_stack: false
    .vgpr_count:     69
    .vgpr_spill_count: 0
    .wavefront_size: 64
  - .agpr_count:     0
    .args:
      - .offset:         0
        .size:           4
        .value_kind:     by_value
      - .offset:         8
        .size:           8
        .value_kind:     by_value
      - .offset:         16
        .size:           8
        .value_kind:     by_value
      - .actual_access:  read_only
        .address_space:  global
        .offset:         24
        .size:           8
        .value_kind:     global_buffer
      - .actual_access:  read_only
        .address_space:  global
        .offset:         32
        .size:           8
        .value_kind:     global_buffer
      - .offset:         40
        .size:           16
        .value_kind:     by_value
      - .actual_access:  read_only
        .address_space:  global
        .offset:         56
        .size:           8
        .value_kind:     global_buffer
      - .actual_access:  read_only
        .address_space:  global
        .offset:         64
        .size:           8
        .value_kind:     global_buffer
      - .actual_access:  read_only
        .address_space:  global
        .offset:         72
        .size:           8
        .value_kind:     global_buffer
      - .actual_access:  read_only
        .address_space:  global
        .offset:         80
        .size:           8
        .value_kind:     global_buffer
      - .actual_access:  read_only
        .address_space:  global
        .offset:         88
        .size:           8
        .value_kind:     global_buffer
      - .actual_access:  read_only
        .address_space:  global
        .offset:         96
        .size:           8
        .value_kind:     global_buffer
      - .offset:         104
        .size:           16
        .value_kind:     by_value
      - .actual_access:  read_only
        .address_space:  global
        .offset:         120
        .size:           8
        .value_kind:     global_buffer
      - .actual_access:  read_only
        .address_space:  global
        .offset:         128
        .size:           8
        .value_kind:     global_buffer
      - .actual_access:  read_only
        .address_space:  global
        .offset:         136
        .size:           8
        .value_kind:     global_buffer
      - .actual_access:  read_only
        .address_space:  global
        .offset:         144
        .size:           8
        .value_kind:     global_buffer
      - .actual_access:  write_only
        .address_space:  global
        .offset:         152
        .size:           8
        .value_kind:     global_buffer
      - .actual_access:  write_only
        .address_space:  global
        .offset:         160
        .size:           8
        .value_kind:     global_buffer
      - .offset:         168
        .size:           4
        .value_kind:     by_value
      - .offset:         172
        .size:           4
        .value_kind:     by_value
      - .offset:         176
        .size:           4
        .value_kind:     by_value
      - .offset:         180
        .size:           4
        .value_kind:     by_value
      - .offset:         184
        .size:           1
        .value_kind:     by_value
      - .offset:         185
        .size:           1
        .value_kind:     by_value
      - .offset:         186
        .size:           1
        .value_kind:     by_value
    .group_segment_fixed_size: 0
    .kernarg_segment_align: 8
    .kernarg_segment_size: 188
    .language:       OpenCL C
    .language_version:
      - 2
      - 0
    .max_flat_workgroup_size: 256
    .name:           _ZN9rocsparseL30bsrgemm_fill_block_per_row_2x2ILj256ELj16ELj64ELj137Ell21rocsparse_complex_numIdEEEv20rocsparse_direction_T4_S4_PKS4_S6_NS_24const_host_device_scalarIT5_EEPKT3_S6_PKS8_SC_S6_SE_S9_SC_S6_SE_SC_PS4_PS8_21rocsparse_index_base_SH_SH_SH_bbb
    .private_segment_fixed_size: 24
    .sgpr_count:     61
    .sgpr_spill_count: 0
    .symbol:         _ZN9rocsparseL30bsrgemm_fill_block_per_row_2x2ILj256ELj16ELj64ELj137Ell21rocsparse_complex_numIdEEEv20rocsparse_direction_T4_S4_PKS4_S6_NS_24const_host_device_scalarIT5_EEPKT3_S6_PKS8_SC_S6_SE_S9_SC_S6_SE_SC_PS4_PS8_21rocsparse_index_base_SH_SH_SH_bbb.kd
    .uniform_work_group_size: 1
    .uses_dynamic_stack: false
    .vgpr_count:     66
    .vgpr_spill_count: 0
    .wavefront_size: 64
  - .agpr_count:     0
    .args:
      - .offset:         0
        .size:           4
        .value_kind:     by_value
      - .offset:         8
        .size:           8
        .value_kind:     by_value
      - .offset:         16
        .size:           8
        .value_kind:     by_value
      - .actual_access:  read_only
        .address_space:  global
        .offset:         24
        .size:           8
        .value_kind:     global_buffer
      - .actual_access:  read_only
        .address_space:  global
        .offset:         32
        .size:           8
        .value_kind:     global_buffer
      - .offset:         40
        .size:           16
        .value_kind:     by_value
      - .actual_access:  read_only
        .address_space:  global
        .offset:         56
        .size:           8
        .value_kind:     global_buffer
      - .actual_access:  read_only
        .address_space:  global
        .offset:         64
        .size:           8
        .value_kind:     global_buffer
      - .actual_access:  read_only
        .address_space:  global
        .offset:         72
        .size:           8
        .value_kind:     global_buffer
      - .actual_access:  read_only
        .address_space:  global
        .offset:         80
        .size:           8
        .value_kind:     global_buffer
      - .actual_access:  read_only
        .address_space:  global
        .offset:         88
        .size:           8
        .value_kind:     global_buffer
      - .actual_access:  read_only
        .address_space:  global
        .offset:         96
        .size:           8
        .value_kind:     global_buffer
      - .offset:         104
        .size:           16
        .value_kind:     by_value
      - .actual_access:  read_only
        .address_space:  global
        .offset:         120
        .size:           8
        .value_kind:     global_buffer
      - .actual_access:  read_only
        .address_space:  global
        .offset:         128
        .size:           8
        .value_kind:     global_buffer
      - .actual_access:  read_only
        .address_space:  global
        .offset:         136
        .size:           8
        .value_kind:     global_buffer
      - .actual_access:  read_only
        .address_space:  global
        .offset:         144
        .size:           8
        .value_kind:     global_buffer
      - .actual_access:  write_only
        .address_space:  global
        .offset:         152
        .size:           8
        .value_kind:     global_buffer
      - .actual_access:  write_only
        .address_space:  global
        .offset:         160
        .size:           8
        .value_kind:     global_buffer
      - .offset:         168
        .size:           4
        .value_kind:     by_value
      - .offset:         172
        .size:           4
        .value_kind:     by_value
      - .offset:         176
        .size:           4
        .value_kind:     by_value
      - .offset:         180
        .size:           4
        .value_kind:     by_value
      - .offset:         184
        .size:           1
        .value_kind:     by_value
      - .offset:         185
        .size:           1
        .value_kind:     by_value
      - .offset:         186
        .size:           1
        .value_kind:     by_value
    .group_segment_fixed_size: 0
    .kernarg_segment_align: 8
    .kernarg_segment_size: 188
    .language:       OpenCL C
    .language_version:
      - 2
      - 0
    .max_flat_workgroup_size: 256
    .name:           _ZN9rocsparseL30bsrgemm_fill_block_per_row_2x2ILj256ELj16ELj128ELj137Ell21rocsparse_complex_numIdEEEv20rocsparse_direction_T4_S4_PKS4_S6_NS_24const_host_device_scalarIT5_EEPKT3_S6_PKS8_SC_S6_SE_S9_SC_S6_SE_SC_PS4_PS8_21rocsparse_index_base_SH_SH_SH_bbb
    .private_segment_fixed_size: 24
    .sgpr_count:     71
    .sgpr_spill_count: 0
    .symbol:         _ZN9rocsparseL30bsrgemm_fill_block_per_row_2x2ILj256ELj16ELj128ELj137Ell21rocsparse_complex_numIdEEEv20rocsparse_direction_T4_S4_PKS4_S6_NS_24const_host_device_scalarIT5_EEPKT3_S6_PKS8_SC_S6_SE_S9_SC_S6_SE_SC_PS4_PS8_21rocsparse_index_base_SH_SH_SH_bbb.kd
    .uniform_work_group_size: 1
    .uses_dynamic_stack: false
    .vgpr_count:     66
    .vgpr_spill_count: 0
    .wavefront_size: 64
  - .agpr_count:     0
    .args:
      - .offset:         0
        .size:           4
        .value_kind:     by_value
      - .offset:         8
        .size:           8
        .value_kind:     by_value
      - .offset:         16
        .size:           8
        .value_kind:     by_value
      - .actual_access:  read_only
        .address_space:  global
        .offset:         24
        .size:           8
        .value_kind:     global_buffer
      - .actual_access:  read_only
        .address_space:  global
        .offset:         32
        .size:           8
        .value_kind:     global_buffer
      - .offset:         40
        .size:           16
        .value_kind:     by_value
      - .actual_access:  read_only
        .address_space:  global
        .offset:         56
        .size:           8
        .value_kind:     global_buffer
      - .actual_access:  read_only
        .address_space:  global
        .offset:         64
        .size:           8
        .value_kind:     global_buffer
      - .actual_access:  read_only
        .address_space:  global
        .offset:         72
        .size:           8
        .value_kind:     global_buffer
      - .actual_access:  read_only
        .address_space:  global
        .offset:         80
        .size:           8
        .value_kind:     global_buffer
      - .actual_access:  read_only
        .address_space:  global
        .offset:         88
        .size:           8
        .value_kind:     global_buffer
      - .actual_access:  read_only
        .address_space:  global
        .offset:         96
        .size:           8
        .value_kind:     global_buffer
      - .offset:         104
        .size:           16
        .value_kind:     by_value
      - .actual_access:  read_only
        .address_space:  global
        .offset:         120
        .size:           8
        .value_kind:     global_buffer
      - .actual_access:  read_only
        .address_space:  global
        .offset:         128
        .size:           8
        .value_kind:     global_buffer
      - .actual_access:  read_only
        .address_space:  global
        .offset:         136
        .size:           8
        .value_kind:     global_buffer
      - .actual_access:  read_only
        .address_space:  global
        .offset:         144
        .size:           8
        .value_kind:     global_buffer
      - .actual_access:  write_only
        .address_space:  global
        .offset:         152
        .size:           8
        .value_kind:     global_buffer
      - .actual_access:  write_only
        .address_space:  global
        .offset:         160
        .size:           8
        .value_kind:     global_buffer
      - .offset:         168
        .size:           4
        .value_kind:     by_value
      - .offset:         172
        .size:           4
        .value_kind:     by_value
      - .offset:         176
        .size:           4
        .value_kind:     by_value
      - .offset:         180
        .size:           4
        .value_kind:     by_value
      - .offset:         184
        .size:           1
        .value_kind:     by_value
      - .offset:         185
        .size:           1
        .value_kind:     by_value
      - .offset:         186
        .size:           1
        .value_kind:     by_value
    .group_segment_fixed_size: 0
    .kernarg_segment_align: 8
    .kernarg_segment_size: 188
    .language:       OpenCL C
    .language_version:
      - 2
      - 0
    .max_flat_workgroup_size: 256
    .name:           _ZN9rocsparseL30bsrgemm_fill_block_per_row_2x2ILj256ELj16ELj256ELj137Ell21rocsparse_complex_numIdEEEv20rocsparse_direction_T4_S4_PKS4_S6_NS_24const_host_device_scalarIT5_EEPKT3_S6_PKS8_SC_S6_SE_S9_SC_S6_SE_SC_PS4_PS8_21rocsparse_index_base_SH_SH_SH_bbb
    .private_segment_fixed_size: 24
    .sgpr_count:     71
    .sgpr_spill_count: 0
    .symbol:         _ZN9rocsparseL30bsrgemm_fill_block_per_row_2x2ILj256ELj16ELj256ELj137Ell21rocsparse_complex_numIdEEEv20rocsparse_direction_T4_S4_PKS4_S6_NS_24const_host_device_scalarIT5_EEPKT3_S6_PKS8_SC_S6_SE_S9_SC_S6_SE_SC_PS4_PS8_21rocsparse_index_base_SH_SH_SH_bbb.kd
    .uniform_work_group_size: 1
    .uses_dynamic_stack: false
    .vgpr_count:     66
    .vgpr_spill_count: 0
    .wavefront_size: 64
  - .agpr_count:     0
    .args:
      - .offset:         0
        .size:           4
        .value_kind:     by_value
      - .offset:         8
        .size:           8
        .value_kind:     by_value
      - .offset:         16
        .size:           8
        .value_kind:     by_value
      - .actual_access:  read_only
        .address_space:  global
        .offset:         24
        .size:           8
        .value_kind:     global_buffer
      - .actual_access:  read_only
        .address_space:  global
        .offset:         32
        .size:           8
        .value_kind:     global_buffer
      - .offset:         40
        .size:           16
        .value_kind:     by_value
      - .actual_access:  read_only
        .address_space:  global
        .offset:         56
        .size:           8
        .value_kind:     global_buffer
      - .actual_access:  read_only
        .address_space:  global
        .offset:         64
        .size:           8
        .value_kind:     global_buffer
      - .actual_access:  read_only
        .address_space:  global
        .offset:         72
        .size:           8
        .value_kind:     global_buffer
      - .actual_access:  read_only
        .address_space:  global
        .offset:         80
        .size:           8
        .value_kind:     global_buffer
      - .actual_access:  read_only
        .address_space:  global
        .offset:         88
        .size:           8
        .value_kind:     global_buffer
      - .actual_access:  read_only
        .address_space:  global
        .offset:         96
        .size:           8
        .value_kind:     global_buffer
      - .offset:         104
        .size:           16
        .value_kind:     by_value
      - .actual_access:  read_only
        .address_space:  global
        .offset:         120
        .size:           8
        .value_kind:     global_buffer
      - .actual_access:  read_only
        .address_space:  global
        .offset:         128
        .size:           8
        .value_kind:     global_buffer
      - .actual_access:  read_only
        .address_space:  global
        .offset:         136
        .size:           8
        .value_kind:     global_buffer
      - .actual_access:  read_only
        .address_space:  global
        .offset:         144
        .size:           8
        .value_kind:     global_buffer
      - .actual_access:  write_only
        .address_space:  global
        .offset:         152
        .size:           8
        .value_kind:     global_buffer
      - .actual_access:  write_only
        .address_space:  global
        .offset:         160
        .size:           8
        .value_kind:     global_buffer
      - .address_space:  global
        .offset:         168
        .size:           8
        .value_kind:     global_buffer
      - .offset:         176
        .size:           4
        .value_kind:     by_value
      - .offset:         180
        .size:           4
        .value_kind:     by_value
      - .offset:         184
        .size:           4
        .value_kind:     by_value
      - .offset:         188
        .size:           4
        .value_kind:     by_value
      - .offset:         192
        .size:           1
        .value_kind:     by_value
      - .offset:         193
        .size:           1
        .value_kind:     by_value
      - .offset:         194
        .size:           1
        .value_kind:     by_value
    .group_segment_fixed_size: 21512
    .kernarg_segment_align: 8
    .kernarg_segment_size: 196
    .language:       OpenCL C
    .language_version:
      - 2
      - 0
    .max_flat_workgroup_size: 256
    .name:           _ZN9rocsparseL38bsrgemm_block_per_row_atomic_multipassILj256ELj256ELj2Ell21rocsparse_complex_numIdEEEv20rocsparse_direction_T3_S4_PKS4_S6_NS_24const_host_device_scalarIT4_EEPKT2_S6_PKS8_SC_S6_SE_S9_SC_S6_SE_SC_PS4_PS8_PSA_21rocsparse_index_base_SI_SI_SI_bbb
    .private_segment_fixed_size: 24
    .sgpr_count:     106
    .sgpr_spill_count: 12
    .symbol:         _ZN9rocsparseL38bsrgemm_block_per_row_atomic_multipassILj256ELj256ELj2Ell21rocsparse_complex_numIdEEEv20rocsparse_direction_T3_S4_PKS4_S6_NS_24const_host_device_scalarIT4_EEPKT2_S6_PKS8_SC_S6_SE_S9_SC_S6_SE_SC_PS4_PS8_PSA_21rocsparse_index_base_SI_SI_SI_bbb.kd
    .uniform_work_group_size: 1
    .uses_dynamic_stack: false
    .vgpr_count:     83
    .vgpr_spill_count: 0
    .wavefront_size: 64
  - .agpr_count:     0
    .args:
      - .offset:         0
        .size:           4
        .value_kind:     by_value
      - .offset:         8
        .size:           8
        .value_kind:     by_value
      - .offset:         16
        .size:           8
        .value_kind:     by_value
      - .offset:         24
        .size:           8
        .value_kind:     by_value
      - .actual_access:  read_only
        .address_space:  global
        .offset:         32
        .size:           8
        .value_kind:     global_buffer
      - .actual_access:  read_only
        .address_space:  global
        .offset:         40
        .size:           8
        .value_kind:     global_buffer
      - .offset:         48
        .size:           16
        .value_kind:     by_value
      - .actual_access:  read_only
        .address_space:  global
        .offset:         64
        .size:           8
        .value_kind:     global_buffer
      - .actual_access:  read_only
        .address_space:  global
        .offset:         72
        .size:           8
        .value_kind:     global_buffer
      - .actual_access:  read_only
        .address_space:  global
        .offset:         80
        .size:           8
        .value_kind:     global_buffer
      - .actual_access:  read_only
        .address_space:  global
        .offset:         88
        .size:           8
        .value_kind:     global_buffer
      - .actual_access:  read_only
        .address_space:  global
        .offset:         96
        .size:           8
        .value_kind:     global_buffer
      - .actual_access:  read_only
        .address_space:  global
        .offset:         104
        .size:           8
        .value_kind:     global_buffer
      - .offset:         112
        .size:           16
        .value_kind:     by_value
      - .actual_access:  read_only
        .address_space:  global
        .offset:         128
        .size:           8
        .value_kind:     global_buffer
      - .actual_access:  read_only
        .address_space:  global
        .offset:         136
        .size:           8
        .value_kind:     global_buffer
      - .actual_access:  read_only
        .address_space:  global
        .offset:         144
        .size:           8
        .value_kind:     global_buffer
      - .actual_access:  read_only
        .address_space:  global
        .offset:         152
        .size:           8
        .value_kind:     global_buffer
      - .actual_access:  write_only
        .address_space:  global
        .offset:         160
        .size:           8
        .value_kind:     global_buffer
      - .actual_access:  write_only
        .address_space:  global
        .offset:         168
        .size:           8
        .value_kind:     global_buffer
      - .offset:         176
        .size:           4
        .value_kind:     by_value
      - .offset:         180
        .size:           4
        .value_kind:     by_value
      - .offset:         184
        .size:           4
        .value_kind:     by_value
      - .offset:         188
        .size:           4
        .value_kind:     by_value
      - .offset:         192
        .size:           1
        .value_kind:     by_value
      - .offset:         193
        .size:           1
        .value_kind:     by_value
      - .offset:         194
        .size:           1
        .value_kind:     by_value
    .group_segment_fixed_size: 8448
    .kernarg_segment_align: 8
    .kernarg_segment_size: 196
    .language:       OpenCL C
    .language_version:
      - 2
      - 0
    .max_flat_workgroup_size: 256
    .name:           _ZN9rocsparseL23bsrgemm_fill_wf_per_rowILj256ELj64ELj8ELj137ELj4Ell21rocsparse_complex_numIdEEEv20rocsparse_direction_T5_S4_S4_PKS4_S6_NS_24const_host_device_scalarIT6_EEPKT4_S6_PKS8_SC_S6_SE_S9_SC_S6_SE_SC_PS4_PS8_21rocsparse_index_base_SH_SH_SH_bbb
    .private_segment_fixed_size: 24
    .sgpr_count:     79
    .sgpr_spill_count: 0
    .symbol:         _ZN9rocsparseL23bsrgemm_fill_wf_per_rowILj256ELj64ELj8ELj137ELj4Ell21rocsparse_complex_numIdEEEv20rocsparse_direction_T5_S4_S4_PKS4_S6_NS_24const_host_device_scalarIT6_EEPKT4_S6_PKS8_SC_S6_SE_S9_SC_S6_SE_SC_PS4_PS8_21rocsparse_index_base_SH_SH_SH_bbb.kd
    .uniform_work_group_size: 1
    .uses_dynamic_stack: false
    .vgpr_count:     59
    .vgpr_spill_count: 0
    .wavefront_size: 64
  - .agpr_count:     0
    .args:
      - .offset:         0
        .size:           4
        .value_kind:     by_value
      - .offset:         8
        .size:           8
        .value_kind:     by_value
      - .offset:         16
        .size:           8
        .value_kind:     by_value
      - .offset:         24
        .size:           8
        .value_kind:     by_value
      - .actual_access:  read_only
        .address_space:  global
        .offset:         32
        .size:           8
        .value_kind:     global_buffer
      - .actual_access:  read_only
        .address_space:  global
        .offset:         40
        .size:           8
        .value_kind:     global_buffer
      - .offset:         48
        .size:           16
        .value_kind:     by_value
      - .actual_access:  read_only
        .address_space:  global
        .offset:         64
        .size:           8
        .value_kind:     global_buffer
      - .actual_access:  read_only
        .address_space:  global
        .offset:         72
        .size:           8
        .value_kind:     global_buffer
      - .actual_access:  read_only
        .address_space:  global
        .offset:         80
        .size:           8
        .value_kind:     global_buffer
      - .actual_access:  read_only
        .address_space:  global
        .offset:         88
        .size:           8
        .value_kind:     global_buffer
      - .actual_access:  read_only
        .address_space:  global
        .offset:         96
        .size:           8
        .value_kind:     global_buffer
      - .actual_access:  read_only
        .address_space:  global
        .offset:         104
        .size:           8
        .value_kind:     global_buffer
      - .offset:         112
        .size:           16
        .value_kind:     by_value
      - .actual_access:  read_only
        .address_space:  global
        .offset:         128
        .size:           8
        .value_kind:     global_buffer
      - .actual_access:  read_only
        .address_space:  global
        .offset:         136
        .size:           8
        .value_kind:     global_buffer
      - .actual_access:  read_only
        .address_space:  global
        .offset:         144
        .size:           8
        .value_kind:     global_buffer
      - .actual_access:  read_only
        .address_space:  global
        .offset:         152
        .size:           8
        .value_kind:     global_buffer
      - .actual_access:  write_only
        .address_space:  global
        .offset:         160
        .size:           8
        .value_kind:     global_buffer
      - .actual_access:  write_only
        .address_space:  global
        .offset:         168
        .size:           8
        .value_kind:     global_buffer
      - .offset:         176
        .size:           4
        .value_kind:     by_value
      - .offset:         180
        .size:           4
        .value_kind:     by_value
      - .offset:         184
        .size:           4
        .value_kind:     by_value
      - .offset:         188
        .size:           4
        .value_kind:     by_value
      - .offset:         192
        .size:           1
        .value_kind:     by_value
      - .offset:         193
        .size:           1
        .value_kind:     by_value
      - .offset:         194
        .size:           1
        .value_kind:     by_value
    .group_segment_fixed_size: 20992
    .kernarg_segment_align: 8
    .kernarg_segment_size: 196
    .language:       OpenCL C
    .language_version:
      - 2
      - 0
    .max_flat_workgroup_size: 256
    .name:           _ZN9rocsparseL23bsrgemm_fill_wf_per_rowILj256ELj64ELj16ELj137ELj4Ell21rocsparse_complex_numIdEEEv20rocsparse_direction_T5_S4_S4_PKS4_S6_NS_24const_host_device_scalarIT6_EEPKT4_S6_PKS8_SC_S6_SE_S9_SC_S6_SE_SC_PS4_PS8_21rocsparse_index_base_SH_SH_SH_bbb
    .private_segment_fixed_size: 0
    .sgpr_count:     73
    .sgpr_spill_count: 0
    .symbol:         _ZN9rocsparseL23bsrgemm_fill_wf_per_rowILj256ELj64ELj16ELj137ELj4Ell21rocsparse_complex_numIdEEEv20rocsparse_direction_T5_S4_S4_PKS4_S6_NS_24const_host_device_scalarIT6_EEPKT4_S6_PKS8_SC_S6_SE_S9_SC_S6_SE_SC_PS4_PS8_21rocsparse_index_base_SH_SH_SH_bbb.kd
    .uniform_work_group_size: 1
    .uses_dynamic_stack: false
    .vgpr_count:     60
    .vgpr_spill_count: 0
    .wavefront_size: 64
  - .agpr_count:     0
    .args:
      - .offset:         0
        .size:           4
        .value_kind:     by_value
      - .offset:         8
        .size:           8
        .value_kind:     by_value
      - .offset:         16
        .size:           8
        .value_kind:     by_value
      - .actual_access:  read_only
        .address_space:  global
        .offset:         24
        .size:           8
        .value_kind:     global_buffer
      - .actual_access:  read_only
        .address_space:  global
        .offset:         32
        .size:           8
        .value_kind:     global_buffer
      - .offset:         40
        .size:           16
        .value_kind:     by_value
      - .actual_access:  read_only
        .address_space:  global
        .offset:         56
        .size:           8
        .value_kind:     global_buffer
      - .actual_access:  read_only
        .address_space:  global
        .offset:         64
        .size:           8
        .value_kind:     global_buffer
      - .actual_access:  read_only
        .address_space:  global
        .offset:         72
        .size:           8
        .value_kind:     global_buffer
      - .actual_access:  read_only
        .address_space:  global
        .offset:         80
        .size:           8
        .value_kind:     global_buffer
      - .actual_access:  read_only
        .address_space:  global
        .offset:         88
        .size:           8
        .value_kind:     global_buffer
      - .actual_access:  read_only
        .address_space:  global
        .offset:         96
        .size:           8
        .value_kind:     global_buffer
      - .offset:         104
        .size:           16
        .value_kind:     by_value
      - .actual_access:  read_only
        .address_space:  global
        .offset:         120
        .size:           8
        .value_kind:     global_buffer
      - .actual_access:  read_only
        .address_space:  global
        .offset:         128
        .size:           8
        .value_kind:     global_buffer
      - .actual_access:  read_only
        .address_space:  global
        .offset:         136
        .size:           8
        .value_kind:     global_buffer
      - .actual_access:  read_only
        .address_space:  global
        .offset:         144
        .size:           8
        .value_kind:     global_buffer
      - .actual_access:  write_only
        .address_space:  global
        .offset:         152
        .size:           8
        .value_kind:     global_buffer
      - .actual_access:  write_only
        .address_space:  global
        .offset:         160
        .size:           8
        .value_kind:     global_buffer
      - .address_space:  global
        .offset:         168
        .size:           8
        .value_kind:     global_buffer
      - .offset:         176
        .size:           4
        .value_kind:     by_value
      - .offset:         180
        .size:           4
        .value_kind:     by_value
      - .offset:         184
        .size:           4
        .value_kind:     by_value
      - .offset:         188
        .size:           4
        .value_kind:     by_value
      - .offset:         192
        .size:           1
        .value_kind:     by_value
      - .offset:         193
        .size:           1
        .value_kind:     by_value
      - .offset:         194
        .size:           1
        .value_kind:     by_value
    .group_segment_fixed_size: 12424
    .kernarg_segment_align: 8
    .kernarg_segment_size: 196
    .language:       OpenCL C
    .language_version:
      - 2
      - 0
    .max_flat_workgroup_size: 256
    .name:           _ZN9rocsparseL38bsrgemm_block_per_row_atomic_multipassILj256ELj32ELj4Ell21rocsparse_complex_numIdEEEv20rocsparse_direction_T3_S4_PKS4_S6_NS_24const_host_device_scalarIT4_EEPKT2_S6_PKS8_SC_S6_SE_S9_SC_S6_SE_SC_PS4_PS8_PSA_21rocsparse_index_base_SI_SI_SI_bbb
    .private_segment_fixed_size: 24
    .sgpr_count:     104
    .sgpr_spill_count: 0
    .symbol:         _ZN9rocsparseL38bsrgemm_block_per_row_atomic_multipassILj256ELj32ELj4Ell21rocsparse_complex_numIdEEEv20rocsparse_direction_T3_S4_PKS4_S6_NS_24const_host_device_scalarIT4_EEPKT2_S6_PKS8_SC_S6_SE_S9_SC_S6_SE_SC_PS4_PS8_PSA_21rocsparse_index_base_SI_SI_SI_bbb.kd
    .uniform_work_group_size: 1
    .uses_dynamic_stack: false
    .vgpr_count:     76
    .vgpr_spill_count: 0
    .wavefront_size: 64
  - .agpr_count:     0
    .args:
      - .offset:         0
        .size:           4
        .value_kind:     by_value
      - .offset:         8
        .size:           8
        .value_kind:     by_value
      - .offset:         16
        .size:           8
        .value_kind:     by_value
      - .actual_access:  read_only
        .address_space:  global
        .offset:         24
        .size:           8
        .value_kind:     global_buffer
      - .actual_access:  read_only
        .address_space:  global
        .offset:         32
        .size:           8
        .value_kind:     global_buffer
      - .offset:         40
        .size:           16
        .value_kind:     by_value
      - .actual_access:  read_only
        .address_space:  global
        .offset:         56
        .size:           8
        .value_kind:     global_buffer
      - .actual_access:  read_only
        .address_space:  global
        .offset:         64
        .size:           8
        .value_kind:     global_buffer
      - .actual_access:  read_only
        .address_space:  global
        .offset:         72
        .size:           8
        .value_kind:     global_buffer
      - .actual_access:  read_only
        .address_space:  global
        .offset:         80
        .size:           8
        .value_kind:     global_buffer
      - .actual_access:  read_only
        .address_space:  global
        .offset:         88
        .size:           8
        .value_kind:     global_buffer
      - .actual_access:  read_only
        .address_space:  global
        .offset:         96
        .size:           8
        .value_kind:     global_buffer
      - .offset:         104
        .size:           16
        .value_kind:     by_value
      - .actual_access:  read_only
        .address_space:  global
        .offset:         120
        .size:           8
        .value_kind:     global_buffer
      - .actual_access:  read_only
        .address_space:  global
        .offset:         128
        .size:           8
        .value_kind:     global_buffer
      - .actual_access:  read_only
        .address_space:  global
        .offset:         136
        .size:           8
        .value_kind:     global_buffer
      - .actual_access:  read_only
        .address_space:  global
        .offset:         144
        .size:           8
        .value_kind:     global_buffer
      - .actual_access:  write_only
        .address_space:  global
        .offset:         152
        .size:           8
        .value_kind:     global_buffer
      - .actual_access:  write_only
        .address_space:  global
        .offset:         160
        .size:           8
        .value_kind:     global_buffer
      - .address_space:  global
        .offset:         168
        .size:           8
        .value_kind:     global_buffer
      - .offset:         176
        .size:           4
        .value_kind:     by_value
      - .offset:         180
        .size:           4
        .value_kind:     by_value
      - .offset:         184
        .size:           4
        .value_kind:     by_value
      - .offset:         188
        .size:           4
        .value_kind:     by_value
      - .offset:         192
        .size:           1
        .value_kind:     by_value
      - .offset:         193
        .size:           1
        .value_kind:     by_value
      - .offset:         194
        .size:           1
        .value_kind:     by_value
    .group_segment_fixed_size: 20744
    .kernarg_segment_align: 8
    .kernarg_segment_size: 196
    .language:       OpenCL C
    .language_version:
      - 2
      - 0
    .max_flat_workgroup_size: 256
    .name:           _ZN9rocsparseL38bsrgemm_block_per_row_atomic_multipassILj256ELj64ELj4Ell21rocsparse_complex_numIdEEEv20rocsparse_direction_T3_S4_PKS4_S6_NS_24const_host_device_scalarIT4_EEPKT2_S6_PKS8_SC_S6_SE_S9_SC_S6_SE_SC_PS4_PS8_PSA_21rocsparse_index_base_SI_SI_SI_bbb
    .private_segment_fixed_size: 24
    .sgpr_count:     105
    .sgpr_spill_count: 0
    .symbol:         _ZN9rocsparseL38bsrgemm_block_per_row_atomic_multipassILj256ELj64ELj4Ell21rocsparse_complex_numIdEEEv20rocsparse_direction_T3_S4_PKS4_S6_NS_24const_host_device_scalarIT4_EEPKT2_S6_PKS8_SC_S6_SE_S9_SC_S6_SE_SC_PS4_PS8_PSA_21rocsparse_index_base_SI_SI_SI_bbb.kd
    .uniform_work_group_size: 1
    .uses_dynamic_stack: false
    .vgpr_count:     80
    .vgpr_spill_count: 0
    .wavefront_size: 64
  - .agpr_count:     0
    .args:
      - .offset:         0
        .size:           4
        .value_kind:     by_value
      - .offset:         8
        .size:           8
        .value_kind:     by_value
      - .offset:         16
        .size:           8
        .value_kind:     by_value
      - .actual_access:  read_only
        .address_space:  global
        .offset:         24
        .size:           8
        .value_kind:     global_buffer
      - .actual_access:  read_only
        .address_space:  global
        .offset:         32
        .size:           8
        .value_kind:     global_buffer
      - .offset:         40
        .size:           16
        .value_kind:     by_value
      - .actual_access:  read_only
        .address_space:  global
        .offset:         56
        .size:           8
        .value_kind:     global_buffer
      - .actual_access:  read_only
        .address_space:  global
        .offset:         64
        .size:           8
        .value_kind:     global_buffer
      - .actual_access:  read_only
        .address_space:  global
        .offset:         72
        .size:           8
        .value_kind:     global_buffer
      - .actual_access:  read_only
        .address_space:  global
        .offset:         80
        .size:           8
        .value_kind:     global_buffer
      - .actual_access:  read_only
        .address_space:  global
        .offset:         88
        .size:           8
        .value_kind:     global_buffer
      - .actual_access:  read_only
        .address_space:  global
        .offset:         96
        .size:           8
        .value_kind:     global_buffer
      - .offset:         104
        .size:           16
        .value_kind:     by_value
      - .actual_access:  read_only
        .address_space:  global
        .offset:         120
        .size:           8
        .value_kind:     global_buffer
      - .actual_access:  read_only
        .address_space:  global
        .offset:         128
        .size:           8
        .value_kind:     global_buffer
      - .actual_access:  read_only
        .address_space:  global
        .offset:         136
        .size:           8
        .value_kind:     global_buffer
      - .actual_access:  read_only
        .address_space:  global
        .offset:         144
        .size:           8
        .value_kind:     global_buffer
      - .actual_access:  write_only
        .address_space:  global
        .offset:         152
        .size:           8
        .value_kind:     global_buffer
      - .actual_access:  write_only
        .address_space:  global
        .offset:         160
        .size:           8
        .value_kind:     global_buffer
      - .address_space:  global
        .offset:         168
        .size:           8
        .value_kind:     global_buffer
      - .offset:         176
        .size:           4
        .value_kind:     by_value
      - .offset:         180
        .size:           4
        .value_kind:     by_value
      - .offset:         184
        .size:           4
        .value_kind:     by_value
      - .offset:         188
        .size:           4
        .value_kind:     by_value
      - .offset:         192
        .size:           1
        .value_kind:     by_value
      - .offset:         193
        .size:           1
        .value_kind:     by_value
      - .offset:         194
        .size:           1
        .value_kind:     by_value
    .group_segment_fixed_size: 41480
    .kernarg_segment_align: 8
    .kernarg_segment_size: 196
    .language:       OpenCL C
    .language_version:
      - 2
      - 0
    .max_flat_workgroup_size: 256
    .name:           _ZN9rocsparseL38bsrgemm_block_per_row_atomic_multipassILj256ELj128ELj4Ell21rocsparse_complex_numIdEEEv20rocsparse_direction_T3_S4_PKS4_S6_NS_24const_host_device_scalarIT4_EEPKT2_S6_PKS8_SC_S6_SE_S9_SC_S6_SE_SC_PS4_PS8_PSA_21rocsparse_index_base_SI_SI_SI_bbb
    .private_segment_fixed_size: 0
    .sgpr_count:     100
    .sgpr_spill_count: 12
    .symbol:         _ZN9rocsparseL38bsrgemm_block_per_row_atomic_multipassILj256ELj128ELj4Ell21rocsparse_complex_numIdEEEv20rocsparse_direction_T3_S4_PKS4_S6_NS_24const_host_device_scalarIT4_EEPKT2_S6_PKS8_SC_S6_SE_S9_SC_S6_SE_SC_PS4_PS8_PSA_21rocsparse_index_base_SI_SI_SI_bbb.kd
    .uniform_work_group_size: 1
    .uses_dynamic_stack: false
    .vgpr_count:     84
    .vgpr_spill_count: 0
    .wavefront_size: 64
  - .agpr_count:     0
    .args:
      - .offset:         0
        .size:           4
        .value_kind:     by_value
      - .offset:         8
        .size:           8
        .value_kind:     by_value
      - .offset:         16
        .size:           8
        .value_kind:     by_value
      - .offset:         24
        .size:           8
        .value_kind:     by_value
      - .actual_access:  read_only
        .address_space:  global
        .offset:         32
        .size:           8
        .value_kind:     global_buffer
      - .actual_access:  read_only
        .address_space:  global
        .offset:         40
        .size:           8
        .value_kind:     global_buffer
      - .offset:         48
        .size:           16
        .value_kind:     by_value
      - .actual_access:  read_only
        .address_space:  global
        .offset:         64
        .size:           8
        .value_kind:     global_buffer
      - .actual_access:  read_only
        .address_space:  global
        .offset:         72
        .size:           8
        .value_kind:     global_buffer
      - .actual_access:  read_only
        .address_space:  global
        .offset:         80
        .size:           8
        .value_kind:     global_buffer
      - .actual_access:  read_only
        .address_space:  global
        .offset:         88
        .size:           8
        .value_kind:     global_buffer
      - .actual_access:  read_only
        .address_space:  global
        .offset:         96
        .size:           8
        .value_kind:     global_buffer
      - .actual_access:  read_only
        .address_space:  global
        .offset:         104
        .size:           8
        .value_kind:     global_buffer
      - .offset:         112
        .size:           16
        .value_kind:     by_value
      - .actual_access:  read_only
        .address_space:  global
        .offset:         128
        .size:           8
        .value_kind:     global_buffer
      - .actual_access:  read_only
        .address_space:  global
        .offset:         136
        .size:           8
        .value_kind:     global_buffer
      - .actual_access:  read_only
        .address_space:  global
        .offset:         144
        .size:           8
        .value_kind:     global_buffer
      - .actual_access:  read_only
        .address_space:  global
        .offset:         152
        .size:           8
        .value_kind:     global_buffer
      - .actual_access:  write_only
        .address_space:  global
        .offset:         160
        .size:           8
        .value_kind:     global_buffer
      - .actual_access:  write_only
        .address_space:  global
        .offset:         168
        .size:           8
        .value_kind:     global_buffer
      - .offset:         176
        .size:           4
        .value_kind:     by_value
      - .offset:         180
        .size:           4
        .value_kind:     by_value
      - .offset:         184
        .size:           4
        .value_kind:     by_value
      - .offset:         188
        .size:           4
        .value_kind:     by_value
      - .offset:         192
        .size:           1
        .value_kind:     by_value
      - .offset:         193
        .size:           1
        .value_kind:     by_value
      - .offset:         194
        .size:           1
        .value_kind:     by_value
    .group_segment_fixed_size: 37120
    .kernarg_segment_align: 8
    .kernarg_segment_size: 196
    .language:       OpenCL C
    .language_version:
      - 2
      - 0
    .max_flat_workgroup_size: 256
    .name:           _ZN9rocsparseL23bsrgemm_fill_wf_per_rowILj256ELj64ELj8ELj137ELj8Ell21rocsparse_complex_numIdEEEv20rocsparse_direction_T5_S4_S4_PKS4_S6_NS_24const_host_device_scalarIT6_EEPKT4_S6_PKS8_SC_S6_SE_S9_SC_S6_SE_SC_PS4_PS8_21rocsparse_index_base_SH_SH_SH_bbb
    .private_segment_fixed_size: 0
    .sgpr_count:     71
    .sgpr_spill_count: 0
    .symbol:         _ZN9rocsparseL23bsrgemm_fill_wf_per_rowILj256ELj64ELj8ELj137ELj8Ell21rocsparse_complex_numIdEEEv20rocsparse_direction_T5_S4_S4_PKS4_S6_NS_24const_host_device_scalarIT6_EEPKT4_S6_PKS8_SC_S6_SE_S9_SC_S6_SE_SC_PS4_PS8_21rocsparse_index_base_SH_SH_SH_bbb.kd
    .uniform_work_group_size: 1
    .uses_dynamic_stack: false
    .vgpr_count:     62
    .vgpr_spill_count: 0
    .wavefront_size: 64
  - .agpr_count:     0
    .args:
      - .offset:         0
        .size:           4
        .value_kind:     by_value
      - .offset:         8
        .size:           8
        .value_kind:     by_value
      - .offset:         16
        .size:           8
        .value_kind:     by_value
      - .actual_access:  read_only
        .address_space:  global
        .offset:         24
        .size:           8
        .value_kind:     global_buffer
      - .actual_access:  read_only
        .address_space:  global
        .offset:         32
        .size:           8
        .value_kind:     global_buffer
      - .offset:         40
        .size:           16
        .value_kind:     by_value
      - .actual_access:  read_only
        .address_space:  global
        .offset:         56
        .size:           8
        .value_kind:     global_buffer
      - .actual_access:  read_only
        .address_space:  global
        .offset:         64
        .size:           8
        .value_kind:     global_buffer
      - .actual_access:  read_only
        .address_space:  global
        .offset:         72
        .size:           8
        .value_kind:     global_buffer
      - .actual_access:  read_only
        .address_space:  global
        .offset:         80
        .size:           8
        .value_kind:     global_buffer
      - .actual_access:  read_only
        .address_space:  global
        .offset:         88
        .size:           8
        .value_kind:     global_buffer
      - .actual_access:  read_only
        .address_space:  global
        .offset:         96
        .size:           8
        .value_kind:     global_buffer
      - .offset:         104
        .size:           16
        .value_kind:     by_value
      - .actual_access:  read_only
        .address_space:  global
        .offset:         120
        .size:           8
        .value_kind:     global_buffer
      - .actual_access:  read_only
        .address_space:  global
        .offset:         128
        .size:           8
        .value_kind:     global_buffer
      - .actual_access:  read_only
        .address_space:  global
        .offset:         136
        .size:           8
        .value_kind:     global_buffer
      - .actual_access:  read_only
        .address_space:  global
        .offset:         144
        .size:           8
        .value_kind:     global_buffer
      - .actual_access:  write_only
        .address_space:  global
        .offset:         152
        .size:           8
        .value_kind:     global_buffer
      - .actual_access:  write_only
        .address_space:  global
        .offset:         160
        .size:           8
        .value_kind:     global_buffer
      - .address_space:  global
        .offset:         168
        .size:           8
        .value_kind:     global_buffer
      - .offset:         176
        .size:           4
        .value_kind:     by_value
      - .offset:         180
        .size:           4
        .value_kind:     by_value
      - .offset:         184
        .size:           4
        .value_kind:     by_value
      - .offset:         188
        .size:           4
        .value_kind:     by_value
      - .offset:         192
        .size:           1
        .value_kind:     by_value
      - .offset:         193
        .size:           1
        .value_kind:     by_value
      - .offset:         194
        .size:           1
        .value_kind:     by_value
    .group_segment_fixed_size: 20552
    .kernarg_segment_align: 8
    .kernarg_segment_size: 196
    .language:       OpenCL C
    .language_version:
      - 2
      - 0
    .max_flat_workgroup_size: 256
    .name:           _ZN9rocsparseL38bsrgemm_block_per_row_atomic_multipassILj256ELj16ELj8Ell21rocsparse_complex_numIdEEEv20rocsparse_direction_T3_S4_PKS4_S6_NS_24const_host_device_scalarIT4_EEPKT2_S6_PKS8_SC_S6_SE_S9_SC_S6_SE_SC_PS4_PS8_PSA_21rocsparse_index_base_SI_SI_SI_bbb
    .private_segment_fixed_size: 24
    .sgpr_count:     101
    .sgpr_spill_count: 0
    .symbol:         _ZN9rocsparseL38bsrgemm_block_per_row_atomic_multipassILj256ELj16ELj8Ell21rocsparse_complex_numIdEEEv20rocsparse_direction_T3_S4_PKS4_S6_NS_24const_host_device_scalarIT4_EEPKT2_S6_PKS8_SC_S6_SE_S9_SC_S6_SE_SC_PS4_PS8_PSA_21rocsparse_index_base_SI_SI_SI_bbb.kd
    .uniform_work_group_size: 1
    .uses_dynamic_stack: false
    .vgpr_count:     78
    .vgpr_spill_count: 0
    .wavefront_size: 64
  - .agpr_count:     0
    .args:
      - .offset:         0
        .size:           4
        .value_kind:     by_value
      - .offset:         8
        .size:           8
        .value_kind:     by_value
      - .offset:         16
        .size:           8
        .value_kind:     by_value
      - .actual_access:  read_only
        .address_space:  global
        .offset:         24
        .size:           8
        .value_kind:     global_buffer
      - .actual_access:  read_only
        .address_space:  global
        .offset:         32
        .size:           8
        .value_kind:     global_buffer
      - .offset:         40
        .size:           16
        .value_kind:     by_value
      - .actual_access:  read_only
        .address_space:  global
        .offset:         56
        .size:           8
        .value_kind:     global_buffer
      - .actual_access:  read_only
        .address_space:  global
        .offset:         64
        .size:           8
        .value_kind:     global_buffer
      - .actual_access:  read_only
        .address_space:  global
        .offset:         72
        .size:           8
        .value_kind:     global_buffer
      - .actual_access:  read_only
        .address_space:  global
        .offset:         80
        .size:           8
        .value_kind:     global_buffer
      - .actual_access:  read_only
        .address_space:  global
        .offset:         88
        .size:           8
        .value_kind:     global_buffer
      - .actual_access:  read_only
        .address_space:  global
        .offset:         96
        .size:           8
        .value_kind:     global_buffer
      - .offset:         104
        .size:           16
        .value_kind:     by_value
      - .actual_access:  read_only
        .address_space:  global
        .offset:         120
        .size:           8
        .value_kind:     global_buffer
      - .actual_access:  read_only
        .address_space:  global
        .offset:         128
        .size:           8
        .value_kind:     global_buffer
      - .actual_access:  read_only
        .address_space:  global
        .offset:         136
        .size:           8
        .value_kind:     global_buffer
      - .actual_access:  read_only
        .address_space:  global
        .offset:         144
        .size:           8
        .value_kind:     global_buffer
      - .actual_access:  write_only
        .address_space:  global
        .offset:         152
        .size:           8
        .value_kind:     global_buffer
      - .actual_access:  write_only
        .address_space:  global
        .offset:         160
        .size:           8
        .value_kind:     global_buffer
      - .address_space:  global
        .offset:         168
        .size:           8
        .value_kind:     global_buffer
      - .offset:         176
        .size:           4
        .value_kind:     by_value
      - .offset:         180
        .size:           4
        .value_kind:     by_value
      - .offset:         184
        .size:           4
        .value_kind:     by_value
      - .offset:         188
        .size:           4
        .value_kind:     by_value
      - .offset:         192
        .size:           1
        .value_kind:     by_value
      - .offset:         193
        .size:           1
        .value_kind:     by_value
      - .offset:         194
        .size:           1
        .value_kind:     by_value
    .group_segment_fixed_size: 41096
    .kernarg_segment_align: 8
    .kernarg_segment_size: 196
    .language:       OpenCL C
    .language_version:
      - 2
      - 0
    .max_flat_workgroup_size: 256
    .name:           _ZN9rocsparseL38bsrgemm_block_per_row_atomic_multipassILj256ELj32ELj8Ell21rocsparse_complex_numIdEEEv20rocsparse_direction_T3_S4_PKS4_S6_NS_24const_host_device_scalarIT4_EEPKT2_S6_PKS8_SC_S6_SE_S9_SC_S6_SE_SC_PS4_PS8_PSA_21rocsparse_index_base_SI_SI_SI_bbb
    .private_segment_fixed_size: 0
    .sgpr_count:     98
    .sgpr_spill_count: 0
    .symbol:         _ZN9rocsparseL38bsrgemm_block_per_row_atomic_multipassILj256ELj32ELj8Ell21rocsparse_complex_numIdEEEv20rocsparse_direction_T3_S4_PKS4_S6_NS_24const_host_device_scalarIT4_EEPKT2_S6_PKS8_SC_S6_SE_S9_SC_S6_SE_SC_PS4_PS8_PSA_21rocsparse_index_base_SI_SI_SI_bbb.kd
    .uniform_work_group_size: 1
    .uses_dynamic_stack: false
    .vgpr_count:     82
    .vgpr_spill_count: 0
    .wavefront_size: 64
  - .agpr_count:     0
    .args:
      - .offset:         0
        .size:           4
        .value_kind:     by_value
      - .offset:         8
        .size:           8
        .value_kind:     by_value
      - .offset:         16
        .size:           8
        .value_kind:     by_value
      - .actual_access:  read_only
        .address_space:  global
        .offset:         24
        .size:           8
        .value_kind:     global_buffer
      - .actual_access:  read_only
        .address_space:  global
        .offset:         32
        .size:           8
        .value_kind:     global_buffer
      - .offset:         40
        .size:           16
        .value_kind:     by_value
      - .actual_access:  read_only
        .address_space:  global
        .offset:         56
        .size:           8
        .value_kind:     global_buffer
      - .actual_access:  read_only
        .address_space:  global
        .offset:         64
        .size:           8
        .value_kind:     global_buffer
      - .actual_access:  read_only
        .address_space:  global
        .offset:         72
        .size:           8
        .value_kind:     global_buffer
      - .actual_access:  read_only
        .address_space:  global
        .offset:         80
        .size:           8
        .value_kind:     global_buffer
      - .actual_access:  read_only
        .address_space:  global
        .offset:         88
        .size:           8
        .value_kind:     global_buffer
      - .actual_access:  read_only
        .address_space:  global
        .offset:         96
        .size:           8
        .value_kind:     global_buffer
      - .offset:         104
        .size:           16
        .value_kind:     by_value
      - .actual_access:  read_only
        .address_space:  global
        .offset:         120
        .size:           8
        .value_kind:     global_buffer
      - .actual_access:  read_only
        .address_space:  global
        .offset:         128
        .size:           8
        .value_kind:     global_buffer
      - .actual_access:  read_only
        .address_space:  global
        .offset:         136
        .size:           8
        .value_kind:     global_buffer
      - .actual_access:  read_only
        .address_space:  global
        .offset:         144
        .size:           8
        .value_kind:     global_buffer
      - .actual_access:  write_only
        .address_space:  global
        .offset:         152
        .size:           8
        .value_kind:     global_buffer
      - .actual_access:  write_only
        .address_space:  global
        .offset:         160
        .size:           8
        .value_kind:     global_buffer
      - .address_space:  global
        .offset:         168
        .size:           8
        .value_kind:     global_buffer
      - .offset:         176
        .size:           4
        .value_kind:     by_value
      - .offset:         180
        .size:           4
        .value_kind:     by_value
      - .offset:         184
        .size:           4
        .value_kind:     by_value
      - .offset:         188
        .size:           4
        .value_kind:     by_value
      - .offset:         192
        .size:           1
        .value_kind:     by_value
      - .offset:         193
        .size:           1
        .value_kind:     by_value
      - .offset:         194
        .size:           1
        .value_kind:     by_value
    .group_segment_fixed_size: 36872
    .kernarg_segment_align: 8
    .kernarg_segment_size: 196
    .language:       OpenCL C
    .language_version:
      - 2
      - 0
    .max_flat_workgroup_size: 256
    .name:           _ZN9rocsparseL31bsrgemm_block_per_row_multipassILj256ELj8ELj16Ell21rocsparse_complex_numIdEEEv20rocsparse_direction_T3_S4_PKS4_S6_NS_24const_host_device_scalarIT4_EEPKT2_S6_PKS8_SC_S6_SE_S9_SC_S6_SE_SC_PS4_PS8_PSA_21rocsparse_index_base_SI_SI_SI_bbb
    .private_segment_fixed_size: 0
    .sgpr_count:     85
    .sgpr_spill_count: 0
    .symbol:         _ZN9rocsparseL31bsrgemm_block_per_row_multipassILj256ELj8ELj16Ell21rocsparse_complex_numIdEEEv20rocsparse_direction_T3_S4_PKS4_S6_NS_24const_host_device_scalarIT4_EEPKT2_S6_PKS8_SC_S6_SE_S9_SC_S6_SE_SC_PS4_PS8_PSA_21rocsparse_index_base_SI_SI_SI_bbb.kd
    .uniform_work_group_size: 1
    .uses_dynamic_stack: false
    .vgpr_count:     74
    .vgpr_spill_count: 0
    .wavefront_size: 64
  - .agpr_count:     0
    .args:
      - .offset:         0
        .size:           4
        .value_kind:     by_value
      - .offset:         8
        .size:           8
        .value_kind:     by_value
      - .offset:         16
        .size:           8
        .value_kind:     by_value
      - .actual_access:  read_only
        .address_space:  global
        .offset:         24
        .size:           8
        .value_kind:     global_buffer
      - .actual_access:  read_only
        .address_space:  global
        .offset:         32
        .size:           8
        .value_kind:     global_buffer
      - .offset:         40
        .size:           16
        .value_kind:     by_value
      - .actual_access:  read_only
        .address_space:  global
        .offset:         56
        .size:           8
        .value_kind:     global_buffer
      - .actual_access:  read_only
        .address_space:  global
        .offset:         64
        .size:           8
        .value_kind:     global_buffer
      - .actual_access:  read_only
        .address_space:  global
        .offset:         72
        .size:           8
        .value_kind:     global_buffer
      - .actual_access:  read_only
        .address_space:  global
        .offset:         80
        .size:           8
        .value_kind:     global_buffer
      - .actual_access:  read_only
        .address_space:  global
        .offset:         88
        .size:           8
        .value_kind:     global_buffer
      - .actual_access:  read_only
        .address_space:  global
        .offset:         96
        .size:           8
        .value_kind:     global_buffer
      - .offset:         104
        .size:           16
        .value_kind:     by_value
      - .actual_access:  read_only
        .address_space:  global
        .offset:         120
        .size:           8
        .value_kind:     global_buffer
      - .actual_access:  read_only
        .address_space:  global
        .offset:         128
        .size:           8
        .value_kind:     global_buffer
      - .actual_access:  read_only
        .address_space:  global
        .offset:         136
        .size:           8
        .value_kind:     global_buffer
      - .actual_access:  read_only
        .address_space:  global
        .offset:         144
        .size:           8
        .value_kind:     global_buffer
      - .actual_access:  write_only
        .address_space:  global
        .offset:         152
        .size:           8
        .value_kind:     global_buffer
      - .actual_access:  write_only
        .address_space:  global
        .offset:         160
        .size:           8
        .value_kind:     global_buffer
      - .address_space:  global
        .offset:         168
        .size:           8
        .value_kind:     global_buffer
      - .offset:         176
        .size:           4
        .value_kind:     by_value
      - .offset:         180
        .size:           4
        .value_kind:     by_value
      - .offset:         184
        .size:           4
        .value_kind:     by_value
      - .offset:         188
        .size:           4
        .value_kind:     by_value
      - .offset:         192
        .size:           1
        .value_kind:     by_value
      - .offset:         193
        .size:           1
        .value_kind:     by_value
      - .offset:         194
        .size:           1
        .value_kind:     by_value
    .group_segment_fixed_size: 36872
    .kernarg_segment_align: 8
    .kernarg_segment_size: 196
    .language:       OpenCL C
    .language_version:
      - 2
      - 0
    .max_flat_workgroup_size: 256
    .name:           _ZN9rocsparseL31bsrgemm_block_per_row_multipassILj256ELj2ELj32Ell21rocsparse_complex_numIdEEEv20rocsparse_direction_T3_S4_PKS4_S6_NS_24const_host_device_scalarIT4_EEPKT2_S6_PKS8_SC_S6_SE_S9_SC_S6_SE_SC_PS4_PS8_PSA_21rocsparse_index_base_SI_SI_SI_bbb
    .private_segment_fixed_size: 0
    .sgpr_count:     98
    .sgpr_spill_count: 0
    .symbol:         _ZN9rocsparseL31bsrgemm_block_per_row_multipassILj256ELj2ELj32Ell21rocsparse_complex_numIdEEEv20rocsparse_direction_T3_S4_PKS4_S6_NS_24const_host_device_scalarIT4_EEPKT2_S6_PKS8_SC_S6_SE_S9_SC_S6_SE_SC_PS4_PS8_PSA_21rocsparse_index_base_SI_SI_SI_bbb.kd
    .uniform_work_group_size: 1
    .uses_dynamic_stack: false
    .vgpr_count:     102
    .vgpr_spill_count: 0
    .wavefront_size: 64
  - .agpr_count:     0
    .args:
      - .offset:         0
        .size:           4
        .value_kind:     by_value
      - .actual_access:  read_only
        .address_space:  global
        .offset:         8
        .size:           8
        .value_kind:     global_buffer
      - .actual_access:  write_only
        .address_space:  global
        .offset:         16
        .size:           8
        .value_kind:     global_buffer
      - .offset:         24
        .size:           4
        .value_kind:     hidden_block_count_x
      - .offset:         28
        .size:           4
        .value_kind:     hidden_block_count_y
      - .offset:         32
        .size:           4
        .value_kind:     hidden_block_count_z
      - .offset:         36
        .size:           2
        .value_kind:     hidden_group_size_x
      - .offset:         38
        .size:           2
        .value_kind:     hidden_group_size_y
      - .offset:         40
        .size:           2
        .value_kind:     hidden_group_size_z
      - .offset:         42
        .size:           2
        .value_kind:     hidden_remainder_x
      - .offset:         44
        .size:           2
        .value_kind:     hidden_remainder_y
      - .offset:         46
        .size:           2
        .value_kind:     hidden_remainder_z
      - .offset:         64
        .size:           8
        .value_kind:     hidden_global_offset_x
      - .offset:         72
        .size:           8
        .value_kind:     hidden_global_offset_y
      - .offset:         80
        .size:           8
        .value_kind:     hidden_global_offset_z
      - .offset:         88
        .size:           2
        .value_kind:     hidden_grid_dims
    .group_segment_fixed_size: 1024
    .kernarg_segment_align: 8
    .kernarg_segment_size: 280
    .language:       OpenCL C
    .language_version:
      - 2
      - 0
    .max_flat_workgroup_size: 256
    .name:           _ZN9rocsparseL25csrgemm_max_row_nnz_part1ILj256EliEEvT1_PKT0_PS1_
    .private_segment_fixed_size: 0
    .sgpr_count:     15
    .sgpr_spill_count: 0
    .symbol:         _ZN9rocsparseL25csrgemm_max_row_nnz_part1ILj256EliEEvT1_PKT0_PS1_.kd
    .uniform_work_group_size: 1
    .uses_dynamic_stack: false
    .vgpr_count:     10
    .vgpr_spill_count: 0
    .wavefront_size: 64
  - .agpr_count:     0
    .args:
      - .offset:         0
        .size:           4
        .value_kind:     by_value
      - .actual_access:  read_only
        .address_space:  global
        .offset:         8
        .size:           8
        .value_kind:     global_buffer
      - .actual_access:  write_only
        .address_space:  global
        .offset:         16
        .size:           8
        .value_kind:     global_buffer
      - .actual_access:  write_only
        .address_space:  global
        .offset:         24
        .size:           8
        .value_kind:     global_buffer
      - .offset:         32
        .size:           4
        .value_kind:     hidden_block_count_x
      - .offset:         36
        .size:           4
        .value_kind:     hidden_block_count_y
      - .offset:         40
        .size:           4
        .value_kind:     hidden_block_count_z
      - .offset:         44
        .size:           2
        .value_kind:     hidden_group_size_x
      - .offset:         46
        .size:           2
        .value_kind:     hidden_group_size_y
      - .offset:         48
        .size:           2
        .value_kind:     hidden_group_size_z
      - .offset:         50
        .size:           2
        .value_kind:     hidden_remainder_x
      - .offset:         52
        .size:           2
        .value_kind:     hidden_remainder_y
      - .offset:         54
        .size:           2
        .value_kind:     hidden_remainder_z
      - .offset:         72
        .size:           8
        .value_kind:     hidden_global_offset_x
      - .offset:         80
        .size:           8
        .value_kind:     hidden_global_offset_y
      - .offset:         88
        .size:           8
        .value_kind:     hidden_global_offset_z
      - .offset:         96
        .size:           2
        .value_kind:     hidden_grid_dims
    .group_segment_fixed_size: 8192
    .kernarg_segment_align: 8
    .kernarg_segment_size: 288
    .language:       OpenCL C
    .language_version:
      - 2
      - 0
    .max_flat_workgroup_size: 256
    .name:           _ZN9rocsparseL26bsrgemm_group_reduce_part2ILj256ELj8ELj2EfliEEvT4_PKT3_PS1_Pi
    .private_segment_fixed_size: 0
    .sgpr_count:     38
    .sgpr_spill_count: 0
    .symbol:         _ZN9rocsparseL26bsrgemm_group_reduce_part2ILj256ELj8ELj2EfliEEvT4_PKT3_PS1_Pi.kd
    .uniform_work_group_size: 1
    .uses_dynamic_stack: false
    .vgpr_count:     20
    .vgpr_spill_count: 0
    .wavefront_size: 64
  - .agpr_count:     0
    .args:
      - .offset:         0
        .size:           4
        .value_kind:     by_value
      - .actual_access:  read_only
        .address_space:  global
        .offset:         8
        .size:           8
        .value_kind:     global_buffer
      - .actual_access:  write_only
        .address_space:  global
        .offset:         16
        .size:           8
        .value_kind:     global_buffer
      - .actual_access:  write_only
        .address_space:  global
        .offset:         24
        .size:           8
        .value_kind:     global_buffer
      - .offset:         32
        .size:           4
        .value_kind:     hidden_block_count_x
      - .offset:         36
        .size:           4
        .value_kind:     hidden_block_count_y
      - .offset:         40
        .size:           4
        .value_kind:     hidden_block_count_z
      - .offset:         44
        .size:           2
        .value_kind:     hidden_group_size_x
      - .offset:         46
        .size:           2
        .value_kind:     hidden_group_size_y
      - .offset:         48
        .size:           2
        .value_kind:     hidden_group_size_z
      - .offset:         50
        .size:           2
        .value_kind:     hidden_remainder_x
      - .offset:         52
        .size:           2
        .value_kind:     hidden_remainder_y
      - .offset:         54
        .size:           2
        .value_kind:     hidden_remainder_z
      - .offset:         72
        .size:           8
        .value_kind:     hidden_global_offset_x
      - .offset:         80
        .size:           8
        .value_kind:     hidden_global_offset_y
      - .offset:         88
        .size:           8
        .value_kind:     hidden_global_offset_z
      - .offset:         96
        .size:           2
        .value_kind:     hidden_grid_dims
    .group_segment_fixed_size: 8192
    .kernarg_segment_align: 8
    .kernarg_segment_size: 288
    .language:       OpenCL C
    .language_version:
      - 2
      - 0
    .max_flat_workgroup_size: 256
    .name:           _ZN9rocsparseL26bsrgemm_group_reduce_part2ILj256ELj8ELj8EfliEEvT4_PKT3_PS1_Pi
    .private_segment_fixed_size: 0
    .sgpr_count:     38
    .sgpr_spill_count: 0
    .symbol:         _ZN9rocsparseL26bsrgemm_group_reduce_part2ILj256ELj8ELj8EfliEEvT4_PKT3_PS1_Pi.kd
    .uniform_work_group_size: 1
    .uses_dynamic_stack: false
    .vgpr_count:     20
    .vgpr_spill_count: 0
    .wavefront_size: 64
  - .agpr_count:     0
    .args:
      - .offset:         0
        .size:           4
        .value_kind:     by_value
      - .offset:         4
        .size:           4
        .value_kind:     by_value
      - .offset:         8
        .size:           4
        .value_kind:     by_value
      - .actual_access:  read_only
        .address_space:  global
        .offset:         16
        .size:           8
        .value_kind:     global_buffer
      - .actual_access:  read_only
        .address_space:  global
        .offset:         24
        .size:           8
        .value_kind:     global_buffer
      - .offset:         32
        .size:           8
        .value_kind:     by_value
      - .actual_access:  read_only
        .address_space:  global
        .offset:         40
        .size:           8
        .value_kind:     global_buffer
      - .actual_access:  read_only
        .address_space:  global
        .offset:         48
        .size:           8
        .value_kind:     global_buffer
      - .actual_access:  read_only
        .address_space:  global
        .offset:         56
        .size:           8
        .value_kind:     global_buffer
      - .actual_access:  read_only
        .address_space:  global
        .offset:         64
        .size:           8
        .value_kind:     global_buffer
      - .actual_access:  read_only
        .address_space:  global
        .offset:         72
        .size:           8
        .value_kind:     global_buffer
      - .actual_access:  read_only
        .address_space:  global
        .offset:         80
        .size:           8
        .value_kind:     global_buffer
      - .offset:         88
        .size:           8
        .value_kind:     by_value
      - .actual_access:  read_only
        .address_space:  global
        .offset:         96
        .size:           8
        .value_kind:     global_buffer
      - .actual_access:  read_only
        .address_space:  global
        .offset:         104
        .size:           8
        .value_kind:     global_buffer
      - .actual_access:  read_only
        .address_space:  global
        .offset:         112
        .size:           8
        .value_kind:     global_buffer
      - .actual_access:  read_only
        .address_space:  global
        .offset:         120
        .size:           8
        .value_kind:     global_buffer
      - .actual_access:  write_only
        .address_space:  global
        .offset:         128
        .size:           8
        .value_kind:     global_buffer
      - .actual_access:  write_only
        .address_space:  global
        .offset:         136
        .size:           8
        .value_kind:     global_buffer
      - .offset:         144
        .size:           4
        .value_kind:     by_value
      - .offset:         148
        .size:           4
        .value_kind:     by_value
      - .offset:         152
        .size:           4
        .value_kind:     by_value
      - .offset:         156
        .size:           4
        .value_kind:     by_value
      - .offset:         160
        .size:           1
        .value_kind:     by_value
      - .offset:         161
        .size:           1
        .value_kind:     by_value
      - .offset:         162
        .size:           1
        .value_kind:     by_value
    .group_segment_fixed_size: 2560
    .kernarg_segment_align: 8
    .kernarg_segment_size: 164
    .language:       OpenCL C
    .language_version:
      - 2
      - 0
    .max_flat_workgroup_size: 256
    .name:           _ZN9rocsparseL27bsrgemm_fill_wf_per_row_2x2ILj256ELj16ELj8ELj137ElifEEv20rocsparse_direction_T4_S2_PKS2_S4_NS_24const_host_device_scalarIT5_EEPKT3_S4_PKS6_SA_S4_SC_S7_SA_S4_SC_SA_PS2_PS6_21rocsparse_index_base_SF_SF_SF_bbb
    .private_segment_fixed_size: 0
    .sgpr_count:     51
    .sgpr_spill_count: 0
    .symbol:         _ZN9rocsparseL27bsrgemm_fill_wf_per_row_2x2ILj256ELj16ELj8ELj137ElifEEv20rocsparse_direction_T4_S2_PKS2_S4_NS_24const_host_device_scalarIT5_EEPKT3_S4_PKS6_SA_S4_SC_S7_SA_S4_SC_SA_PS2_PS6_21rocsparse_index_base_SF_SF_SF_bbb.kd
    .uniform_work_group_size: 1
    .uses_dynamic_stack: false
    .vgpr_count:     34
    .vgpr_spill_count: 0
    .wavefront_size: 64
  - .agpr_count:     0
    .args:
      - .offset:         0
        .size:           4
        .value_kind:     by_value
      - .offset:         4
        .size:           4
        .value_kind:     by_value
      - .offset:         8
        .size:           4
        .value_kind:     by_value
      - .actual_access:  read_only
        .address_space:  global
        .offset:         16
        .size:           8
        .value_kind:     global_buffer
      - .actual_access:  read_only
        .address_space:  global
        .offset:         24
        .size:           8
        .value_kind:     global_buffer
      - .offset:         32
        .size:           8
        .value_kind:     by_value
      - .actual_access:  read_only
        .address_space:  global
        .offset:         40
        .size:           8
        .value_kind:     global_buffer
      - .actual_access:  read_only
        .address_space:  global
        .offset:         48
        .size:           8
        .value_kind:     global_buffer
      - .actual_access:  read_only
        .address_space:  global
        .offset:         56
        .size:           8
        .value_kind:     global_buffer
      - .actual_access:  read_only
        .address_space:  global
        .offset:         64
        .size:           8
        .value_kind:     global_buffer
      - .actual_access:  read_only
        .address_space:  global
        .offset:         72
        .size:           8
        .value_kind:     global_buffer
      - .actual_access:  read_only
        .address_space:  global
        .offset:         80
        .size:           8
        .value_kind:     global_buffer
      - .offset:         88
        .size:           8
        .value_kind:     by_value
      - .actual_access:  read_only
        .address_space:  global
        .offset:         96
        .size:           8
        .value_kind:     global_buffer
      - .actual_access:  read_only
        .address_space:  global
        .offset:         104
        .size:           8
        .value_kind:     global_buffer
      - .actual_access:  read_only
        .address_space:  global
        .offset:         112
        .size:           8
        .value_kind:     global_buffer
      - .actual_access:  read_only
        .address_space:  global
        .offset:         120
        .size:           8
        .value_kind:     global_buffer
      - .actual_access:  write_only
        .address_space:  global
        .offset:         128
        .size:           8
        .value_kind:     global_buffer
      - .actual_access:  write_only
        .address_space:  global
        .offset:         136
        .size:           8
        .value_kind:     global_buffer
      - .offset:         144
        .size:           4
        .value_kind:     by_value
      - .offset:         148
        .size:           4
        .value_kind:     by_value
      - .offset:         152
        .size:           4
        .value_kind:     by_value
      - .offset:         156
        .size:           4
        .value_kind:     by_value
      - .offset:         160
        .size:           1
        .value_kind:     by_value
      - .offset:         161
        .size:           1
        .value_kind:     by_value
      - .offset:         162
        .size:           1
        .value_kind:     by_value
    .group_segment_fixed_size: 5120
    .kernarg_segment_align: 8
    .kernarg_segment_size: 164
    .language:       OpenCL C
    .language_version:
      - 2
      - 0
    .max_flat_workgroup_size: 256
    .name:           _ZN9rocsparseL27bsrgemm_fill_wf_per_row_2x2ILj256ELj16ELj16ELj137ElifEEv20rocsparse_direction_T4_S2_PKS2_S4_NS_24const_host_device_scalarIT5_EEPKT3_S4_PKS6_SA_S4_SC_S7_SA_S4_SC_SA_PS2_PS6_21rocsparse_index_base_SF_SF_SF_bbb
    .private_segment_fixed_size: 0
    .sgpr_count:     49
    .sgpr_spill_count: 0
    .symbol:         _ZN9rocsparseL27bsrgemm_fill_wf_per_row_2x2ILj256ELj16ELj16ELj137ElifEEv20rocsparse_direction_T4_S2_PKS2_S4_NS_24const_host_device_scalarIT5_EEPKT3_S4_PKS6_SA_S4_SC_S7_SA_S4_SC_SA_PS2_PS6_21rocsparse_index_base_SF_SF_SF_bbb.kd
    .uniform_work_group_size: 1
    .uses_dynamic_stack: false
    .vgpr_count:     36
    .vgpr_spill_count: 0
    .wavefront_size: 64
  - .agpr_count:     0
    .args:
      - .offset:         0
        .size:           4
        .value_kind:     by_value
      - .offset:         4
        .size:           4
        .value_kind:     by_value
      - .offset:         8
        .size:           4
        .value_kind:     by_value
      - .actual_access:  read_only
        .address_space:  global
        .offset:         16
        .size:           8
        .value_kind:     global_buffer
      - .actual_access:  read_only
        .address_space:  global
        .offset:         24
        .size:           8
        .value_kind:     global_buffer
      - .offset:         32
        .size:           8
        .value_kind:     by_value
      - .actual_access:  read_only
        .address_space:  global
        .offset:         40
        .size:           8
        .value_kind:     global_buffer
      - .actual_access:  read_only
        .address_space:  global
        .offset:         48
        .size:           8
        .value_kind:     global_buffer
      - .actual_access:  read_only
        .address_space:  global
        .offset:         56
        .size:           8
        .value_kind:     global_buffer
      - .actual_access:  read_only
        .address_space:  global
        .offset:         64
        .size:           8
        .value_kind:     global_buffer
      - .actual_access:  read_only
        .address_space:  global
        .offset:         72
        .size:           8
        .value_kind:     global_buffer
      - .actual_access:  read_only
        .address_space:  global
        .offset:         80
        .size:           8
        .value_kind:     global_buffer
      - .offset:         88
        .size:           8
        .value_kind:     by_value
      - .actual_access:  read_only
        .address_space:  global
        .offset:         96
        .size:           8
        .value_kind:     global_buffer
      - .actual_access:  read_only
        .address_space:  global
        .offset:         104
        .size:           8
        .value_kind:     global_buffer
      - .actual_access:  read_only
        .address_space:  global
        .offset:         112
        .size:           8
        .value_kind:     global_buffer
      - .actual_access:  read_only
        .address_space:  global
        .offset:         120
        .size:           8
        .value_kind:     global_buffer
      - .actual_access:  write_only
        .address_space:  global
        .offset:         128
        .size:           8
        .value_kind:     global_buffer
      - .actual_access:  write_only
        .address_space:  global
        .offset:         136
        .size:           8
        .value_kind:     global_buffer
      - .offset:         144
        .size:           4
        .value_kind:     by_value
      - .offset:         148
        .size:           4
        .value_kind:     by_value
      - .offset:         152
        .size:           4
        .value_kind:     by_value
      - .offset:         156
        .size:           4
        .value_kind:     by_value
      - .offset:         160
        .size:           1
        .value_kind:     by_value
      - .offset:         161
        .size:           1
        .value_kind:     by_value
      - .offset:         162
        .size:           1
        .value_kind:     by_value
    .group_segment_fixed_size: 10240
    .kernarg_segment_align: 8
    .kernarg_segment_size: 164
    .language:       OpenCL C
    .language_version:
      - 2
      - 0
    .max_flat_workgroup_size: 256
    .name:           _ZN9rocsparseL27bsrgemm_fill_wf_per_row_2x2ILj256ELj16ELj32ELj137ElifEEv20rocsparse_direction_T4_S2_PKS2_S4_NS_24const_host_device_scalarIT5_EEPKT3_S4_PKS6_SA_S4_SC_S7_SA_S4_SC_SA_PS2_PS6_21rocsparse_index_base_SF_SF_SF_bbb
    .private_segment_fixed_size: 0
    .sgpr_count:     51
    .sgpr_spill_count: 0
    .symbol:         _ZN9rocsparseL27bsrgemm_fill_wf_per_row_2x2ILj256ELj16ELj32ELj137ElifEEv20rocsparse_direction_T4_S2_PKS2_S4_NS_24const_host_device_scalarIT5_EEPKT3_S4_PKS6_SA_S4_SC_S7_SA_S4_SC_SA_PS2_PS6_21rocsparse_index_base_SF_SF_SF_bbb.kd
    .uniform_work_group_size: 1
    .uses_dynamic_stack: false
    .vgpr_count:     36
    .vgpr_spill_count: 0
    .wavefront_size: 64
  - .agpr_count:     0
    .args:
      - .offset:         0
        .size:           4
        .value_kind:     by_value
      - .offset:         4
        .size:           4
        .value_kind:     by_value
      - .offset:         8
        .size:           4
        .value_kind:     by_value
      - .actual_access:  read_only
        .address_space:  global
        .offset:         16
        .size:           8
        .value_kind:     global_buffer
      - .actual_access:  read_only
        .address_space:  global
        .offset:         24
        .size:           8
        .value_kind:     global_buffer
      - .offset:         32
        .size:           8
        .value_kind:     by_value
      - .actual_access:  read_only
        .address_space:  global
        .offset:         40
        .size:           8
        .value_kind:     global_buffer
      - .actual_access:  read_only
        .address_space:  global
        .offset:         48
        .size:           8
        .value_kind:     global_buffer
      - .actual_access:  read_only
        .address_space:  global
        .offset:         56
        .size:           8
        .value_kind:     global_buffer
      - .actual_access:  read_only
        .address_space:  global
        .offset:         64
        .size:           8
        .value_kind:     global_buffer
      - .actual_access:  read_only
        .address_space:  global
        .offset:         72
        .size:           8
        .value_kind:     global_buffer
      - .actual_access:  read_only
        .address_space:  global
        .offset:         80
        .size:           8
        .value_kind:     global_buffer
      - .offset:         88
        .size:           8
        .value_kind:     by_value
      - .actual_access:  read_only
        .address_space:  global
        .offset:         96
        .size:           8
        .value_kind:     global_buffer
      - .actual_access:  read_only
        .address_space:  global
        .offset:         104
        .size:           8
        .value_kind:     global_buffer
      - .actual_access:  read_only
        .address_space:  global
        .offset:         112
        .size:           8
        .value_kind:     global_buffer
      - .actual_access:  read_only
        .address_space:  global
        .offset:         120
        .size:           8
        .value_kind:     global_buffer
      - .actual_access:  write_only
        .address_space:  global
        .offset:         128
        .size:           8
        .value_kind:     global_buffer
      - .actual_access:  write_only
        .address_space:  global
        .offset:         136
        .size:           8
        .value_kind:     global_buffer
      - .offset:         144
        .size:           4
        .value_kind:     by_value
      - .offset:         148
        .size:           4
        .value_kind:     by_value
      - .offset:         152
        .size:           4
        .value_kind:     by_value
      - .offset:         156
        .size:           4
        .value_kind:     by_value
      - .offset:         160
        .size:           1
        .value_kind:     by_value
      - .offset:         161
        .size:           1
        .value_kind:     by_value
      - .offset:         162
        .size:           1
        .value_kind:     by_value
    .group_segment_fixed_size: 0
    .kernarg_segment_align: 8
    .kernarg_segment_size: 164
    .language:       OpenCL C
    .language_version:
      - 2
      - 0
    .max_flat_workgroup_size: 256
    .name:           _ZN9rocsparseL30bsrgemm_fill_block_per_row_2x2ILj256ELj16ELj64ELj137ElifEEv20rocsparse_direction_T4_S2_PKS2_S4_NS_24const_host_device_scalarIT5_EEPKT3_S4_PKS6_SA_S4_SC_S7_SA_S4_SC_SA_PS2_PS6_21rocsparse_index_base_SF_SF_SF_bbb
    .private_segment_fixed_size: 0
    .sgpr_count:     54
    .sgpr_spill_count: 0
    .symbol:         _ZN9rocsparseL30bsrgemm_fill_block_per_row_2x2ILj256ELj16ELj64ELj137ElifEEv20rocsparse_direction_T4_S2_PKS2_S4_NS_24const_host_device_scalarIT5_EEPKT3_S4_PKS6_SA_S4_SC_S7_SA_S4_SC_SA_PS2_PS6_21rocsparse_index_base_SF_SF_SF_bbb.kd
    .uniform_work_group_size: 1
    .uses_dynamic_stack: false
    .vgpr_count:     30
    .vgpr_spill_count: 0
    .wavefront_size: 64
  - .agpr_count:     0
    .args:
      - .offset:         0
        .size:           4
        .value_kind:     by_value
      - .offset:         4
        .size:           4
        .value_kind:     by_value
      - .offset:         8
        .size:           4
        .value_kind:     by_value
      - .actual_access:  read_only
        .address_space:  global
        .offset:         16
        .size:           8
        .value_kind:     global_buffer
      - .actual_access:  read_only
        .address_space:  global
        .offset:         24
        .size:           8
        .value_kind:     global_buffer
      - .offset:         32
        .size:           8
        .value_kind:     by_value
      - .actual_access:  read_only
        .address_space:  global
        .offset:         40
        .size:           8
        .value_kind:     global_buffer
      - .actual_access:  read_only
        .address_space:  global
        .offset:         48
        .size:           8
        .value_kind:     global_buffer
      - .actual_access:  read_only
        .address_space:  global
        .offset:         56
        .size:           8
        .value_kind:     global_buffer
      - .actual_access:  read_only
        .address_space:  global
        .offset:         64
        .size:           8
        .value_kind:     global_buffer
      - .actual_access:  read_only
        .address_space:  global
        .offset:         72
        .size:           8
        .value_kind:     global_buffer
      - .actual_access:  read_only
        .address_space:  global
        .offset:         80
        .size:           8
        .value_kind:     global_buffer
      - .offset:         88
        .size:           8
        .value_kind:     by_value
      - .actual_access:  read_only
        .address_space:  global
        .offset:         96
        .size:           8
        .value_kind:     global_buffer
      - .actual_access:  read_only
        .address_space:  global
        .offset:         104
        .size:           8
        .value_kind:     global_buffer
      - .actual_access:  read_only
        .address_space:  global
        .offset:         112
        .size:           8
        .value_kind:     global_buffer
      - .actual_access:  read_only
        .address_space:  global
        .offset:         120
        .size:           8
        .value_kind:     global_buffer
      - .actual_access:  write_only
        .address_space:  global
        .offset:         128
        .size:           8
        .value_kind:     global_buffer
      - .actual_access:  write_only
        .address_space:  global
        .offset:         136
        .size:           8
        .value_kind:     global_buffer
      - .offset:         144
        .size:           4
        .value_kind:     by_value
      - .offset:         148
        .size:           4
        .value_kind:     by_value
      - .offset:         152
        .size:           4
        .value_kind:     by_value
      - .offset:         156
        .size:           4
        .value_kind:     by_value
      - .offset:         160
        .size:           1
        .value_kind:     by_value
      - .offset:         161
        .size:           1
        .value_kind:     by_value
      - .offset:         162
        .size:           1
        .value_kind:     by_value
    .group_segment_fixed_size: 0
    .kernarg_segment_align: 8
    .kernarg_segment_size: 164
    .language:       OpenCL C
    .language_version:
      - 2
      - 0
    .max_flat_workgroup_size: 256
    .name:           _ZN9rocsparseL30bsrgemm_fill_block_per_row_2x2ILj256ELj16ELj128ELj137ElifEEv20rocsparse_direction_T4_S2_PKS2_S4_NS_24const_host_device_scalarIT5_EEPKT3_S4_PKS6_SA_S4_SC_S7_SA_S4_SC_SA_PS2_PS6_21rocsparse_index_base_SF_SF_SF_bbb
    .private_segment_fixed_size: 0
    .sgpr_count:     64
    .sgpr_spill_count: 0
    .symbol:         _ZN9rocsparseL30bsrgemm_fill_block_per_row_2x2ILj256ELj16ELj128ELj137ElifEEv20rocsparse_direction_T4_S2_PKS2_S4_NS_24const_host_device_scalarIT5_EEPKT3_S4_PKS6_SA_S4_SC_S7_SA_S4_SC_SA_PS2_PS6_21rocsparse_index_base_SF_SF_SF_bbb.kd
    .uniform_work_group_size: 1
    .uses_dynamic_stack: false
    .vgpr_count:     30
    .vgpr_spill_count: 0
    .wavefront_size: 64
  - .agpr_count:     0
    .args:
      - .offset:         0
        .size:           4
        .value_kind:     by_value
      - .offset:         4
        .size:           4
        .value_kind:     by_value
      - .offset:         8
        .size:           4
        .value_kind:     by_value
      - .actual_access:  read_only
        .address_space:  global
        .offset:         16
        .size:           8
        .value_kind:     global_buffer
      - .actual_access:  read_only
        .address_space:  global
        .offset:         24
        .size:           8
        .value_kind:     global_buffer
      - .offset:         32
        .size:           8
        .value_kind:     by_value
      - .actual_access:  read_only
        .address_space:  global
        .offset:         40
        .size:           8
        .value_kind:     global_buffer
      - .actual_access:  read_only
        .address_space:  global
        .offset:         48
        .size:           8
        .value_kind:     global_buffer
      - .actual_access:  read_only
        .address_space:  global
        .offset:         56
        .size:           8
        .value_kind:     global_buffer
      - .actual_access:  read_only
        .address_space:  global
        .offset:         64
        .size:           8
        .value_kind:     global_buffer
      - .actual_access:  read_only
        .address_space:  global
        .offset:         72
        .size:           8
        .value_kind:     global_buffer
      - .actual_access:  read_only
        .address_space:  global
        .offset:         80
        .size:           8
        .value_kind:     global_buffer
      - .offset:         88
        .size:           8
        .value_kind:     by_value
      - .actual_access:  read_only
        .address_space:  global
        .offset:         96
        .size:           8
        .value_kind:     global_buffer
      - .actual_access:  read_only
        .address_space:  global
        .offset:         104
        .size:           8
        .value_kind:     global_buffer
      - .actual_access:  read_only
        .address_space:  global
        .offset:         112
        .size:           8
        .value_kind:     global_buffer
      - .actual_access:  read_only
        .address_space:  global
        .offset:         120
        .size:           8
        .value_kind:     global_buffer
      - .actual_access:  write_only
        .address_space:  global
        .offset:         128
        .size:           8
        .value_kind:     global_buffer
      - .actual_access:  write_only
        .address_space:  global
        .offset:         136
        .size:           8
        .value_kind:     global_buffer
      - .offset:         144
        .size:           4
        .value_kind:     by_value
      - .offset:         148
        .size:           4
        .value_kind:     by_value
      - .offset:         152
        .size:           4
        .value_kind:     by_value
      - .offset:         156
        .size:           4
        .value_kind:     by_value
      - .offset:         160
        .size:           1
        .value_kind:     by_value
      - .offset:         161
        .size:           1
        .value_kind:     by_value
      - .offset:         162
        .size:           1
        .value_kind:     by_value
    .group_segment_fixed_size: 0
    .kernarg_segment_align: 8
    .kernarg_segment_size: 164
    .language:       OpenCL C
    .language_version:
      - 2
      - 0
    .max_flat_workgroup_size: 256
    .name:           _ZN9rocsparseL30bsrgemm_fill_block_per_row_2x2ILj256ELj16ELj256ELj137ElifEEv20rocsparse_direction_T4_S2_PKS2_S4_NS_24const_host_device_scalarIT5_EEPKT3_S4_PKS6_SA_S4_SC_S7_SA_S4_SC_SA_PS2_PS6_21rocsparse_index_base_SF_SF_SF_bbb
    .private_segment_fixed_size: 0
    .sgpr_count:     64
    .sgpr_spill_count: 0
    .symbol:         _ZN9rocsparseL30bsrgemm_fill_block_per_row_2x2ILj256ELj16ELj256ELj137ElifEEv20rocsparse_direction_T4_S2_PKS2_S4_NS_24const_host_device_scalarIT5_EEPKT3_S4_PKS6_SA_S4_SC_S7_SA_S4_SC_SA_PS2_PS6_21rocsparse_index_base_SF_SF_SF_bbb.kd
    .uniform_work_group_size: 1
    .uses_dynamic_stack: false
    .vgpr_count:     32
    .vgpr_spill_count: 0
    .wavefront_size: 64
  - .agpr_count:     0
    .args:
      - .offset:         0
        .size:           4
        .value_kind:     by_value
      - .offset:         4
        .size:           4
        .value_kind:     by_value
      - .offset:         8
        .size:           4
        .value_kind:     by_value
      - .actual_access:  read_only
        .address_space:  global
        .offset:         16
        .size:           8
        .value_kind:     global_buffer
      - .actual_access:  read_only
        .address_space:  global
        .offset:         24
        .size:           8
        .value_kind:     global_buffer
      - .offset:         32
        .size:           8
        .value_kind:     by_value
      - .actual_access:  read_only
        .address_space:  global
        .offset:         40
        .size:           8
        .value_kind:     global_buffer
      - .actual_access:  read_only
        .address_space:  global
        .offset:         48
        .size:           8
        .value_kind:     global_buffer
      - .actual_access:  read_only
        .address_space:  global
        .offset:         56
        .size:           8
        .value_kind:     global_buffer
      - .actual_access:  read_only
        .address_space:  global
        .offset:         64
        .size:           8
        .value_kind:     global_buffer
      - .actual_access:  read_only
        .address_space:  global
        .offset:         72
        .size:           8
        .value_kind:     global_buffer
      - .actual_access:  read_only
        .address_space:  global
        .offset:         80
        .size:           8
        .value_kind:     global_buffer
      - .offset:         88
        .size:           8
        .value_kind:     by_value
      - .actual_access:  read_only
        .address_space:  global
        .offset:         96
        .size:           8
        .value_kind:     global_buffer
      - .actual_access:  read_only
        .address_space:  global
        .offset:         104
        .size:           8
        .value_kind:     global_buffer
      - .actual_access:  read_only
        .address_space:  global
        .offset:         112
        .size:           8
        .value_kind:     global_buffer
      - .actual_access:  read_only
        .address_space:  global
        .offset:         120
        .size:           8
        .value_kind:     global_buffer
      - .actual_access:  write_only
        .address_space:  global
        .offset:         128
        .size:           8
        .value_kind:     global_buffer
      - .actual_access:  write_only
        .address_space:  global
        .offset:         136
        .size:           8
        .value_kind:     global_buffer
      - .offset:         144
        .size:           4
        .value_kind:     by_value
      - .offset:         148
        .size:           4
        .value_kind:     by_value
      - .offset:         152
        .size:           4
        .value_kind:     by_value
      - .offset:         156
        .size:           4
        .value_kind:     by_value
      - .offset:         160
        .size:           1
        .value_kind:     by_value
      - .offset:         161
        .size:           1
        .value_kind:     by_value
      - .offset:         162
        .size:           1
        .value_kind:     by_value
    .group_segment_fixed_size: 0
    .kernarg_segment_align: 8
    .kernarg_segment_size: 164
    .language:       OpenCL C
    .language_version:
      - 2
      - 0
    .max_flat_workgroup_size: 256
    .name:           _ZN9rocsparseL30bsrgemm_fill_block_per_row_2x2ILj256ELj16ELj512ELj137ElifEEv20rocsparse_direction_T4_S2_PKS2_S4_NS_24const_host_device_scalarIT5_EEPKT3_S4_PKS6_SA_S4_SC_S7_SA_S4_SC_SA_PS2_PS6_21rocsparse_index_base_SF_SF_SF_bbb
    .private_segment_fixed_size: 0
    .sgpr_count:     64
    .sgpr_spill_count: 0
    .symbol:         _ZN9rocsparseL30bsrgemm_fill_block_per_row_2x2ILj256ELj16ELj512ELj137ElifEEv20rocsparse_direction_T4_S2_PKS2_S4_NS_24const_host_device_scalarIT5_EEPKT3_S4_PKS6_SA_S4_SC_S7_SA_S4_SC_SA_PS2_PS6_21rocsparse_index_base_SF_SF_SF_bbb.kd
    .uniform_work_group_size: 1
    .uses_dynamic_stack: false
    .vgpr_count:     30
    .vgpr_spill_count: 0
    .wavefront_size: 64
  - .agpr_count:     0
    .args:
      - .offset:         0
        .size:           4
        .value_kind:     by_value
      - .offset:         4
        .size:           4
        .value_kind:     by_value
      - .offset:         8
        .size:           4
        .value_kind:     by_value
      - .actual_access:  read_only
        .address_space:  global
        .offset:         16
        .size:           8
        .value_kind:     global_buffer
      - .actual_access:  read_only
        .address_space:  global
        .offset:         24
        .size:           8
        .value_kind:     global_buffer
      - .offset:         32
        .size:           8
        .value_kind:     by_value
      - .actual_access:  read_only
        .address_space:  global
        .offset:         40
        .size:           8
        .value_kind:     global_buffer
      - .actual_access:  read_only
        .address_space:  global
        .offset:         48
        .size:           8
        .value_kind:     global_buffer
      - .actual_access:  read_only
        .address_space:  global
        .offset:         56
        .size:           8
        .value_kind:     global_buffer
      - .actual_access:  read_only
        .address_space:  global
        .offset:         64
        .size:           8
        .value_kind:     global_buffer
      - .actual_access:  read_only
        .address_space:  global
        .offset:         72
        .size:           8
        .value_kind:     global_buffer
      - .actual_access:  read_only
        .address_space:  global
        .offset:         80
        .size:           8
        .value_kind:     global_buffer
      - .offset:         88
        .size:           8
        .value_kind:     by_value
      - .actual_access:  read_only
        .address_space:  global
        .offset:         96
        .size:           8
        .value_kind:     global_buffer
      - .actual_access:  read_only
        .address_space:  global
        .offset:         104
        .size:           8
        .value_kind:     global_buffer
      - .actual_access:  read_only
        .address_space:  global
        .offset:         112
        .size:           8
        .value_kind:     global_buffer
      - .actual_access:  read_only
        .address_space:  global
        .offset:         120
        .size:           8
        .value_kind:     global_buffer
      - .actual_access:  write_only
        .address_space:  global
        .offset:         128
        .size:           8
        .value_kind:     global_buffer
      - .actual_access:  write_only
        .address_space:  global
        .offset:         136
        .size:           8
        .value_kind:     global_buffer
      - .address_space:  global
        .offset:         144
        .size:           8
        .value_kind:     global_buffer
      - .offset:         152
        .size:           4
        .value_kind:     by_value
      - .offset:         156
        .size:           4
        .value_kind:     by_value
      - .offset:         160
        .size:           4
        .value_kind:     by_value
      - .offset:         164
        .size:           4
        .value_kind:     by_value
      - .offset:         168
        .size:           1
        .value_kind:     by_value
      - .offset:         169
        .size:           1
        .value_kind:     by_value
      - .offset:         170
        .size:           1
        .value_kind:     by_value
    .group_segment_fixed_size: 6148
    .kernarg_segment_align: 8
    .kernarg_segment_size: 172
    .language:       OpenCL C
    .language_version:
      - 2
      - 0
    .max_flat_workgroup_size: 256
    .name:           _ZN9rocsparseL38bsrgemm_block_per_row_atomic_multipassILj256ELj256ELj2ElifEEv20rocsparse_direction_T3_S2_PKS2_S4_NS_24const_host_device_scalarIT4_EEPKT2_S4_PKS6_SA_S4_SC_S7_SA_S4_SC_SA_PS2_PS6_PS8_21rocsparse_index_base_SG_SG_SG_bbb
    .private_segment_fixed_size: 0
    .sgpr_count:     99
    .sgpr_spill_count: 0
    .symbol:         _ZN9rocsparseL38bsrgemm_block_per_row_atomic_multipassILj256ELj256ELj2ElifEEv20rocsparse_direction_T3_S2_PKS2_S4_NS_24const_host_device_scalarIT4_EEPKT2_S4_PKS6_SA_S4_SC_S7_SA_S4_SC_SA_PS2_PS6_PS8_21rocsparse_index_base_SG_SG_SG_bbb.kd
    .uniform_work_group_size: 1
    .uses_dynamic_stack: false
    .vgpr_count:     60
    .vgpr_spill_count: 0
    .wavefront_size: 64
  - .agpr_count:     0
    .args:
      - .offset:         0
        .size:           4
        .value_kind:     by_value
      - .offset:         4
        .size:           4
        .value_kind:     by_value
      - .offset:         8
        .size:           4
        .value_kind:     by_value
      - .offset:         12
        .size:           4
        .value_kind:     by_value
      - .actual_access:  read_only
        .address_space:  global
        .offset:         16
        .size:           8
        .value_kind:     global_buffer
      - .actual_access:  read_only
        .address_space:  global
        .offset:         24
        .size:           8
        .value_kind:     global_buffer
      - .offset:         32
        .size:           8
        .value_kind:     by_value
      - .actual_access:  read_only
        .address_space:  global
        .offset:         40
        .size:           8
        .value_kind:     global_buffer
      - .actual_access:  read_only
        .address_space:  global
        .offset:         48
        .size:           8
        .value_kind:     global_buffer
      - .actual_access:  read_only
        .address_space:  global
        .offset:         56
        .size:           8
        .value_kind:     global_buffer
      - .actual_access:  read_only
        .address_space:  global
        .offset:         64
        .size:           8
        .value_kind:     global_buffer
      - .actual_access:  read_only
        .address_space:  global
        .offset:         72
        .size:           8
        .value_kind:     global_buffer
      - .actual_access:  read_only
        .address_space:  global
        .offset:         80
        .size:           8
        .value_kind:     global_buffer
      - .offset:         88
        .size:           8
        .value_kind:     by_value
      - .actual_access:  read_only
        .address_space:  global
        .offset:         96
        .size:           8
        .value_kind:     global_buffer
      - .actual_access:  read_only
        .address_space:  global
        .offset:         104
        .size:           8
        .value_kind:     global_buffer
      - .actual_access:  read_only
        .address_space:  global
        .offset:         112
        .size:           8
        .value_kind:     global_buffer
      - .actual_access:  read_only
        .address_space:  global
        .offset:         120
        .size:           8
        .value_kind:     global_buffer
      - .actual_access:  write_only
        .address_space:  global
        .offset:         128
        .size:           8
        .value_kind:     global_buffer
      - .actual_access:  write_only
        .address_space:  global
        .offset:         136
        .size:           8
        .value_kind:     global_buffer
      - .offset:         144
        .size:           4
        .value_kind:     by_value
      - .offset:         148
        .size:           4
        .value_kind:     by_value
      - .offset:         152
        .size:           4
        .value_kind:     by_value
      - .offset:         156
        .size:           4
        .value_kind:     by_value
      - .offset:         160
        .size:           1
        .value_kind:     by_value
      - .offset:         161
        .size:           1
        .value_kind:     by_value
      - .offset:         162
        .size:           1
        .value_kind:     by_value
    .group_segment_fixed_size: 2176
    .kernarg_segment_align: 8
    .kernarg_segment_size: 164
    .language:       OpenCL C
    .language_version:
      - 2
      - 0
    .max_flat_workgroup_size: 256
    .name:           _ZN9rocsparseL23bsrgemm_fill_wf_per_rowILj256ELj64ELj8ELj137ELj4ElifEEv20rocsparse_direction_T5_S2_S2_PKS2_S4_NS_24const_host_device_scalarIT6_EEPKT4_S4_PKS6_SA_S4_SC_S7_SA_S4_SC_SA_PS2_PS6_21rocsparse_index_base_SF_SF_SF_bbb
    .private_segment_fixed_size: 0
    .sgpr_count:     64
    .sgpr_spill_count: 0
    .symbol:         _ZN9rocsparseL23bsrgemm_fill_wf_per_rowILj256ELj64ELj8ELj137ELj4ElifEEv20rocsparse_direction_T5_S2_S2_PKS2_S4_NS_24const_host_device_scalarIT6_EEPKT4_S4_PKS6_SA_S4_SC_S7_SA_S4_SC_SA_PS2_PS6_21rocsparse_index_base_SF_SF_SF_bbb.kd
    .uniform_work_group_size: 1
    .uses_dynamic_stack: false
    .vgpr_count:     43
    .vgpr_spill_count: 0
    .wavefront_size: 64
  - .agpr_count:     0
    .args:
      - .offset:         0
        .size:           4
        .value_kind:     by_value
      - .offset:         4
        .size:           4
        .value_kind:     by_value
      - .offset:         8
        .size:           4
        .value_kind:     by_value
      - .offset:         12
        .size:           4
        .value_kind:     by_value
      - .actual_access:  read_only
        .address_space:  global
        .offset:         16
        .size:           8
        .value_kind:     global_buffer
      - .actual_access:  read_only
        .address_space:  global
        .offset:         24
        .size:           8
        .value_kind:     global_buffer
      - .offset:         32
        .size:           8
        .value_kind:     by_value
      - .actual_access:  read_only
        .address_space:  global
        .offset:         40
        .size:           8
        .value_kind:     global_buffer
      - .actual_access:  read_only
        .address_space:  global
        .offset:         48
        .size:           8
        .value_kind:     global_buffer
      - .actual_access:  read_only
        .address_space:  global
        .offset:         56
        .size:           8
        .value_kind:     global_buffer
      - .actual_access:  read_only
        .address_space:  global
        .offset:         64
        .size:           8
        .value_kind:     global_buffer
      - .actual_access:  read_only
        .address_space:  global
        .offset:         72
        .size:           8
        .value_kind:     global_buffer
      - .actual_access:  read_only
        .address_space:  global
        .offset:         80
        .size:           8
        .value_kind:     global_buffer
      - .offset:         88
        .size:           8
        .value_kind:     by_value
      - .actual_access:  read_only
        .address_space:  global
        .offset:         96
        .size:           8
        .value_kind:     global_buffer
      - .actual_access:  read_only
        .address_space:  global
        .offset:         104
        .size:           8
        .value_kind:     global_buffer
      - .actual_access:  read_only
        .address_space:  global
        .offset:         112
        .size:           8
        .value_kind:     global_buffer
      - .actual_access:  read_only
        .address_space:  global
        .offset:         120
        .size:           8
        .value_kind:     global_buffer
      - .actual_access:  write_only
        .address_space:  global
        .offset:         128
        .size:           8
        .value_kind:     global_buffer
      - .actual_access:  write_only
        .address_space:  global
        .offset:         136
        .size:           8
        .value_kind:     global_buffer
      - .offset:         144
        .size:           4
        .value_kind:     by_value
      - .offset:         148
        .size:           4
        .value_kind:     by_value
      - .offset:         152
        .size:           4
        .value_kind:     by_value
      - .offset:         156
        .size:           4
        .value_kind:     by_value
      - .offset:         160
        .size:           1
        .value_kind:     by_value
      - .offset:         161
        .size:           1
        .value_kind:     by_value
      - .offset:         162
        .size:           1
        .value_kind:     by_value
    .group_segment_fixed_size: 4352
    .kernarg_segment_align: 8
    .kernarg_segment_size: 164
    .language:       OpenCL C
    .language_version:
      - 2
      - 0
    .max_flat_workgroup_size: 256
    .name:           _ZN9rocsparseL23bsrgemm_fill_wf_per_rowILj256ELj64ELj16ELj137ELj4ElifEEv20rocsparse_direction_T5_S2_S2_PKS2_S4_NS_24const_host_device_scalarIT6_EEPKT4_S4_PKS6_SA_S4_SC_S7_SA_S4_SC_SA_PS2_PS6_21rocsparse_index_base_SF_SF_SF_bbb
    .private_segment_fixed_size: 0
    .sgpr_count:     64
    .sgpr_spill_count: 0
    .symbol:         _ZN9rocsparseL23bsrgemm_fill_wf_per_rowILj256ELj64ELj16ELj137ELj4ElifEEv20rocsparse_direction_T5_S2_S2_PKS2_S4_NS_24const_host_device_scalarIT6_EEPKT4_S4_PKS6_SA_S4_SC_S7_SA_S4_SC_SA_PS2_PS6_21rocsparse_index_base_SF_SF_SF_bbb.kd
    .uniform_work_group_size: 1
    .uses_dynamic_stack: false
    .vgpr_count:     43
    .vgpr_spill_count: 0
    .wavefront_size: 64
  - .agpr_count:     0
    .args:
      - .offset:         0
        .size:           4
        .value_kind:     by_value
      - .offset:         4
        .size:           4
        .value_kind:     by_value
      - .offset:         8
        .size:           4
        .value_kind:     by_value
      - .actual_access:  read_only
        .address_space:  global
        .offset:         16
        .size:           8
        .value_kind:     global_buffer
      - .actual_access:  read_only
        .address_space:  global
        .offset:         24
        .size:           8
        .value_kind:     global_buffer
      - .offset:         32
        .size:           8
        .value_kind:     by_value
      - .actual_access:  read_only
        .address_space:  global
        .offset:         40
        .size:           8
        .value_kind:     global_buffer
      - .actual_access:  read_only
        .address_space:  global
        .offset:         48
        .size:           8
        .value_kind:     global_buffer
      - .actual_access:  read_only
        .address_space:  global
        .offset:         56
        .size:           8
        .value_kind:     global_buffer
      - .actual_access:  read_only
        .address_space:  global
        .offset:         64
        .size:           8
        .value_kind:     global_buffer
      - .actual_access:  read_only
        .address_space:  global
        .offset:         72
        .size:           8
        .value_kind:     global_buffer
      - .actual_access:  read_only
        .address_space:  global
        .offset:         80
        .size:           8
        .value_kind:     global_buffer
      - .offset:         88
        .size:           8
        .value_kind:     by_value
      - .actual_access:  read_only
        .address_space:  global
        .offset:         96
        .size:           8
        .value_kind:     global_buffer
      - .actual_access:  read_only
        .address_space:  global
        .offset:         104
        .size:           8
        .value_kind:     global_buffer
      - .actual_access:  read_only
        .address_space:  global
        .offset:         112
        .size:           8
        .value_kind:     global_buffer
      - .actual_access:  read_only
        .address_space:  global
        .offset:         120
        .size:           8
        .value_kind:     global_buffer
      - .actual_access:  write_only
        .address_space:  global
        .offset:         128
        .size:           8
        .value_kind:     global_buffer
      - .actual_access:  write_only
        .address_space:  global
        .offset:         136
        .size:           8
        .value_kind:     global_buffer
      - .address_space:  global
        .offset:         144
        .size:           8
        .value_kind:     global_buffer
      - .offset:         152
        .size:           4
        .value_kind:     by_value
      - .offset:         156
        .size:           4
        .value_kind:     by_value
      - .offset:         160
        .size:           4
        .value_kind:     by_value
      - .offset:         164
        .size:           4
        .value_kind:     by_value
      - .offset:         168
        .size:           1
        .value_kind:     by_value
      - .offset:         169
        .size:           1
        .value_kind:     by_value
      - .offset:         170
        .size:           1
        .value_kind:     by_value
    .group_segment_fixed_size: 3204
    .kernarg_segment_align: 8
    .kernarg_segment_size: 172
    .language:       OpenCL C
    .language_version:
      - 2
      - 0
    .max_flat_workgroup_size: 256
    .name:           _ZN9rocsparseL38bsrgemm_block_per_row_atomic_multipassILj256ELj32ELj4ElifEEv20rocsparse_direction_T3_S2_PKS2_S4_NS_24const_host_device_scalarIT4_EEPKT2_S4_PKS6_SA_S4_SC_S7_SA_S4_SC_SA_PS2_PS6_PS8_21rocsparse_index_base_SG_SG_SG_bbb
    .private_segment_fixed_size: 0
    .sgpr_count:     95
    .sgpr_spill_count: 0
    .symbol:         _ZN9rocsparseL38bsrgemm_block_per_row_atomic_multipassILj256ELj32ELj4ElifEEv20rocsparse_direction_T3_S2_PKS2_S4_NS_24const_host_device_scalarIT4_EEPKT2_S4_PKS6_SA_S4_SC_S7_SA_S4_SC_SA_PS2_PS6_PS8_21rocsparse_index_base_SG_SG_SG_bbb.kd
    .uniform_work_group_size: 1
    .uses_dynamic_stack: false
    .vgpr_count:     57
    .vgpr_spill_count: 0
    .wavefront_size: 64
  - .agpr_count:     0
    .args:
      - .offset:         0
        .size:           4
        .value_kind:     by_value
      - .offset:         4
        .size:           4
        .value_kind:     by_value
      - .offset:         8
        .size:           4
        .value_kind:     by_value
      - .actual_access:  read_only
        .address_space:  global
        .offset:         16
        .size:           8
        .value_kind:     global_buffer
      - .actual_access:  read_only
        .address_space:  global
        .offset:         24
        .size:           8
        .value_kind:     global_buffer
      - .offset:         32
        .size:           8
        .value_kind:     by_value
      - .actual_access:  read_only
        .address_space:  global
        .offset:         40
        .size:           8
        .value_kind:     global_buffer
      - .actual_access:  read_only
        .address_space:  global
        .offset:         48
        .size:           8
        .value_kind:     global_buffer
      - .actual_access:  read_only
        .address_space:  global
        .offset:         56
        .size:           8
        .value_kind:     global_buffer
      - .actual_access:  read_only
        .address_space:  global
        .offset:         64
        .size:           8
        .value_kind:     global_buffer
      - .actual_access:  read_only
        .address_space:  global
        .offset:         72
        .size:           8
        .value_kind:     global_buffer
      - .actual_access:  read_only
        .address_space:  global
        .offset:         80
        .size:           8
        .value_kind:     global_buffer
      - .offset:         88
        .size:           8
        .value_kind:     by_value
      - .actual_access:  read_only
        .address_space:  global
        .offset:         96
        .size:           8
        .value_kind:     global_buffer
      - .actual_access:  read_only
        .address_space:  global
        .offset:         104
        .size:           8
        .value_kind:     global_buffer
      - .actual_access:  read_only
        .address_space:  global
        .offset:         112
        .size:           8
        .value_kind:     global_buffer
      - .actual_access:  read_only
        .address_space:  global
        .offset:         120
        .size:           8
        .value_kind:     global_buffer
      - .actual_access:  write_only
        .address_space:  global
        .offset:         128
        .size:           8
        .value_kind:     global_buffer
      - .actual_access:  write_only
        .address_space:  global
        .offset:         136
        .size:           8
        .value_kind:     global_buffer
      - .address_space:  global
        .offset:         144
        .size:           8
        .value_kind:     global_buffer
      - .offset:         152
        .size:           4
        .value_kind:     by_value
      - .offset:         156
        .size:           4
        .value_kind:     by_value
      - .offset:         160
        .size:           4
        .value_kind:     by_value
      - .offset:         164
        .size:           4
        .value_kind:     by_value
      - .offset:         168
        .size:           1
        .value_kind:     by_value
      - .offset:         169
        .size:           1
        .value_kind:     by_value
      - .offset:         170
        .size:           1
        .value_kind:     by_value
    .group_segment_fixed_size: 5380
    .kernarg_segment_align: 8
    .kernarg_segment_size: 172
    .language:       OpenCL C
    .language_version:
      - 2
      - 0
    .max_flat_workgroup_size: 256
    .name:           _ZN9rocsparseL38bsrgemm_block_per_row_atomic_multipassILj256ELj64ELj4ElifEEv20rocsparse_direction_T3_S2_PKS2_S4_NS_24const_host_device_scalarIT4_EEPKT2_S4_PKS6_SA_S4_SC_S7_SA_S4_SC_SA_PS2_PS6_PS8_21rocsparse_index_base_SG_SG_SG_bbb
    .private_segment_fixed_size: 0
    .sgpr_count:     95
    .sgpr_spill_count: 0
    .symbol:         _ZN9rocsparseL38bsrgemm_block_per_row_atomic_multipassILj256ELj64ELj4ElifEEv20rocsparse_direction_T3_S2_PKS2_S4_NS_24const_host_device_scalarIT4_EEPKT2_S4_PKS6_SA_S4_SC_S7_SA_S4_SC_SA_PS2_PS6_PS8_21rocsparse_index_base_SG_SG_SG_bbb.kd
    .uniform_work_group_size: 1
    .uses_dynamic_stack: false
    .vgpr_count:     58
    .vgpr_spill_count: 0
    .wavefront_size: 64
  - .agpr_count:     0
    .args:
      - .offset:         0
        .size:           4
        .value_kind:     by_value
      - .offset:         4
        .size:           4
        .value_kind:     by_value
      - .offset:         8
        .size:           4
        .value_kind:     by_value
      - .actual_access:  read_only
        .address_space:  global
        .offset:         16
        .size:           8
        .value_kind:     global_buffer
      - .actual_access:  read_only
        .address_space:  global
        .offset:         24
        .size:           8
        .value_kind:     global_buffer
      - .offset:         32
        .size:           8
        .value_kind:     by_value
      - .actual_access:  read_only
        .address_space:  global
        .offset:         40
        .size:           8
        .value_kind:     global_buffer
      - .actual_access:  read_only
        .address_space:  global
        .offset:         48
        .size:           8
        .value_kind:     global_buffer
      - .actual_access:  read_only
        .address_space:  global
        .offset:         56
        .size:           8
        .value_kind:     global_buffer
      - .actual_access:  read_only
        .address_space:  global
        .offset:         64
        .size:           8
        .value_kind:     global_buffer
      - .actual_access:  read_only
        .address_space:  global
        .offset:         72
        .size:           8
        .value_kind:     global_buffer
      - .actual_access:  read_only
        .address_space:  global
        .offset:         80
        .size:           8
        .value_kind:     global_buffer
      - .offset:         88
        .size:           8
        .value_kind:     by_value
      - .actual_access:  read_only
        .address_space:  global
        .offset:         96
        .size:           8
        .value_kind:     global_buffer
      - .actual_access:  read_only
        .address_space:  global
        .offset:         104
        .size:           8
        .value_kind:     global_buffer
      - .actual_access:  read_only
        .address_space:  global
        .offset:         112
        .size:           8
        .value_kind:     global_buffer
      - .actual_access:  read_only
        .address_space:  global
        .offset:         120
        .size:           8
        .value_kind:     global_buffer
      - .actual_access:  write_only
        .address_space:  global
        .offset:         128
        .size:           8
        .value_kind:     global_buffer
      - .actual_access:  write_only
        .address_space:  global
        .offset:         136
        .size:           8
        .value_kind:     global_buffer
      - .address_space:  global
        .offset:         144
        .size:           8
        .value_kind:     global_buffer
      - .offset:         152
        .size:           4
        .value_kind:     by_value
      - .offset:         156
        .size:           4
        .value_kind:     by_value
      - .offset:         160
        .size:           4
        .value_kind:     by_value
      - .offset:         164
        .size:           4
        .value_kind:     by_value
      - .offset:         168
        .size:           1
        .value_kind:     by_value
      - .offset:         169
        .size:           1
        .value_kind:     by_value
      - .offset:         170
        .size:           1
        .value_kind:     by_value
    .group_segment_fixed_size: 9732
    .kernarg_segment_align: 8
    .kernarg_segment_size: 172
    .language:       OpenCL C
    .language_version:
      - 2
      - 0
    .max_flat_workgroup_size: 256
    .name:           _ZN9rocsparseL38bsrgemm_block_per_row_atomic_multipassILj256ELj128ELj4ElifEEv20rocsparse_direction_T3_S2_PKS2_S4_NS_24const_host_device_scalarIT4_EEPKT2_S4_PKS6_SA_S4_SC_S7_SA_S4_SC_SA_PS2_PS6_PS8_21rocsparse_index_base_SG_SG_SG_bbb
    .private_segment_fixed_size: 0
    .sgpr_count:     97
    .sgpr_spill_count: 0
    .symbol:         _ZN9rocsparseL38bsrgemm_block_per_row_atomic_multipassILj256ELj128ELj4ElifEEv20rocsparse_direction_T3_S2_PKS2_S4_NS_24const_host_device_scalarIT4_EEPKT2_S4_PKS6_SA_S4_SC_S7_SA_S4_SC_SA_PS2_PS6_PS8_21rocsparse_index_base_SG_SG_SG_bbb.kd
    .uniform_work_group_size: 1
    .uses_dynamic_stack: false
    .vgpr_count:     59
    .vgpr_spill_count: 0
    .wavefront_size: 64
  - .agpr_count:     0
    .args:
      - .offset:         0
        .size:           4
        .value_kind:     by_value
      - .offset:         4
        .size:           4
        .value_kind:     by_value
      - .offset:         8
        .size:           4
        .value_kind:     by_value
      - .offset:         12
        .size:           4
        .value_kind:     by_value
      - .actual_access:  read_only
        .address_space:  global
        .offset:         16
        .size:           8
        .value_kind:     global_buffer
      - .actual_access:  read_only
        .address_space:  global
        .offset:         24
        .size:           8
        .value_kind:     global_buffer
      - .offset:         32
        .size:           8
        .value_kind:     by_value
      - .actual_access:  read_only
        .address_space:  global
        .offset:         40
        .size:           8
        .value_kind:     global_buffer
      - .actual_access:  read_only
        .address_space:  global
        .offset:         48
        .size:           8
        .value_kind:     global_buffer
      - .actual_access:  read_only
        .address_space:  global
        .offset:         56
        .size:           8
        .value_kind:     global_buffer
      - .actual_access:  read_only
        .address_space:  global
        .offset:         64
        .size:           8
        .value_kind:     global_buffer
      - .actual_access:  read_only
        .address_space:  global
        .offset:         72
        .size:           8
        .value_kind:     global_buffer
      - .actual_access:  read_only
        .address_space:  global
        .offset:         80
        .size:           8
        .value_kind:     global_buffer
      - .offset:         88
        .size:           8
        .value_kind:     by_value
      - .actual_access:  read_only
        .address_space:  global
        .offset:         96
        .size:           8
        .value_kind:     global_buffer
      - .actual_access:  read_only
        .address_space:  global
        .offset:         104
        .size:           8
        .value_kind:     global_buffer
      - .actual_access:  read_only
        .address_space:  global
        .offset:         112
        .size:           8
        .value_kind:     global_buffer
      - .actual_access:  read_only
        .address_space:  global
        .offset:         120
        .size:           8
        .value_kind:     global_buffer
      - .actual_access:  write_only
        .address_space:  global
        .offset:         128
        .size:           8
        .value_kind:     global_buffer
      - .actual_access:  write_only
        .address_space:  global
        .offset:         136
        .size:           8
        .value_kind:     global_buffer
      - .offset:         144
        .size:           4
        .value_kind:     by_value
      - .offset:         148
        .size:           4
        .value_kind:     by_value
      - .offset:         152
        .size:           4
        .value_kind:     by_value
      - .offset:         156
        .size:           4
        .value_kind:     by_value
      - .offset:         160
        .size:           1
        .value_kind:     by_value
      - .offset:         161
        .size:           1
        .value_kind:     by_value
      - .offset:         162
        .size:           1
        .value_kind:     by_value
    .group_segment_fixed_size: 8320
    .kernarg_segment_align: 8
    .kernarg_segment_size: 164
    .language:       OpenCL C
    .language_version:
      - 2
      - 0
    .max_flat_workgroup_size: 256
    .name:           _ZN9rocsparseL23bsrgemm_fill_wf_per_rowILj256ELj64ELj8ELj137ELj8ElifEEv20rocsparse_direction_T5_S2_S2_PKS2_S4_NS_24const_host_device_scalarIT6_EEPKT4_S4_PKS6_SA_S4_SC_S7_SA_S4_SC_SA_PS2_PS6_21rocsparse_index_base_SF_SF_SF_bbb
    .private_segment_fixed_size: 0
    .sgpr_count:     62
    .sgpr_spill_count: 0
    .symbol:         _ZN9rocsparseL23bsrgemm_fill_wf_per_rowILj256ELj64ELj8ELj137ELj8ElifEEv20rocsparse_direction_T5_S2_S2_PKS2_S4_NS_24const_host_device_scalarIT6_EEPKT4_S4_PKS6_SA_S4_SC_S7_SA_S4_SC_SA_PS2_PS6_21rocsparse_index_base_SF_SF_SF_bbb.kd
    .uniform_work_group_size: 1
    .uses_dynamic_stack: false
    .vgpr_count:     42
    .vgpr_spill_count: 0
    .wavefront_size: 64
  - .agpr_count:     0
    .args:
      - .offset:         0
        .size:           4
        .value_kind:     by_value
      - .offset:         4
        .size:           4
        .value_kind:     by_value
      - .offset:         8
        .size:           4
        .value_kind:     by_value
      - .actual_access:  read_only
        .address_space:  global
        .offset:         16
        .size:           8
        .value_kind:     global_buffer
      - .actual_access:  read_only
        .address_space:  global
        .offset:         24
        .size:           8
        .value_kind:     global_buffer
      - .offset:         32
        .size:           8
        .value_kind:     by_value
      - .actual_access:  read_only
        .address_space:  global
        .offset:         40
        .size:           8
        .value_kind:     global_buffer
      - .actual_access:  read_only
        .address_space:  global
        .offset:         48
        .size:           8
        .value_kind:     global_buffer
      - .actual_access:  read_only
        .address_space:  global
        .offset:         56
        .size:           8
        .value_kind:     global_buffer
      - .actual_access:  read_only
        .address_space:  global
        .offset:         64
        .size:           8
        .value_kind:     global_buffer
      - .actual_access:  read_only
        .address_space:  global
        .offset:         72
        .size:           8
        .value_kind:     global_buffer
      - .actual_access:  read_only
        .address_space:  global
        .offset:         80
        .size:           8
        .value_kind:     global_buffer
      - .offset:         88
        .size:           8
        .value_kind:     by_value
      - .actual_access:  read_only
        .address_space:  global
        .offset:         96
        .size:           8
        .value_kind:     global_buffer
      - .actual_access:  read_only
        .address_space:  global
        .offset:         104
        .size:           8
        .value_kind:     global_buffer
      - .actual_access:  read_only
        .address_space:  global
        .offset:         112
        .size:           8
        .value_kind:     global_buffer
      - .actual_access:  read_only
        .address_space:  global
        .offset:         120
        .size:           8
        .value_kind:     global_buffer
      - .actual_access:  write_only
        .address_space:  global
        .offset:         128
        .size:           8
        .value_kind:     global_buffer
      - .actual_access:  write_only
        .address_space:  global
        .offset:         136
        .size:           8
        .value_kind:     global_buffer
      - .address_space:  global
        .offset:         144
        .size:           8
        .value_kind:     global_buffer
      - .offset:         152
        .size:           4
        .value_kind:     by_value
      - .offset:         156
        .size:           4
        .value_kind:     by_value
      - .offset:         160
        .size:           4
        .value_kind:     by_value
      - .offset:         164
        .size:           4
        .value_kind:     by_value
      - .offset:         168
        .size:           1
        .value_kind:     by_value
      - .offset:         169
        .size:           1
        .value_kind:     by_value
      - .offset:         170
        .size:           1
        .value_kind:     by_value
    .group_segment_fixed_size: 5188
    .kernarg_segment_align: 8
    .kernarg_segment_size: 172
    .language:       OpenCL C
    .language_version:
      - 2
      - 0
    .max_flat_workgroup_size: 256
    .name:           _ZN9rocsparseL38bsrgemm_block_per_row_atomic_multipassILj256ELj16ELj8ElifEEv20rocsparse_direction_T3_S2_PKS2_S4_NS_24const_host_device_scalarIT4_EEPKT2_S4_PKS6_SA_S4_SC_S7_SA_S4_SC_SA_PS2_PS6_PS8_21rocsparse_index_base_SG_SG_SG_bbb
    .private_segment_fixed_size: 0
    .sgpr_count:     91
    .sgpr_spill_count: 0
    .symbol:         _ZN9rocsparseL38bsrgemm_block_per_row_atomic_multipassILj256ELj16ELj8ElifEEv20rocsparse_direction_T3_S2_PKS2_S4_NS_24const_host_device_scalarIT4_EEPKT2_S4_PKS6_SA_S4_SC_S7_SA_S4_SC_SA_PS2_PS6_PS8_21rocsparse_index_base_SG_SG_SG_bbb.kd
    .uniform_work_group_size: 1
    .uses_dynamic_stack: false
    .vgpr_count:     56
    .vgpr_spill_count: 0
    .wavefront_size: 64
  - .agpr_count:     0
    .args:
      - .offset:         0
        .size:           4
        .value_kind:     by_value
      - .offset:         4
        .size:           4
        .value_kind:     by_value
      - .offset:         8
        .size:           4
        .value_kind:     by_value
      - .actual_access:  read_only
        .address_space:  global
        .offset:         16
        .size:           8
        .value_kind:     global_buffer
      - .actual_access:  read_only
        .address_space:  global
        .offset:         24
        .size:           8
        .value_kind:     global_buffer
      - .offset:         32
        .size:           8
        .value_kind:     by_value
      - .actual_access:  read_only
        .address_space:  global
        .offset:         40
        .size:           8
        .value_kind:     global_buffer
      - .actual_access:  read_only
        .address_space:  global
        .offset:         48
        .size:           8
        .value_kind:     global_buffer
      - .actual_access:  read_only
        .address_space:  global
        .offset:         56
        .size:           8
        .value_kind:     global_buffer
      - .actual_access:  read_only
        .address_space:  global
        .offset:         64
        .size:           8
        .value_kind:     global_buffer
      - .actual_access:  read_only
        .address_space:  global
        .offset:         72
        .size:           8
        .value_kind:     global_buffer
      - .actual_access:  read_only
        .address_space:  global
        .offset:         80
        .size:           8
        .value_kind:     global_buffer
      - .offset:         88
        .size:           8
        .value_kind:     by_value
      - .actual_access:  read_only
        .address_space:  global
        .offset:         96
        .size:           8
        .value_kind:     global_buffer
      - .actual_access:  read_only
        .address_space:  global
        .offset:         104
        .size:           8
        .value_kind:     global_buffer
      - .actual_access:  read_only
        .address_space:  global
        .offset:         112
        .size:           8
        .value_kind:     global_buffer
      - .actual_access:  read_only
        .address_space:  global
        .offset:         120
        .size:           8
        .value_kind:     global_buffer
      - .actual_access:  write_only
        .address_space:  global
        .offset:         128
        .size:           8
        .value_kind:     global_buffer
      - .actual_access:  write_only
        .address_space:  global
        .offset:         136
        .size:           8
        .value_kind:     global_buffer
      - .address_space:  global
        .offset:         144
        .size:           8
        .value_kind:     global_buffer
      - .offset:         152
        .size:           4
        .value_kind:     by_value
      - .offset:         156
        .size:           4
        .value_kind:     by_value
      - .offset:         160
        .size:           4
        .value_kind:     by_value
      - .offset:         164
        .size:           4
        .value_kind:     by_value
      - .offset:         168
        .size:           1
        .value_kind:     by_value
      - .offset:         169
        .size:           1
        .value_kind:     by_value
      - .offset:         170
        .size:           1
        .value_kind:     by_value
    .group_segment_fixed_size: 9348
    .kernarg_segment_align: 8
    .kernarg_segment_size: 172
    .language:       OpenCL C
    .language_version:
      - 2
      - 0
    .max_flat_workgroup_size: 256
    .name:           _ZN9rocsparseL38bsrgemm_block_per_row_atomic_multipassILj256ELj32ELj8ElifEEv20rocsparse_direction_T3_S2_PKS2_S4_NS_24const_host_device_scalarIT4_EEPKT2_S4_PKS6_SA_S4_SC_S7_SA_S4_SC_SA_PS2_PS6_PS8_21rocsparse_index_base_SG_SG_SG_bbb
    .private_segment_fixed_size: 0
    .sgpr_count:     93
    .sgpr_spill_count: 0
    .symbol:         _ZN9rocsparseL38bsrgemm_block_per_row_atomic_multipassILj256ELj32ELj8ElifEEv20rocsparse_direction_T3_S2_PKS2_S4_NS_24const_host_device_scalarIT4_EEPKT2_S4_PKS6_SA_S4_SC_S7_SA_S4_SC_SA_PS2_PS6_PS8_21rocsparse_index_base_SG_SG_SG_bbb.kd
    .uniform_work_group_size: 1
    .uses_dynamic_stack: false
    .vgpr_count:     57
    .vgpr_spill_count: 0
    .wavefront_size: 64
  - .agpr_count:     0
    .args:
      - .offset:         0
        .size:           4
        .value_kind:     by_value
      - .offset:         4
        .size:           4
        .value_kind:     by_value
      - .offset:         8
        .size:           4
        .value_kind:     by_value
      - .actual_access:  read_only
        .address_space:  global
        .offset:         16
        .size:           8
        .value_kind:     global_buffer
      - .actual_access:  read_only
        .address_space:  global
        .offset:         24
        .size:           8
        .value_kind:     global_buffer
      - .offset:         32
        .size:           8
        .value_kind:     by_value
      - .actual_access:  read_only
        .address_space:  global
        .offset:         40
        .size:           8
        .value_kind:     global_buffer
      - .actual_access:  read_only
        .address_space:  global
        .offset:         48
        .size:           8
        .value_kind:     global_buffer
      - .actual_access:  read_only
        .address_space:  global
        .offset:         56
        .size:           8
        .value_kind:     global_buffer
      - .actual_access:  read_only
        .address_space:  global
        .offset:         64
        .size:           8
        .value_kind:     global_buffer
      - .actual_access:  read_only
        .address_space:  global
        .offset:         72
        .size:           8
        .value_kind:     global_buffer
      - .actual_access:  read_only
        .address_space:  global
        .offset:         80
        .size:           8
        .value_kind:     global_buffer
      - .offset:         88
        .size:           8
        .value_kind:     by_value
      - .actual_access:  read_only
        .address_space:  global
        .offset:         96
        .size:           8
        .value_kind:     global_buffer
      - .actual_access:  read_only
        .address_space:  global
        .offset:         104
        .size:           8
        .value_kind:     global_buffer
      - .actual_access:  read_only
        .address_space:  global
        .offset:         112
        .size:           8
        .value_kind:     global_buffer
      - .actual_access:  read_only
        .address_space:  global
        .offset:         120
        .size:           8
        .value_kind:     global_buffer
      - .actual_access:  write_only
        .address_space:  global
        .offset:         128
        .size:           8
        .value_kind:     global_buffer
      - .actual_access:  write_only
        .address_space:  global
        .offset:         136
        .size:           8
        .value_kind:     global_buffer
      - .address_space:  global
        .offset:         144
        .size:           8
        .value_kind:     global_buffer
      - .offset:         152
        .size:           4
        .value_kind:     by_value
      - .offset:         156
        .size:           4
        .value_kind:     by_value
      - .offset:         160
        .size:           4
        .value_kind:     by_value
      - .offset:         164
        .size:           4
        .value_kind:     by_value
      - .offset:         168
        .size:           1
        .value_kind:     by_value
      - .offset:         169
        .size:           1
        .value_kind:     by_value
      - .offset:         170
        .size:           1
        .value_kind:     by_value
    .group_segment_fixed_size: 8200
    .kernarg_segment_align: 8
    .kernarg_segment_size: 172
    .language:       OpenCL C
    .language_version:
      - 2
      - 0
    .max_flat_workgroup_size: 256
    .name:           _ZN9rocsparseL31bsrgemm_block_per_row_multipassILj256ELj8ELj16ElifEEv20rocsparse_direction_T3_S2_PKS2_S4_NS_24const_host_device_scalarIT4_EEPKT2_S4_PKS6_SA_S4_SC_S7_SA_S4_SC_SA_PS2_PS6_PS8_21rocsparse_index_base_SG_SG_SG_bbb
    .private_segment_fixed_size: 0
    .sgpr_count:     76
    .sgpr_spill_count: 0
    .symbol:         _ZN9rocsparseL31bsrgemm_block_per_row_multipassILj256ELj8ELj16ElifEEv20rocsparse_direction_T3_S2_PKS2_S4_NS_24const_host_device_scalarIT4_EEPKT2_S4_PKS6_SA_S4_SC_S7_SA_S4_SC_SA_PS2_PS6_PS8_21rocsparse_index_base_SG_SG_SG_bbb.kd
    .uniform_work_group_size: 1
    .uses_dynamic_stack: false
    .vgpr_count:     45
    .vgpr_spill_count: 0
    .wavefront_size: 64
  - .agpr_count:     0
    .args:
      - .offset:         0
        .size:           4
        .value_kind:     by_value
      - .offset:         4
        .size:           4
        .value_kind:     by_value
      - .offset:         8
        .size:           4
        .value_kind:     by_value
      - .actual_access:  read_only
        .address_space:  global
        .offset:         16
        .size:           8
        .value_kind:     global_buffer
      - .actual_access:  read_only
        .address_space:  global
        .offset:         24
        .size:           8
        .value_kind:     global_buffer
      - .offset:         32
        .size:           8
        .value_kind:     by_value
      - .actual_access:  read_only
        .address_space:  global
        .offset:         40
        .size:           8
        .value_kind:     global_buffer
      - .actual_access:  read_only
        .address_space:  global
        .offset:         48
        .size:           8
        .value_kind:     global_buffer
      - .actual_access:  read_only
        .address_space:  global
        .offset:         56
        .size:           8
        .value_kind:     global_buffer
      - .actual_access:  read_only
        .address_space:  global
        .offset:         64
        .size:           8
        .value_kind:     global_buffer
      - .actual_access:  read_only
        .address_space:  global
        .offset:         72
        .size:           8
        .value_kind:     global_buffer
      - .actual_access:  read_only
        .address_space:  global
        .offset:         80
        .size:           8
        .value_kind:     global_buffer
      - .offset:         88
        .size:           8
        .value_kind:     by_value
      - .actual_access:  read_only
        .address_space:  global
        .offset:         96
        .size:           8
        .value_kind:     global_buffer
      - .actual_access:  read_only
        .address_space:  global
        .offset:         104
        .size:           8
        .value_kind:     global_buffer
      - .actual_access:  read_only
        .address_space:  global
        .offset:         112
        .size:           8
        .value_kind:     global_buffer
      - .actual_access:  read_only
        .address_space:  global
        .offset:         120
        .size:           8
        .value_kind:     global_buffer
      - .actual_access:  write_only
        .address_space:  global
        .offset:         128
        .size:           8
        .value_kind:     global_buffer
      - .actual_access:  write_only
        .address_space:  global
        .offset:         136
        .size:           8
        .value_kind:     global_buffer
      - .address_space:  global
        .offset:         144
        .size:           8
        .value_kind:     global_buffer
      - .offset:         152
        .size:           4
        .value_kind:     by_value
      - .offset:         156
        .size:           4
        .value_kind:     by_value
      - .offset:         160
        .size:           4
        .value_kind:     by_value
      - .offset:         164
        .size:           4
        .value_kind:     by_value
      - .offset:         168
        .size:           1
        .value_kind:     by_value
      - .offset:         169
        .size:           1
        .value_kind:     by_value
      - .offset:         170
        .size:           1
        .value_kind:     by_value
    .group_segment_fixed_size: 8196
    .kernarg_segment_align: 8
    .kernarg_segment_size: 172
    .language:       OpenCL C
    .language_version:
      - 2
      - 0
    .max_flat_workgroup_size: 256
    .name:           _ZN9rocsparseL31bsrgemm_block_per_row_multipassILj256ELj2ELj32ElifEEv20rocsparse_direction_T3_S2_PKS2_S4_NS_24const_host_device_scalarIT4_EEPKT2_S4_PKS6_SA_S4_SC_S7_SA_S4_SC_SA_PS2_PS6_PS8_21rocsparse_index_base_SG_SG_SG_bbb
    .private_segment_fixed_size: 0
    .sgpr_count:     87
    .sgpr_spill_count: 0
    .symbol:         _ZN9rocsparseL31bsrgemm_block_per_row_multipassILj256ELj2ELj32ElifEEv20rocsparse_direction_T3_S2_PKS2_S4_NS_24const_host_device_scalarIT4_EEPKT2_S4_PKS6_SA_S4_SC_S7_SA_S4_SC_SA_PS2_PS6_PS8_21rocsparse_index_base_SG_SG_SG_bbb.kd
    .uniform_work_group_size: 1
    .uses_dynamic_stack: false
    .vgpr_count:     85
    .vgpr_spill_count: 0
    .wavefront_size: 64
  - .agpr_count:     0
    .args:
      - .offset:         0
        .size:           4
        .value_kind:     by_value
      - .actual_access:  read_only
        .address_space:  global
        .offset:         8
        .size:           8
        .value_kind:     global_buffer
      - .actual_access:  write_only
        .address_space:  global
        .offset:         16
        .size:           8
        .value_kind:     global_buffer
      - .actual_access:  write_only
        .address_space:  global
        .offset:         24
        .size:           8
        .value_kind:     global_buffer
      - .offset:         32
        .size:           4
        .value_kind:     hidden_block_count_x
      - .offset:         36
        .size:           4
        .value_kind:     hidden_block_count_y
      - .offset:         40
        .size:           4
        .value_kind:     hidden_block_count_z
      - .offset:         44
        .size:           2
        .value_kind:     hidden_group_size_x
      - .offset:         46
        .size:           2
        .value_kind:     hidden_group_size_y
      - .offset:         48
        .size:           2
        .value_kind:     hidden_group_size_z
      - .offset:         50
        .size:           2
        .value_kind:     hidden_remainder_x
      - .offset:         52
        .size:           2
        .value_kind:     hidden_remainder_y
      - .offset:         54
        .size:           2
        .value_kind:     hidden_remainder_z
      - .offset:         72
        .size:           8
        .value_kind:     hidden_global_offset_x
      - .offset:         80
        .size:           8
        .value_kind:     hidden_global_offset_y
      - .offset:         88
        .size:           8
        .value_kind:     hidden_global_offset_z
      - .offset:         96
        .size:           2
        .value_kind:     hidden_grid_dims
    .group_segment_fixed_size: 8192
    .kernarg_segment_align: 8
    .kernarg_segment_size: 288
    .language:       OpenCL C
    .language_version:
      - 2
      - 0
    .max_flat_workgroup_size: 256
    .name:           _ZN9rocsparseL26bsrgemm_group_reduce_part2ILj256ELj8ELj2EdliEEvT4_PKT3_PS1_Pi
    .private_segment_fixed_size: 0
    .sgpr_count:     38
    .sgpr_spill_count: 0
    .symbol:         _ZN9rocsparseL26bsrgemm_group_reduce_part2ILj256ELj8ELj2EdliEEvT4_PKT3_PS1_Pi.kd
    .uniform_work_group_size: 1
    .uses_dynamic_stack: false
    .vgpr_count:     20
    .vgpr_spill_count: 0
    .wavefront_size: 64
  - .agpr_count:     0
    .args:
      - .offset:         0
        .size:           4
        .value_kind:     by_value
      - .actual_access:  read_only
        .address_space:  global
        .offset:         8
        .size:           8
        .value_kind:     global_buffer
      - .actual_access:  write_only
        .address_space:  global
        .offset:         16
        .size:           8
        .value_kind:     global_buffer
      - .actual_access:  write_only
        .address_space:  global
        .offset:         24
        .size:           8
        .value_kind:     global_buffer
      - .offset:         32
        .size:           4
        .value_kind:     hidden_block_count_x
      - .offset:         36
        .size:           4
        .value_kind:     hidden_block_count_y
      - .offset:         40
        .size:           4
        .value_kind:     hidden_block_count_z
      - .offset:         44
        .size:           2
        .value_kind:     hidden_group_size_x
      - .offset:         46
        .size:           2
        .value_kind:     hidden_group_size_y
      - .offset:         48
        .size:           2
        .value_kind:     hidden_group_size_z
      - .offset:         50
        .size:           2
        .value_kind:     hidden_remainder_x
      - .offset:         52
        .size:           2
        .value_kind:     hidden_remainder_y
      - .offset:         54
        .size:           2
        .value_kind:     hidden_remainder_z
      - .offset:         72
        .size:           8
        .value_kind:     hidden_global_offset_x
      - .offset:         80
        .size:           8
        .value_kind:     hidden_global_offset_y
      - .offset:         88
        .size:           8
        .value_kind:     hidden_global_offset_z
      - .offset:         96
        .size:           2
        .value_kind:     hidden_grid_dims
    .group_segment_fixed_size: 8192
    .kernarg_segment_align: 8
    .kernarg_segment_size: 288
    .language:       OpenCL C
    .language_version:
      - 2
      - 0
    .max_flat_workgroup_size: 256
    .name:           _ZN9rocsparseL26bsrgemm_group_reduce_part2ILj256ELj8ELj8EdliEEvT4_PKT3_PS1_Pi
    .private_segment_fixed_size: 0
    .sgpr_count:     38
    .sgpr_spill_count: 0
    .symbol:         _ZN9rocsparseL26bsrgemm_group_reduce_part2ILj256ELj8ELj8EdliEEvT4_PKT3_PS1_Pi.kd
    .uniform_work_group_size: 1
    .uses_dynamic_stack: false
    .vgpr_count:     20
    .vgpr_spill_count: 0
    .wavefront_size: 64
  - .agpr_count:     0
    .args:
      - .offset:         0
        .size:           4
        .value_kind:     by_value
      - .offset:         4
        .size:           4
        .value_kind:     by_value
      - .offset:         8
        .size:           4
        .value_kind:     by_value
      - .actual_access:  read_only
        .address_space:  global
        .offset:         16
        .size:           8
        .value_kind:     global_buffer
      - .actual_access:  read_only
        .address_space:  global
        .offset:         24
        .size:           8
        .value_kind:     global_buffer
      - .offset:         32
        .size:           8
        .value_kind:     by_value
      - .actual_access:  read_only
        .address_space:  global
        .offset:         40
        .size:           8
        .value_kind:     global_buffer
      - .actual_access:  read_only
        .address_space:  global
        .offset:         48
        .size:           8
        .value_kind:     global_buffer
      - .actual_access:  read_only
        .address_space:  global
        .offset:         56
        .size:           8
        .value_kind:     global_buffer
      - .actual_access:  read_only
        .address_space:  global
        .offset:         64
        .size:           8
        .value_kind:     global_buffer
      - .actual_access:  read_only
        .address_space:  global
        .offset:         72
        .size:           8
        .value_kind:     global_buffer
      - .actual_access:  read_only
        .address_space:  global
        .offset:         80
        .size:           8
        .value_kind:     global_buffer
      - .offset:         88
        .size:           8
        .value_kind:     by_value
      - .actual_access:  read_only
        .address_space:  global
        .offset:         96
        .size:           8
        .value_kind:     global_buffer
      - .actual_access:  read_only
        .address_space:  global
        .offset:         104
        .size:           8
        .value_kind:     global_buffer
      - .actual_access:  read_only
        .address_space:  global
        .offset:         112
        .size:           8
        .value_kind:     global_buffer
      - .actual_access:  read_only
        .address_space:  global
        .offset:         120
        .size:           8
        .value_kind:     global_buffer
      - .actual_access:  write_only
        .address_space:  global
        .offset:         128
        .size:           8
        .value_kind:     global_buffer
      - .actual_access:  write_only
        .address_space:  global
        .offset:         136
        .size:           8
        .value_kind:     global_buffer
      - .offset:         144
        .size:           4
        .value_kind:     by_value
      - .offset:         148
        .size:           4
        .value_kind:     by_value
      - .offset:         152
        .size:           4
        .value_kind:     by_value
      - .offset:         156
        .size:           4
        .value_kind:     by_value
      - .offset:         160
        .size:           1
        .value_kind:     by_value
      - .offset:         161
        .size:           1
        .value_kind:     by_value
      - .offset:         162
        .size:           1
        .value_kind:     by_value
    .group_segment_fixed_size: 4608
    .kernarg_segment_align: 8
    .kernarg_segment_size: 164
    .language:       OpenCL C
    .language_version:
      - 2
      - 0
    .max_flat_workgroup_size: 256
    .name:           _ZN9rocsparseL27bsrgemm_fill_wf_per_row_2x2ILj256ELj16ELj8ELj137ElidEEv20rocsparse_direction_T4_S2_PKS2_S4_NS_24const_host_device_scalarIT5_EEPKT3_S4_PKS6_SA_S4_SC_S7_SA_S4_SC_SA_PS2_PS6_21rocsparse_index_base_SF_SF_SF_bbb
    .private_segment_fixed_size: 0
    .sgpr_count:     61
    .sgpr_spill_count: 0
    .symbol:         _ZN9rocsparseL27bsrgemm_fill_wf_per_row_2x2ILj256ELj16ELj8ELj137ElidEEv20rocsparse_direction_T4_S2_PKS2_S4_NS_24const_host_device_scalarIT5_EEPKT3_S4_PKS6_SA_S4_SC_S7_SA_S4_SC_SA_PS2_PS6_21rocsparse_index_base_SF_SF_SF_bbb.kd
    .uniform_work_group_size: 1
    .uses_dynamic_stack: false
    .vgpr_count:     45
    .vgpr_spill_count: 0
    .wavefront_size: 64
  - .agpr_count:     0
    .args:
      - .offset:         0
        .size:           4
        .value_kind:     by_value
      - .offset:         4
        .size:           4
        .value_kind:     by_value
      - .offset:         8
        .size:           4
        .value_kind:     by_value
      - .actual_access:  read_only
        .address_space:  global
        .offset:         16
        .size:           8
        .value_kind:     global_buffer
      - .actual_access:  read_only
        .address_space:  global
        .offset:         24
        .size:           8
        .value_kind:     global_buffer
      - .offset:         32
        .size:           8
        .value_kind:     by_value
      - .actual_access:  read_only
        .address_space:  global
        .offset:         40
        .size:           8
        .value_kind:     global_buffer
      - .actual_access:  read_only
        .address_space:  global
        .offset:         48
        .size:           8
        .value_kind:     global_buffer
      - .actual_access:  read_only
        .address_space:  global
        .offset:         56
        .size:           8
        .value_kind:     global_buffer
      - .actual_access:  read_only
        .address_space:  global
        .offset:         64
        .size:           8
        .value_kind:     global_buffer
      - .actual_access:  read_only
        .address_space:  global
        .offset:         72
        .size:           8
        .value_kind:     global_buffer
      - .actual_access:  read_only
        .address_space:  global
        .offset:         80
        .size:           8
        .value_kind:     global_buffer
      - .offset:         88
        .size:           8
        .value_kind:     by_value
      - .actual_access:  read_only
        .address_space:  global
        .offset:         96
        .size:           8
        .value_kind:     global_buffer
      - .actual_access:  read_only
        .address_space:  global
        .offset:         104
        .size:           8
        .value_kind:     global_buffer
      - .actual_access:  read_only
        .address_space:  global
        .offset:         112
        .size:           8
        .value_kind:     global_buffer
      - .actual_access:  read_only
        .address_space:  global
        .offset:         120
        .size:           8
        .value_kind:     global_buffer
      - .actual_access:  write_only
        .address_space:  global
        .offset:         128
        .size:           8
        .value_kind:     global_buffer
      - .actual_access:  write_only
        .address_space:  global
        .offset:         136
        .size:           8
        .value_kind:     global_buffer
      - .offset:         144
        .size:           4
        .value_kind:     by_value
      - .offset:         148
        .size:           4
        .value_kind:     by_value
      - .offset:         152
        .size:           4
        .value_kind:     by_value
      - .offset:         156
        .size:           4
        .value_kind:     by_value
      - .offset:         160
        .size:           1
        .value_kind:     by_value
      - .offset:         161
        .size:           1
        .value_kind:     by_value
      - .offset:         162
        .size:           1
        .value_kind:     by_value
    .group_segment_fixed_size: 9216
    .kernarg_segment_align: 8
    .kernarg_segment_size: 164
    .language:       OpenCL C
    .language_version:
      - 2
      - 0
    .max_flat_workgroup_size: 256
    .name:           _ZN9rocsparseL27bsrgemm_fill_wf_per_row_2x2ILj256ELj16ELj16ELj137ElidEEv20rocsparse_direction_T4_S2_PKS2_S4_NS_24const_host_device_scalarIT5_EEPKT3_S4_PKS6_SA_S4_SC_S7_SA_S4_SC_SA_PS2_PS6_21rocsparse_index_base_SF_SF_SF_bbb
    .private_segment_fixed_size: 0
    .sgpr_count:     59
    .sgpr_spill_count: 0
    .symbol:         _ZN9rocsparseL27bsrgemm_fill_wf_per_row_2x2ILj256ELj16ELj16ELj137ElidEEv20rocsparse_direction_T4_S2_PKS2_S4_NS_24const_host_device_scalarIT5_EEPKT3_S4_PKS6_SA_S4_SC_S7_SA_S4_SC_SA_PS2_PS6_21rocsparse_index_base_SF_SF_SF_bbb.kd
    .uniform_work_group_size: 1
    .uses_dynamic_stack: false
    .vgpr_count:     46
    .vgpr_spill_count: 0
    .wavefront_size: 64
  - .agpr_count:     0
    .args:
      - .offset:         0
        .size:           4
        .value_kind:     by_value
      - .offset:         4
        .size:           4
        .value_kind:     by_value
      - .offset:         8
        .size:           4
        .value_kind:     by_value
      - .actual_access:  read_only
        .address_space:  global
        .offset:         16
        .size:           8
        .value_kind:     global_buffer
      - .actual_access:  read_only
        .address_space:  global
        .offset:         24
        .size:           8
        .value_kind:     global_buffer
      - .offset:         32
        .size:           8
        .value_kind:     by_value
      - .actual_access:  read_only
        .address_space:  global
        .offset:         40
        .size:           8
        .value_kind:     global_buffer
      - .actual_access:  read_only
        .address_space:  global
        .offset:         48
        .size:           8
        .value_kind:     global_buffer
      - .actual_access:  read_only
        .address_space:  global
        .offset:         56
        .size:           8
        .value_kind:     global_buffer
      - .actual_access:  read_only
        .address_space:  global
        .offset:         64
        .size:           8
        .value_kind:     global_buffer
      - .actual_access:  read_only
        .address_space:  global
        .offset:         72
        .size:           8
        .value_kind:     global_buffer
      - .actual_access:  read_only
        .address_space:  global
        .offset:         80
        .size:           8
        .value_kind:     global_buffer
      - .offset:         88
        .size:           8
        .value_kind:     by_value
      - .actual_access:  read_only
        .address_space:  global
        .offset:         96
        .size:           8
        .value_kind:     global_buffer
      - .actual_access:  read_only
        .address_space:  global
        .offset:         104
        .size:           8
        .value_kind:     global_buffer
      - .actual_access:  read_only
        .address_space:  global
        .offset:         112
        .size:           8
        .value_kind:     global_buffer
      - .actual_access:  read_only
        .address_space:  global
        .offset:         120
        .size:           8
        .value_kind:     global_buffer
      - .actual_access:  write_only
        .address_space:  global
        .offset:         128
        .size:           8
        .value_kind:     global_buffer
      - .actual_access:  write_only
        .address_space:  global
        .offset:         136
        .size:           8
        .value_kind:     global_buffer
      - .offset:         144
        .size:           4
        .value_kind:     by_value
      - .offset:         148
        .size:           4
        .value_kind:     by_value
      - .offset:         152
        .size:           4
        .value_kind:     by_value
      - .offset:         156
        .size:           4
        .value_kind:     by_value
      - .offset:         160
        .size:           1
        .value_kind:     by_value
      - .offset:         161
        .size:           1
        .value_kind:     by_value
      - .offset:         162
        .size:           1
        .value_kind:     by_value
    .group_segment_fixed_size: 18432
    .kernarg_segment_align: 8
    .kernarg_segment_size: 164
    .language:       OpenCL C
    .language_version:
      - 2
      - 0
    .max_flat_workgroup_size: 256
    .name:           _ZN9rocsparseL27bsrgemm_fill_wf_per_row_2x2ILj256ELj16ELj32ELj137ElidEEv20rocsparse_direction_T4_S2_PKS2_S4_NS_24const_host_device_scalarIT5_EEPKT3_S4_PKS6_SA_S4_SC_S7_SA_S4_SC_SA_PS2_PS6_21rocsparse_index_base_SF_SF_SF_bbb
    .private_segment_fixed_size: 0
    .sgpr_count:     59
    .sgpr_spill_count: 0
    .symbol:         _ZN9rocsparseL27bsrgemm_fill_wf_per_row_2x2ILj256ELj16ELj32ELj137ElidEEv20rocsparse_direction_T4_S2_PKS2_S4_NS_24const_host_device_scalarIT5_EEPKT3_S4_PKS6_SA_S4_SC_S7_SA_S4_SC_SA_PS2_PS6_21rocsparse_index_base_SF_SF_SF_bbb.kd
    .uniform_work_group_size: 1
    .uses_dynamic_stack: false
    .vgpr_count:     47
    .vgpr_spill_count: 0
    .wavefront_size: 64
  - .agpr_count:     0
    .args:
      - .offset:         0
        .size:           4
        .value_kind:     by_value
      - .offset:         4
        .size:           4
        .value_kind:     by_value
      - .offset:         8
        .size:           4
        .value_kind:     by_value
      - .actual_access:  read_only
        .address_space:  global
        .offset:         16
        .size:           8
        .value_kind:     global_buffer
      - .actual_access:  read_only
        .address_space:  global
        .offset:         24
        .size:           8
        .value_kind:     global_buffer
      - .offset:         32
        .size:           8
        .value_kind:     by_value
      - .actual_access:  read_only
        .address_space:  global
        .offset:         40
        .size:           8
        .value_kind:     global_buffer
      - .actual_access:  read_only
        .address_space:  global
        .offset:         48
        .size:           8
        .value_kind:     global_buffer
      - .actual_access:  read_only
        .address_space:  global
        .offset:         56
        .size:           8
        .value_kind:     global_buffer
      - .actual_access:  read_only
        .address_space:  global
        .offset:         64
        .size:           8
        .value_kind:     global_buffer
      - .actual_access:  read_only
        .address_space:  global
        .offset:         72
        .size:           8
        .value_kind:     global_buffer
      - .actual_access:  read_only
        .address_space:  global
        .offset:         80
        .size:           8
        .value_kind:     global_buffer
      - .offset:         88
        .size:           8
        .value_kind:     by_value
      - .actual_access:  read_only
        .address_space:  global
        .offset:         96
        .size:           8
        .value_kind:     global_buffer
      - .actual_access:  read_only
        .address_space:  global
        .offset:         104
        .size:           8
        .value_kind:     global_buffer
      - .actual_access:  read_only
        .address_space:  global
        .offset:         112
        .size:           8
        .value_kind:     global_buffer
      - .actual_access:  read_only
        .address_space:  global
        .offset:         120
        .size:           8
        .value_kind:     global_buffer
      - .actual_access:  write_only
        .address_space:  global
        .offset:         128
        .size:           8
        .value_kind:     global_buffer
      - .actual_access:  write_only
        .address_space:  global
        .offset:         136
        .size:           8
        .value_kind:     global_buffer
      - .offset:         144
        .size:           4
        .value_kind:     by_value
      - .offset:         148
        .size:           4
        .value_kind:     by_value
      - .offset:         152
        .size:           4
        .value_kind:     by_value
      - .offset:         156
        .size:           4
        .value_kind:     by_value
      - .offset:         160
        .size:           1
        .value_kind:     by_value
      - .offset:         161
        .size:           1
        .value_kind:     by_value
      - .offset:         162
        .size:           1
        .value_kind:     by_value
    .group_segment_fixed_size: 0
    .kernarg_segment_align: 8
    .kernarg_segment_size: 164
    .language:       OpenCL C
    .language_version:
      - 2
      - 0
    .max_flat_workgroup_size: 256
    .name:           _ZN9rocsparseL30bsrgemm_fill_block_per_row_2x2ILj256ELj16ELj64ELj137ElidEEv20rocsparse_direction_T4_S2_PKS2_S4_NS_24const_host_device_scalarIT5_EEPKT3_S4_PKS6_SA_S4_SC_S7_SA_S4_SC_SA_PS2_PS6_21rocsparse_index_base_SF_SF_SF_bbb
    .private_segment_fixed_size: 0
    .sgpr_count:     54
    .sgpr_spill_count: 0
    .symbol:         _ZN9rocsparseL30bsrgemm_fill_block_per_row_2x2ILj256ELj16ELj64ELj137ElidEEv20rocsparse_direction_T4_S2_PKS2_S4_NS_24const_host_device_scalarIT5_EEPKT3_S4_PKS6_SA_S4_SC_S7_SA_S4_SC_SA_PS2_PS6_21rocsparse_index_base_SF_SF_SF_bbb.kd
    .uniform_work_group_size: 1
    .uses_dynamic_stack: false
    .vgpr_count:     42
    .vgpr_spill_count: 0
    .wavefront_size: 64
  - .agpr_count:     0
    .args:
      - .offset:         0
        .size:           4
        .value_kind:     by_value
      - .offset:         4
        .size:           4
        .value_kind:     by_value
      - .offset:         8
        .size:           4
        .value_kind:     by_value
      - .actual_access:  read_only
        .address_space:  global
        .offset:         16
        .size:           8
        .value_kind:     global_buffer
      - .actual_access:  read_only
        .address_space:  global
        .offset:         24
        .size:           8
        .value_kind:     global_buffer
      - .offset:         32
        .size:           8
        .value_kind:     by_value
      - .actual_access:  read_only
        .address_space:  global
        .offset:         40
        .size:           8
        .value_kind:     global_buffer
      - .actual_access:  read_only
        .address_space:  global
        .offset:         48
        .size:           8
        .value_kind:     global_buffer
      - .actual_access:  read_only
        .address_space:  global
        .offset:         56
        .size:           8
        .value_kind:     global_buffer
      - .actual_access:  read_only
        .address_space:  global
        .offset:         64
        .size:           8
        .value_kind:     global_buffer
      - .actual_access:  read_only
        .address_space:  global
        .offset:         72
        .size:           8
        .value_kind:     global_buffer
      - .actual_access:  read_only
        .address_space:  global
        .offset:         80
        .size:           8
        .value_kind:     global_buffer
      - .offset:         88
        .size:           8
        .value_kind:     by_value
      - .actual_access:  read_only
        .address_space:  global
        .offset:         96
        .size:           8
        .value_kind:     global_buffer
      - .actual_access:  read_only
        .address_space:  global
        .offset:         104
        .size:           8
        .value_kind:     global_buffer
      - .actual_access:  read_only
        .address_space:  global
        .offset:         112
        .size:           8
        .value_kind:     global_buffer
      - .actual_access:  read_only
        .address_space:  global
        .offset:         120
        .size:           8
        .value_kind:     global_buffer
      - .actual_access:  write_only
        .address_space:  global
        .offset:         128
        .size:           8
        .value_kind:     global_buffer
      - .actual_access:  write_only
        .address_space:  global
        .offset:         136
        .size:           8
        .value_kind:     global_buffer
      - .offset:         144
        .size:           4
        .value_kind:     by_value
      - .offset:         148
        .size:           4
        .value_kind:     by_value
      - .offset:         152
        .size:           4
        .value_kind:     by_value
      - .offset:         156
        .size:           4
        .value_kind:     by_value
      - .offset:         160
        .size:           1
        .value_kind:     by_value
      - .offset:         161
        .size:           1
        .value_kind:     by_value
      - .offset:         162
        .size:           1
        .value_kind:     by_value
    .group_segment_fixed_size: 0
    .kernarg_segment_align: 8
    .kernarg_segment_size: 164
    .language:       OpenCL C
    .language_version:
      - 2
      - 0
    .max_flat_workgroup_size: 256
    .name:           _ZN9rocsparseL30bsrgemm_fill_block_per_row_2x2ILj256ELj16ELj128ELj137ElidEEv20rocsparse_direction_T4_S2_PKS2_S4_NS_24const_host_device_scalarIT5_EEPKT3_S4_PKS6_SA_S4_SC_S7_SA_S4_SC_SA_PS2_PS6_21rocsparse_index_base_SF_SF_SF_bbb
    .private_segment_fixed_size: 0
    .sgpr_count:     64
    .sgpr_spill_count: 0
    .symbol:         _ZN9rocsparseL30bsrgemm_fill_block_per_row_2x2ILj256ELj16ELj128ELj137ElidEEv20rocsparse_direction_T4_S2_PKS2_S4_NS_24const_host_device_scalarIT5_EEPKT3_S4_PKS6_SA_S4_SC_S7_SA_S4_SC_SA_PS2_PS6_21rocsparse_index_base_SF_SF_SF_bbb.kd
    .uniform_work_group_size: 1
    .uses_dynamic_stack: false
    .vgpr_count:     42
    .vgpr_spill_count: 0
    .wavefront_size: 64
  - .agpr_count:     0
    .args:
      - .offset:         0
        .size:           4
        .value_kind:     by_value
      - .offset:         4
        .size:           4
        .value_kind:     by_value
      - .offset:         8
        .size:           4
        .value_kind:     by_value
      - .actual_access:  read_only
        .address_space:  global
        .offset:         16
        .size:           8
        .value_kind:     global_buffer
      - .actual_access:  read_only
        .address_space:  global
        .offset:         24
        .size:           8
        .value_kind:     global_buffer
      - .offset:         32
        .size:           8
        .value_kind:     by_value
      - .actual_access:  read_only
        .address_space:  global
        .offset:         40
        .size:           8
        .value_kind:     global_buffer
      - .actual_access:  read_only
        .address_space:  global
        .offset:         48
        .size:           8
        .value_kind:     global_buffer
      - .actual_access:  read_only
        .address_space:  global
        .offset:         56
        .size:           8
        .value_kind:     global_buffer
      - .actual_access:  read_only
        .address_space:  global
        .offset:         64
        .size:           8
        .value_kind:     global_buffer
      - .actual_access:  read_only
        .address_space:  global
        .offset:         72
        .size:           8
        .value_kind:     global_buffer
      - .actual_access:  read_only
        .address_space:  global
        .offset:         80
        .size:           8
        .value_kind:     global_buffer
      - .offset:         88
        .size:           8
        .value_kind:     by_value
      - .actual_access:  read_only
        .address_space:  global
        .offset:         96
        .size:           8
        .value_kind:     global_buffer
      - .actual_access:  read_only
        .address_space:  global
        .offset:         104
        .size:           8
        .value_kind:     global_buffer
      - .actual_access:  read_only
        .address_space:  global
        .offset:         112
        .size:           8
        .value_kind:     global_buffer
      - .actual_access:  read_only
        .address_space:  global
        .offset:         120
        .size:           8
        .value_kind:     global_buffer
      - .actual_access:  write_only
        .address_space:  global
        .offset:         128
        .size:           8
        .value_kind:     global_buffer
      - .actual_access:  write_only
        .address_space:  global
        .offset:         136
        .size:           8
        .value_kind:     global_buffer
      - .offset:         144
        .size:           4
        .value_kind:     by_value
      - .offset:         148
        .size:           4
        .value_kind:     by_value
      - .offset:         152
        .size:           4
        .value_kind:     by_value
      - .offset:         156
        .size:           4
        .value_kind:     by_value
      - .offset:         160
        .size:           1
        .value_kind:     by_value
      - .offset:         161
        .size:           1
        .value_kind:     by_value
      - .offset:         162
        .size:           1
        .value_kind:     by_value
    .group_segment_fixed_size: 0
    .kernarg_segment_align: 8
    .kernarg_segment_size: 164
    .language:       OpenCL C
    .language_version:
      - 2
      - 0
    .max_flat_workgroup_size: 256
    .name:           _ZN9rocsparseL30bsrgemm_fill_block_per_row_2x2ILj256ELj16ELj256ELj137ElidEEv20rocsparse_direction_T4_S2_PKS2_S4_NS_24const_host_device_scalarIT5_EEPKT3_S4_PKS6_SA_S4_SC_S7_SA_S4_SC_SA_PS2_PS6_21rocsparse_index_base_SF_SF_SF_bbb
    .private_segment_fixed_size: 0
    .sgpr_count:     64
    .sgpr_spill_count: 0
    .symbol:         _ZN9rocsparseL30bsrgemm_fill_block_per_row_2x2ILj256ELj16ELj256ELj137ElidEEv20rocsparse_direction_T4_S2_PKS2_S4_NS_24const_host_device_scalarIT5_EEPKT3_S4_PKS6_SA_S4_SC_S7_SA_S4_SC_SA_PS2_PS6_21rocsparse_index_base_SF_SF_SF_bbb.kd
    .uniform_work_group_size: 1
    .uses_dynamic_stack: false
    .vgpr_count:     42
    .vgpr_spill_count: 0
    .wavefront_size: 64
  - .agpr_count:     0
    .args:
      - .offset:         0
        .size:           4
        .value_kind:     by_value
      - .offset:         4
        .size:           4
        .value_kind:     by_value
      - .offset:         8
        .size:           4
        .value_kind:     by_value
      - .actual_access:  read_only
        .address_space:  global
        .offset:         16
        .size:           8
        .value_kind:     global_buffer
      - .actual_access:  read_only
        .address_space:  global
        .offset:         24
        .size:           8
        .value_kind:     global_buffer
      - .offset:         32
        .size:           8
        .value_kind:     by_value
      - .actual_access:  read_only
        .address_space:  global
        .offset:         40
        .size:           8
        .value_kind:     global_buffer
      - .actual_access:  read_only
        .address_space:  global
        .offset:         48
        .size:           8
        .value_kind:     global_buffer
      - .actual_access:  read_only
        .address_space:  global
        .offset:         56
        .size:           8
        .value_kind:     global_buffer
      - .actual_access:  read_only
        .address_space:  global
        .offset:         64
        .size:           8
        .value_kind:     global_buffer
      - .actual_access:  read_only
        .address_space:  global
        .offset:         72
        .size:           8
        .value_kind:     global_buffer
      - .actual_access:  read_only
        .address_space:  global
        .offset:         80
        .size:           8
        .value_kind:     global_buffer
      - .offset:         88
        .size:           8
        .value_kind:     by_value
      - .actual_access:  read_only
        .address_space:  global
        .offset:         96
        .size:           8
        .value_kind:     global_buffer
      - .actual_access:  read_only
        .address_space:  global
        .offset:         104
        .size:           8
        .value_kind:     global_buffer
      - .actual_access:  read_only
        .address_space:  global
        .offset:         112
        .size:           8
        .value_kind:     global_buffer
      - .actual_access:  read_only
        .address_space:  global
        .offset:         120
        .size:           8
        .value_kind:     global_buffer
      - .actual_access:  write_only
        .address_space:  global
        .offset:         128
        .size:           8
        .value_kind:     global_buffer
      - .actual_access:  write_only
        .address_space:  global
        .offset:         136
        .size:           8
        .value_kind:     global_buffer
      - .offset:         144
        .size:           4
        .value_kind:     by_value
      - .offset:         148
        .size:           4
        .value_kind:     by_value
      - .offset:         152
        .size:           4
        .value_kind:     by_value
      - .offset:         156
        .size:           4
        .value_kind:     by_value
      - .offset:         160
        .size:           1
        .value_kind:     by_value
      - .offset:         161
        .size:           1
        .value_kind:     by_value
      - .offset:         162
        .size:           1
        .value_kind:     by_value
    .group_segment_fixed_size: 0
    .kernarg_segment_align: 8
    .kernarg_segment_size: 164
    .language:       OpenCL C
    .language_version:
      - 2
      - 0
    .max_flat_workgroup_size: 256
    .name:           _ZN9rocsparseL30bsrgemm_fill_block_per_row_2x2ILj256ELj16ELj512ELj137ElidEEv20rocsparse_direction_T4_S2_PKS2_S4_NS_24const_host_device_scalarIT5_EEPKT3_S4_PKS6_SA_S4_SC_S7_SA_S4_SC_SA_PS2_PS6_21rocsparse_index_base_SF_SF_SF_bbb
    .private_segment_fixed_size: 0
    .sgpr_count:     64
    .sgpr_spill_count: 0
    .symbol:         _ZN9rocsparseL30bsrgemm_fill_block_per_row_2x2ILj256ELj16ELj512ELj137ElidEEv20rocsparse_direction_T4_S2_PKS2_S4_NS_24const_host_device_scalarIT5_EEPKT3_S4_PKS6_SA_S4_SC_S7_SA_S4_SC_SA_PS2_PS6_21rocsparse_index_base_SF_SF_SF_bbb.kd
    .uniform_work_group_size: 1
    .uses_dynamic_stack: false
    .vgpr_count:     40
    .vgpr_spill_count: 0
    .wavefront_size: 64
  - .agpr_count:     0
    .args:
      - .offset:         0
        .size:           4
        .value_kind:     by_value
      - .offset:         4
        .size:           4
        .value_kind:     by_value
      - .offset:         8
        .size:           4
        .value_kind:     by_value
      - .actual_access:  read_only
        .address_space:  global
        .offset:         16
        .size:           8
        .value_kind:     global_buffer
      - .actual_access:  read_only
        .address_space:  global
        .offset:         24
        .size:           8
        .value_kind:     global_buffer
      - .offset:         32
        .size:           8
        .value_kind:     by_value
      - .actual_access:  read_only
        .address_space:  global
        .offset:         40
        .size:           8
        .value_kind:     global_buffer
      - .actual_access:  read_only
        .address_space:  global
        .offset:         48
        .size:           8
        .value_kind:     global_buffer
      - .actual_access:  read_only
        .address_space:  global
        .offset:         56
        .size:           8
        .value_kind:     global_buffer
      - .actual_access:  read_only
        .address_space:  global
        .offset:         64
        .size:           8
        .value_kind:     global_buffer
      - .actual_access:  read_only
        .address_space:  global
        .offset:         72
        .size:           8
        .value_kind:     global_buffer
      - .actual_access:  read_only
        .address_space:  global
        .offset:         80
        .size:           8
        .value_kind:     global_buffer
      - .offset:         88
        .size:           8
        .value_kind:     by_value
      - .actual_access:  read_only
        .address_space:  global
        .offset:         96
        .size:           8
        .value_kind:     global_buffer
      - .actual_access:  read_only
        .address_space:  global
        .offset:         104
        .size:           8
        .value_kind:     global_buffer
      - .actual_access:  read_only
        .address_space:  global
        .offset:         112
        .size:           8
        .value_kind:     global_buffer
      - .actual_access:  read_only
        .address_space:  global
        .offset:         120
        .size:           8
        .value_kind:     global_buffer
      - .actual_access:  write_only
        .address_space:  global
        .offset:         128
        .size:           8
        .value_kind:     global_buffer
      - .actual_access:  write_only
        .address_space:  global
        .offset:         136
        .size:           8
        .value_kind:     global_buffer
      - .address_space:  global
        .offset:         144
        .size:           8
        .value_kind:     global_buffer
      - .offset:         152
        .size:           4
        .value_kind:     by_value
      - .offset:         156
        .size:           4
        .value_kind:     by_value
      - .offset:         160
        .size:           4
        .value_kind:     by_value
      - .offset:         164
        .size:           4
        .value_kind:     by_value
      - .offset:         168
        .size:           1
        .value_kind:     by_value
      - .offset:         169
        .size:           1
        .value_kind:     by_value
      - .offset:         170
        .size:           1
        .value_kind:     by_value
    .group_segment_fixed_size: 11272
    .kernarg_segment_align: 8
    .kernarg_segment_size: 172
    .language:       OpenCL C
    .language_version:
      - 2
      - 0
    .max_flat_workgroup_size: 256
    .name:           _ZN9rocsparseL38bsrgemm_block_per_row_atomic_multipassILj256ELj256ELj2ElidEEv20rocsparse_direction_T3_S2_PKS2_S4_NS_24const_host_device_scalarIT4_EEPKT2_S4_PKS6_SA_S4_SC_S7_SA_S4_SC_SA_PS2_PS6_PS8_21rocsparse_index_base_SG_SG_SG_bbb
    .private_segment_fixed_size: 0
    .sgpr_count:     100
    .sgpr_spill_count: 0
    .symbol:         _ZN9rocsparseL38bsrgemm_block_per_row_atomic_multipassILj256ELj256ELj2ElidEEv20rocsparse_direction_T3_S2_PKS2_S4_NS_24const_host_device_scalarIT4_EEPKT2_S4_PKS6_SA_S4_SC_S7_SA_S4_SC_SA_PS2_PS6_PS8_21rocsparse_index_base_SG_SG_SG_bbb.kd
    .uniform_work_group_size: 1
    .uses_dynamic_stack: false
    .vgpr_count:     67
    .vgpr_spill_count: 0
    .wavefront_size: 64
  - .agpr_count:     0
    .args:
      - .offset:         0
        .size:           4
        .value_kind:     by_value
      - .offset:         4
        .size:           4
        .value_kind:     by_value
      - .offset:         8
        .size:           4
        .value_kind:     by_value
      - .offset:         12
        .size:           4
        .value_kind:     by_value
      - .actual_access:  read_only
        .address_space:  global
        .offset:         16
        .size:           8
        .value_kind:     global_buffer
      - .actual_access:  read_only
        .address_space:  global
        .offset:         24
        .size:           8
        .value_kind:     global_buffer
      - .offset:         32
        .size:           8
        .value_kind:     by_value
      - .actual_access:  read_only
        .address_space:  global
        .offset:         40
        .size:           8
        .value_kind:     global_buffer
      - .actual_access:  read_only
        .address_space:  global
        .offset:         48
        .size:           8
        .value_kind:     global_buffer
      - .actual_access:  read_only
        .address_space:  global
        .offset:         56
        .size:           8
        .value_kind:     global_buffer
      - .actual_access:  read_only
        .address_space:  global
        .offset:         64
        .size:           8
        .value_kind:     global_buffer
      - .actual_access:  read_only
        .address_space:  global
        .offset:         72
        .size:           8
        .value_kind:     global_buffer
      - .actual_access:  read_only
        .address_space:  global
        .offset:         80
        .size:           8
        .value_kind:     global_buffer
      - .offset:         88
        .size:           8
        .value_kind:     by_value
      - .actual_access:  read_only
        .address_space:  global
        .offset:         96
        .size:           8
        .value_kind:     global_buffer
      - .actual_access:  read_only
        .address_space:  global
        .offset:         104
        .size:           8
        .value_kind:     global_buffer
      - .actual_access:  read_only
        .address_space:  global
        .offset:         112
        .size:           8
        .value_kind:     global_buffer
      - .actual_access:  read_only
        .address_space:  global
        .offset:         120
        .size:           8
        .value_kind:     global_buffer
      - .actual_access:  write_only
        .address_space:  global
        .offset:         128
        .size:           8
        .value_kind:     global_buffer
      - .actual_access:  write_only
        .address_space:  global
        .offset:         136
        .size:           8
        .value_kind:     global_buffer
      - .offset:         144
        .size:           4
        .value_kind:     by_value
      - .offset:         148
        .size:           4
        .value_kind:     by_value
      - .offset:         152
        .size:           4
        .value_kind:     by_value
      - .offset:         156
        .size:           4
        .value_kind:     by_value
      - .offset:         160
        .size:           1
        .value_kind:     by_value
      - .offset:         161
        .size:           1
        .value_kind:     by_value
      - .offset:         162
        .size:           1
        .value_kind:     by_value
    .group_segment_fixed_size: 4224
    .kernarg_segment_align: 8
    .kernarg_segment_size: 164
    .language:       OpenCL C
    .language_version:
      - 2
      - 0
    .max_flat_workgroup_size: 256
    .name:           _ZN9rocsparseL23bsrgemm_fill_wf_per_rowILj256ELj64ELj8ELj137ELj4ElidEEv20rocsparse_direction_T5_S2_S2_PKS2_S4_NS_24const_host_device_scalarIT6_EEPKT4_S4_PKS6_SA_S4_SC_S7_SA_S4_SC_SA_PS2_PS6_21rocsparse_index_base_SF_SF_SF_bbb
    .private_segment_fixed_size: 0
    .sgpr_count:     70
    .sgpr_spill_count: 0
    .symbol:         _ZN9rocsparseL23bsrgemm_fill_wf_per_rowILj256ELj64ELj8ELj137ELj4ElidEEv20rocsparse_direction_T5_S2_S2_PKS2_S4_NS_24const_host_device_scalarIT6_EEPKT4_S4_PKS6_SA_S4_SC_S7_SA_S4_SC_SA_PS2_PS6_21rocsparse_index_base_SF_SF_SF_bbb.kd
    .uniform_work_group_size: 1
    .uses_dynamic_stack: false
    .vgpr_count:     48
    .vgpr_spill_count: 0
    .wavefront_size: 64
  - .agpr_count:     0
    .args:
      - .offset:         0
        .size:           4
        .value_kind:     by_value
      - .offset:         4
        .size:           4
        .value_kind:     by_value
      - .offset:         8
        .size:           4
        .value_kind:     by_value
      - .offset:         12
        .size:           4
        .value_kind:     by_value
      - .actual_access:  read_only
        .address_space:  global
        .offset:         16
        .size:           8
        .value_kind:     global_buffer
      - .actual_access:  read_only
        .address_space:  global
        .offset:         24
        .size:           8
        .value_kind:     global_buffer
      - .offset:         32
        .size:           8
        .value_kind:     by_value
      - .actual_access:  read_only
        .address_space:  global
        .offset:         40
        .size:           8
        .value_kind:     global_buffer
      - .actual_access:  read_only
        .address_space:  global
        .offset:         48
        .size:           8
        .value_kind:     global_buffer
      - .actual_access:  read_only
        .address_space:  global
        .offset:         56
        .size:           8
        .value_kind:     global_buffer
      - .actual_access:  read_only
        .address_space:  global
        .offset:         64
        .size:           8
        .value_kind:     global_buffer
      - .actual_access:  read_only
        .address_space:  global
        .offset:         72
        .size:           8
        .value_kind:     global_buffer
      - .actual_access:  read_only
        .address_space:  global
        .offset:         80
        .size:           8
        .value_kind:     global_buffer
      - .offset:         88
        .size:           8
        .value_kind:     by_value
      - .actual_access:  read_only
        .address_space:  global
        .offset:         96
        .size:           8
        .value_kind:     global_buffer
      - .actual_access:  read_only
        .address_space:  global
        .offset:         104
        .size:           8
        .value_kind:     global_buffer
      - .actual_access:  read_only
        .address_space:  global
        .offset:         112
        .size:           8
        .value_kind:     global_buffer
      - .actual_access:  read_only
        .address_space:  global
        .offset:         120
        .size:           8
        .value_kind:     global_buffer
      - .actual_access:  write_only
        .address_space:  global
        .offset:         128
        .size:           8
        .value_kind:     global_buffer
      - .actual_access:  write_only
        .address_space:  global
        .offset:         136
        .size:           8
        .value_kind:     global_buffer
      - .offset:         144
        .size:           4
        .value_kind:     by_value
      - .offset:         148
        .size:           4
        .value_kind:     by_value
      - .offset:         152
        .size:           4
        .value_kind:     by_value
      - .offset:         156
        .size:           4
        .value_kind:     by_value
      - .offset:         160
        .size:           1
        .value_kind:     by_value
      - .offset:         161
        .size:           1
        .value_kind:     by_value
      - .offset:         162
        .size:           1
        .value_kind:     by_value
    .group_segment_fixed_size: 8448
    .kernarg_segment_align: 8
    .kernarg_segment_size: 164
    .language:       OpenCL C
    .language_version:
      - 2
      - 0
    .max_flat_workgroup_size: 256
    .name:           _ZN9rocsparseL23bsrgemm_fill_wf_per_rowILj256ELj64ELj16ELj137ELj4ElidEEv20rocsparse_direction_T5_S2_S2_PKS2_S4_NS_24const_host_device_scalarIT6_EEPKT4_S4_PKS6_SA_S4_SC_S7_SA_S4_SC_SA_PS2_PS6_21rocsparse_index_base_SF_SF_SF_bbb
    .private_segment_fixed_size: 0
    .sgpr_count:     70
    .sgpr_spill_count: 0
    .symbol:         _ZN9rocsparseL23bsrgemm_fill_wf_per_rowILj256ELj64ELj16ELj137ELj4ElidEEv20rocsparse_direction_T5_S2_S2_PKS2_S4_NS_24const_host_device_scalarIT6_EEPKT4_S4_PKS6_SA_S4_SC_S7_SA_S4_SC_SA_PS2_PS6_21rocsparse_index_base_SF_SF_SF_bbb.kd
    .uniform_work_group_size: 1
    .uses_dynamic_stack: false
    .vgpr_count:     48
    .vgpr_spill_count: 0
    .wavefront_size: 64
  - .agpr_count:     0
    .args:
      - .offset:         0
        .size:           4
        .value_kind:     by_value
      - .offset:         4
        .size:           4
        .value_kind:     by_value
      - .offset:         8
        .size:           4
        .value_kind:     by_value
      - .actual_access:  read_only
        .address_space:  global
        .offset:         16
        .size:           8
        .value_kind:     global_buffer
      - .actual_access:  read_only
        .address_space:  global
        .offset:         24
        .size:           8
        .value_kind:     global_buffer
      - .offset:         32
        .size:           8
        .value_kind:     by_value
      - .actual_access:  read_only
        .address_space:  global
        .offset:         40
        .size:           8
        .value_kind:     global_buffer
      - .actual_access:  read_only
        .address_space:  global
        .offset:         48
        .size:           8
        .value_kind:     global_buffer
      - .actual_access:  read_only
        .address_space:  global
        .offset:         56
        .size:           8
        .value_kind:     global_buffer
      - .actual_access:  read_only
        .address_space:  global
        .offset:         64
        .size:           8
        .value_kind:     global_buffer
      - .actual_access:  read_only
        .address_space:  global
        .offset:         72
        .size:           8
        .value_kind:     global_buffer
      - .actual_access:  read_only
        .address_space:  global
        .offset:         80
        .size:           8
        .value_kind:     global_buffer
      - .offset:         88
        .size:           8
        .value_kind:     by_value
      - .actual_access:  read_only
        .address_space:  global
        .offset:         96
        .size:           8
        .value_kind:     global_buffer
      - .actual_access:  read_only
        .address_space:  global
        .offset:         104
        .size:           8
        .value_kind:     global_buffer
      - .actual_access:  read_only
        .address_space:  global
        .offset:         112
        .size:           8
        .value_kind:     global_buffer
      - .actual_access:  read_only
        .address_space:  global
        .offset:         120
        .size:           8
        .value_kind:     global_buffer
      - .actual_access:  write_only
        .address_space:  global
        .offset:         128
        .size:           8
        .value_kind:     global_buffer
      - .actual_access:  write_only
        .address_space:  global
        .offset:         136
        .size:           8
        .value_kind:     global_buffer
      - .address_space:  global
        .offset:         144
        .size:           8
        .value_kind:     global_buffer
      - .offset:         152
        .size:           4
        .value_kind:     by_value
      - .offset:         156
        .size:           4
        .value_kind:     by_value
      - .offset:         160
        .size:           4
        .value_kind:     by_value
      - .offset:         164
        .size:           4
        .value_kind:     by_value
      - .offset:         168
        .size:           1
        .value_kind:     by_value
      - .offset:         169
        .size:           1
        .value_kind:     by_value
      - .offset:         170
        .size:           1
        .value_kind:     by_value
    .group_segment_fixed_size: 6280
    .kernarg_segment_align: 8
    .kernarg_segment_size: 172
    .language:       OpenCL C
    .language_version:
      - 2
      - 0
    .max_flat_workgroup_size: 256
    .name:           _ZN9rocsparseL38bsrgemm_block_per_row_atomic_multipassILj256ELj32ELj4ElidEEv20rocsparse_direction_T3_S2_PKS2_S4_NS_24const_host_device_scalarIT4_EEPKT2_S4_PKS6_SA_S4_SC_S7_SA_S4_SC_SA_PS2_PS6_PS8_21rocsparse_index_base_SG_SG_SG_bbb
    .private_segment_fixed_size: 0
    .sgpr_count:     95
    .sgpr_spill_count: 0
    .symbol:         _ZN9rocsparseL38bsrgemm_block_per_row_atomic_multipassILj256ELj32ELj4ElidEEv20rocsparse_direction_T3_S2_PKS2_S4_NS_24const_host_device_scalarIT4_EEPKT2_S4_PKS6_SA_S4_SC_S7_SA_S4_SC_SA_PS2_PS6_PS8_21rocsparse_index_base_SG_SG_SG_bbb.kd
    .uniform_work_group_size: 1
    .uses_dynamic_stack: false
    .vgpr_count:     63
    .vgpr_spill_count: 0
    .wavefront_size: 64
  - .agpr_count:     0
    .args:
      - .offset:         0
        .size:           4
        .value_kind:     by_value
      - .offset:         4
        .size:           4
        .value_kind:     by_value
      - .offset:         8
        .size:           4
        .value_kind:     by_value
      - .actual_access:  read_only
        .address_space:  global
        .offset:         16
        .size:           8
        .value_kind:     global_buffer
      - .actual_access:  read_only
        .address_space:  global
        .offset:         24
        .size:           8
        .value_kind:     global_buffer
      - .offset:         32
        .size:           8
        .value_kind:     by_value
      - .actual_access:  read_only
        .address_space:  global
        .offset:         40
        .size:           8
        .value_kind:     global_buffer
      - .actual_access:  read_only
        .address_space:  global
        .offset:         48
        .size:           8
        .value_kind:     global_buffer
      - .actual_access:  read_only
        .address_space:  global
        .offset:         56
        .size:           8
        .value_kind:     global_buffer
      - .actual_access:  read_only
        .address_space:  global
        .offset:         64
        .size:           8
        .value_kind:     global_buffer
      - .actual_access:  read_only
        .address_space:  global
        .offset:         72
        .size:           8
        .value_kind:     global_buffer
      - .actual_access:  read_only
        .address_space:  global
        .offset:         80
        .size:           8
        .value_kind:     global_buffer
      - .offset:         88
        .size:           8
        .value_kind:     by_value
      - .actual_access:  read_only
        .address_space:  global
        .offset:         96
        .size:           8
        .value_kind:     global_buffer
      - .actual_access:  read_only
        .address_space:  global
        .offset:         104
        .size:           8
        .value_kind:     global_buffer
      - .actual_access:  read_only
        .address_space:  global
        .offset:         112
        .size:           8
        .value_kind:     global_buffer
      - .actual_access:  read_only
        .address_space:  global
        .offset:         120
        .size:           8
        .value_kind:     global_buffer
      - .actual_access:  write_only
        .address_space:  global
        .offset:         128
        .size:           8
        .value_kind:     global_buffer
      - .actual_access:  write_only
        .address_space:  global
        .offset:         136
        .size:           8
        .value_kind:     global_buffer
      - .address_space:  global
        .offset:         144
        .size:           8
        .value_kind:     global_buffer
      - .offset:         152
        .size:           4
        .value_kind:     by_value
      - .offset:         156
        .size:           4
        .value_kind:     by_value
      - .offset:         160
        .size:           4
        .value_kind:     by_value
      - .offset:         164
        .size:           4
        .value_kind:     by_value
      - .offset:         168
        .size:           1
        .value_kind:     by_value
      - .offset:         169
        .size:           1
        .value_kind:     by_value
      - .offset:         170
        .size:           1
        .value_kind:     by_value
    .group_segment_fixed_size: 10504
    .kernarg_segment_align: 8
    .kernarg_segment_size: 172
    .language:       OpenCL C
    .language_version:
      - 2
      - 0
    .max_flat_workgroup_size: 256
    .name:           _ZN9rocsparseL38bsrgemm_block_per_row_atomic_multipassILj256ELj64ELj4ElidEEv20rocsparse_direction_T3_S2_PKS2_S4_NS_24const_host_device_scalarIT4_EEPKT2_S4_PKS6_SA_S4_SC_S7_SA_S4_SC_SA_PS2_PS6_PS8_21rocsparse_index_base_SG_SG_SG_bbb
    .private_segment_fixed_size: 0
    .sgpr_count:     95
    .sgpr_spill_count: 0
    .symbol:         _ZN9rocsparseL38bsrgemm_block_per_row_atomic_multipassILj256ELj64ELj4ElidEEv20rocsparse_direction_T3_S2_PKS2_S4_NS_24const_host_device_scalarIT4_EEPKT2_S4_PKS6_SA_S4_SC_S7_SA_S4_SC_SA_PS2_PS6_PS8_21rocsparse_index_base_SG_SG_SG_bbb.kd
    .uniform_work_group_size: 1
    .uses_dynamic_stack: false
    .vgpr_count:     65
    .vgpr_spill_count: 0
    .wavefront_size: 64
  - .agpr_count:     0
    .args:
      - .offset:         0
        .size:           4
        .value_kind:     by_value
      - .offset:         4
        .size:           4
        .value_kind:     by_value
      - .offset:         8
        .size:           4
        .value_kind:     by_value
      - .actual_access:  read_only
        .address_space:  global
        .offset:         16
        .size:           8
        .value_kind:     global_buffer
      - .actual_access:  read_only
        .address_space:  global
        .offset:         24
        .size:           8
        .value_kind:     global_buffer
      - .offset:         32
        .size:           8
        .value_kind:     by_value
      - .actual_access:  read_only
        .address_space:  global
        .offset:         40
        .size:           8
        .value_kind:     global_buffer
      - .actual_access:  read_only
        .address_space:  global
        .offset:         48
        .size:           8
        .value_kind:     global_buffer
      - .actual_access:  read_only
        .address_space:  global
        .offset:         56
        .size:           8
        .value_kind:     global_buffer
      - .actual_access:  read_only
        .address_space:  global
        .offset:         64
        .size:           8
        .value_kind:     global_buffer
      - .actual_access:  read_only
        .address_space:  global
        .offset:         72
        .size:           8
        .value_kind:     global_buffer
      - .actual_access:  read_only
        .address_space:  global
        .offset:         80
        .size:           8
        .value_kind:     global_buffer
      - .offset:         88
        .size:           8
        .value_kind:     by_value
      - .actual_access:  read_only
        .address_space:  global
        .offset:         96
        .size:           8
        .value_kind:     global_buffer
      - .actual_access:  read_only
        .address_space:  global
        .offset:         104
        .size:           8
        .value_kind:     global_buffer
      - .actual_access:  read_only
        .address_space:  global
        .offset:         112
        .size:           8
        .value_kind:     global_buffer
      - .actual_access:  read_only
        .address_space:  global
        .offset:         120
        .size:           8
        .value_kind:     global_buffer
      - .actual_access:  write_only
        .address_space:  global
        .offset:         128
        .size:           8
        .value_kind:     global_buffer
      - .actual_access:  write_only
        .address_space:  global
        .offset:         136
        .size:           8
        .value_kind:     global_buffer
      - .address_space:  global
        .offset:         144
        .size:           8
        .value_kind:     global_buffer
      - .offset:         152
        .size:           4
        .value_kind:     by_value
      - .offset:         156
        .size:           4
        .value_kind:     by_value
      - .offset:         160
        .size:           4
        .value_kind:     by_value
      - .offset:         164
        .size:           4
        .value_kind:     by_value
      - .offset:         168
        .size:           1
        .value_kind:     by_value
      - .offset:         169
        .size:           1
        .value_kind:     by_value
      - .offset:         170
        .size:           1
        .value_kind:     by_value
    .group_segment_fixed_size: 18952
    .kernarg_segment_align: 8
    .kernarg_segment_size: 172
    .language:       OpenCL C
    .language_version:
      - 2
      - 0
    .max_flat_workgroup_size: 256
    .name:           _ZN9rocsparseL38bsrgemm_block_per_row_atomic_multipassILj256ELj128ELj4ElidEEv20rocsparse_direction_T3_S2_PKS2_S4_NS_24const_host_device_scalarIT4_EEPKT2_S4_PKS6_SA_S4_SC_S7_SA_S4_SC_SA_PS2_PS6_PS8_21rocsparse_index_base_SG_SG_SG_bbb
    .private_segment_fixed_size: 0
    .sgpr_count:     100
    .sgpr_spill_count: 2
    .symbol:         _ZN9rocsparseL38bsrgemm_block_per_row_atomic_multipassILj256ELj128ELj4ElidEEv20rocsparse_direction_T3_S2_PKS2_S4_NS_24const_host_device_scalarIT4_EEPKT2_S4_PKS6_SA_S4_SC_S7_SA_S4_SC_SA_PS2_PS6_PS8_21rocsparse_index_base_SG_SG_SG_bbb.kd
    .uniform_work_group_size: 1
    .uses_dynamic_stack: false
    .vgpr_count:     68
    .vgpr_spill_count: 0
    .wavefront_size: 64
  - .agpr_count:     0
    .args:
      - .offset:         0
        .size:           4
        .value_kind:     by_value
      - .offset:         4
        .size:           4
        .value_kind:     by_value
      - .offset:         8
        .size:           4
        .value_kind:     by_value
      - .offset:         12
        .size:           4
        .value_kind:     by_value
      - .actual_access:  read_only
        .address_space:  global
        .offset:         16
        .size:           8
        .value_kind:     global_buffer
      - .actual_access:  read_only
        .address_space:  global
        .offset:         24
        .size:           8
        .value_kind:     global_buffer
      - .offset:         32
        .size:           8
        .value_kind:     by_value
      - .actual_access:  read_only
        .address_space:  global
        .offset:         40
        .size:           8
        .value_kind:     global_buffer
      - .actual_access:  read_only
        .address_space:  global
        .offset:         48
        .size:           8
        .value_kind:     global_buffer
      - .actual_access:  read_only
        .address_space:  global
        .offset:         56
        .size:           8
        .value_kind:     global_buffer
      - .actual_access:  read_only
        .address_space:  global
        .offset:         64
        .size:           8
        .value_kind:     global_buffer
      - .actual_access:  read_only
        .address_space:  global
        .offset:         72
        .size:           8
        .value_kind:     global_buffer
      - .actual_access:  read_only
        .address_space:  global
        .offset:         80
        .size:           8
        .value_kind:     global_buffer
      - .offset:         88
        .size:           8
        .value_kind:     by_value
      - .actual_access:  read_only
        .address_space:  global
        .offset:         96
        .size:           8
        .value_kind:     global_buffer
      - .actual_access:  read_only
        .address_space:  global
        .offset:         104
        .size:           8
        .value_kind:     global_buffer
      - .actual_access:  read_only
        .address_space:  global
        .offset:         112
        .size:           8
        .value_kind:     global_buffer
      - .actual_access:  read_only
        .address_space:  global
        .offset:         120
        .size:           8
        .value_kind:     global_buffer
      - .actual_access:  write_only
        .address_space:  global
        .offset:         128
        .size:           8
        .value_kind:     global_buffer
      - .actual_access:  write_only
        .address_space:  global
        .offset:         136
        .size:           8
        .value_kind:     global_buffer
      - .offset:         144
        .size:           4
        .value_kind:     by_value
      - .offset:         148
        .size:           4
        .value_kind:     by_value
      - .offset:         152
        .size:           4
        .value_kind:     by_value
      - .offset:         156
        .size:           4
        .value_kind:     by_value
      - .offset:         160
        .size:           1
        .value_kind:     by_value
      - .offset:         161
        .size:           1
        .value_kind:     by_value
      - .offset:         162
        .size:           1
        .value_kind:     by_value
    .group_segment_fixed_size: 16512
    .kernarg_segment_align: 8
    .kernarg_segment_size: 164
    .language:       OpenCL C
    .language_version:
      - 2
      - 0
    .max_flat_workgroup_size: 256
    .name:           _ZN9rocsparseL23bsrgemm_fill_wf_per_rowILj256ELj64ELj8ELj137ELj8ElidEEv20rocsparse_direction_T5_S2_S2_PKS2_S4_NS_24const_host_device_scalarIT6_EEPKT4_S4_PKS6_SA_S4_SC_S7_SA_S4_SC_SA_PS2_PS6_21rocsparse_index_base_SF_SF_SF_bbb
    .private_segment_fixed_size: 0
    .sgpr_count:     68
    .sgpr_spill_count: 0
    .symbol:         _ZN9rocsparseL23bsrgemm_fill_wf_per_rowILj256ELj64ELj8ELj137ELj8ElidEEv20rocsparse_direction_T5_S2_S2_PKS2_S4_NS_24const_host_device_scalarIT6_EEPKT4_S4_PKS6_SA_S4_SC_S7_SA_S4_SC_SA_PS2_PS6_21rocsparse_index_base_SF_SF_SF_bbb.kd
    .uniform_work_group_size: 1
    .uses_dynamic_stack: false
    .vgpr_count:     50
    .vgpr_spill_count: 0
    .wavefront_size: 64
  - .agpr_count:     0
    .args:
      - .offset:         0
        .size:           4
        .value_kind:     by_value
      - .offset:         4
        .size:           4
        .value_kind:     by_value
      - .offset:         8
        .size:           4
        .value_kind:     by_value
      - .actual_access:  read_only
        .address_space:  global
        .offset:         16
        .size:           8
        .value_kind:     global_buffer
      - .actual_access:  read_only
        .address_space:  global
        .offset:         24
        .size:           8
        .value_kind:     global_buffer
      - .offset:         32
        .size:           8
        .value_kind:     by_value
      - .actual_access:  read_only
        .address_space:  global
        .offset:         40
        .size:           8
        .value_kind:     global_buffer
      - .actual_access:  read_only
        .address_space:  global
        .offset:         48
        .size:           8
        .value_kind:     global_buffer
      - .actual_access:  read_only
        .address_space:  global
        .offset:         56
        .size:           8
        .value_kind:     global_buffer
      - .actual_access:  read_only
        .address_space:  global
        .offset:         64
        .size:           8
        .value_kind:     global_buffer
      - .actual_access:  read_only
        .address_space:  global
        .offset:         72
        .size:           8
        .value_kind:     global_buffer
      - .actual_access:  read_only
        .address_space:  global
        .offset:         80
        .size:           8
        .value_kind:     global_buffer
      - .offset:         88
        .size:           8
        .value_kind:     by_value
      - .actual_access:  read_only
        .address_space:  global
        .offset:         96
        .size:           8
        .value_kind:     global_buffer
      - .actual_access:  read_only
        .address_space:  global
        .offset:         104
        .size:           8
        .value_kind:     global_buffer
      - .actual_access:  read_only
        .address_space:  global
        .offset:         112
        .size:           8
        .value_kind:     global_buffer
      - .actual_access:  read_only
        .address_space:  global
        .offset:         120
        .size:           8
        .value_kind:     global_buffer
      - .actual_access:  write_only
        .address_space:  global
        .offset:         128
        .size:           8
        .value_kind:     global_buffer
      - .actual_access:  write_only
        .address_space:  global
        .offset:         136
        .size:           8
        .value_kind:     global_buffer
      - .address_space:  global
        .offset:         144
        .size:           8
        .value_kind:     global_buffer
      - .offset:         152
        .size:           4
        .value_kind:     by_value
      - .offset:         156
        .size:           4
        .value_kind:     by_value
      - .offset:         160
        .size:           4
        .value_kind:     by_value
      - .offset:         164
        .size:           4
        .value_kind:     by_value
      - .offset:         168
        .size:           1
        .value_kind:     by_value
      - .offset:         169
        .size:           1
        .value_kind:     by_value
      - .offset:         170
        .size:           1
        .value_kind:     by_value
    .group_segment_fixed_size: 10312
    .kernarg_segment_align: 8
    .kernarg_segment_size: 172
    .language:       OpenCL C
    .language_version:
      - 2
      - 0
    .max_flat_workgroup_size: 256
    .name:           _ZN9rocsparseL38bsrgemm_block_per_row_atomic_multipassILj256ELj16ELj8ElidEEv20rocsparse_direction_T3_S2_PKS2_S4_NS_24const_host_device_scalarIT4_EEPKT2_S4_PKS6_SA_S4_SC_S7_SA_S4_SC_SA_PS2_PS6_PS8_21rocsparse_index_base_SG_SG_SG_bbb
    .private_segment_fixed_size: 0
    .sgpr_count:     91
    .sgpr_spill_count: 0
    .symbol:         _ZN9rocsparseL38bsrgemm_block_per_row_atomic_multipassILj256ELj16ELj8ElidEEv20rocsparse_direction_T3_S2_PKS2_S4_NS_24const_host_device_scalarIT4_EEPKT2_S4_PKS6_SA_S4_SC_S7_SA_S4_SC_SA_PS2_PS6_PS8_21rocsparse_index_base_SG_SG_SG_bbb.kd
    .uniform_work_group_size: 1
    .uses_dynamic_stack: false
    .vgpr_count:     63
    .vgpr_spill_count: 0
    .wavefront_size: 64
  - .agpr_count:     0
    .args:
      - .offset:         0
        .size:           4
        .value_kind:     by_value
      - .offset:         4
        .size:           4
        .value_kind:     by_value
      - .offset:         8
        .size:           4
        .value_kind:     by_value
      - .actual_access:  read_only
        .address_space:  global
        .offset:         16
        .size:           8
        .value_kind:     global_buffer
      - .actual_access:  read_only
        .address_space:  global
        .offset:         24
        .size:           8
        .value_kind:     global_buffer
      - .offset:         32
        .size:           8
        .value_kind:     by_value
      - .actual_access:  read_only
        .address_space:  global
        .offset:         40
        .size:           8
        .value_kind:     global_buffer
      - .actual_access:  read_only
        .address_space:  global
        .offset:         48
        .size:           8
        .value_kind:     global_buffer
      - .actual_access:  read_only
        .address_space:  global
        .offset:         56
        .size:           8
        .value_kind:     global_buffer
      - .actual_access:  read_only
        .address_space:  global
        .offset:         64
        .size:           8
        .value_kind:     global_buffer
      - .actual_access:  read_only
        .address_space:  global
        .offset:         72
        .size:           8
        .value_kind:     global_buffer
      - .actual_access:  read_only
        .address_space:  global
        .offset:         80
        .size:           8
        .value_kind:     global_buffer
      - .offset:         88
        .size:           8
        .value_kind:     by_value
      - .actual_access:  read_only
        .address_space:  global
        .offset:         96
        .size:           8
        .value_kind:     global_buffer
      - .actual_access:  read_only
        .address_space:  global
        .offset:         104
        .size:           8
        .value_kind:     global_buffer
      - .actual_access:  read_only
        .address_space:  global
        .offset:         112
        .size:           8
        .value_kind:     global_buffer
      - .actual_access:  read_only
        .address_space:  global
        .offset:         120
        .size:           8
        .value_kind:     global_buffer
      - .actual_access:  write_only
        .address_space:  global
        .offset:         128
        .size:           8
        .value_kind:     global_buffer
      - .actual_access:  write_only
        .address_space:  global
        .offset:         136
        .size:           8
        .value_kind:     global_buffer
      - .address_space:  global
        .offset:         144
        .size:           8
        .value_kind:     global_buffer
      - .offset:         152
        .size:           4
        .value_kind:     by_value
      - .offset:         156
        .size:           4
        .value_kind:     by_value
      - .offset:         160
        .size:           4
        .value_kind:     by_value
      - .offset:         164
        .size:           4
        .value_kind:     by_value
      - .offset:         168
        .size:           1
        .value_kind:     by_value
      - .offset:         169
        .size:           1
        .value_kind:     by_value
      - .offset:         170
        .size:           1
        .value_kind:     by_value
    .group_segment_fixed_size: 18568
    .kernarg_segment_align: 8
    .kernarg_segment_size: 172
    .language:       OpenCL C
    .language_version:
      - 2
      - 0
    .max_flat_workgroup_size: 256
    .name:           _ZN9rocsparseL38bsrgemm_block_per_row_atomic_multipassILj256ELj32ELj8ElidEEv20rocsparse_direction_T3_S2_PKS2_S4_NS_24const_host_device_scalarIT4_EEPKT2_S4_PKS6_SA_S4_SC_S7_SA_S4_SC_SA_PS2_PS6_PS8_21rocsparse_index_base_SG_SG_SG_bbb
    .private_segment_fixed_size: 0
    .sgpr_count:     97
    .sgpr_spill_count: 0
    .symbol:         _ZN9rocsparseL38bsrgemm_block_per_row_atomic_multipassILj256ELj32ELj8ElidEEv20rocsparse_direction_T3_S2_PKS2_S4_NS_24const_host_device_scalarIT4_EEPKT2_S4_PKS6_SA_S4_SC_S7_SA_S4_SC_SA_PS2_PS6_PS8_21rocsparse_index_base_SG_SG_SG_bbb.kd
    .uniform_work_group_size: 1
    .uses_dynamic_stack: false
    .vgpr_count:     65
    .vgpr_spill_count: 0
    .wavefront_size: 64
  - .agpr_count:     0
    .args:
      - .offset:         0
        .size:           4
        .value_kind:     by_value
      - .offset:         4
        .size:           4
        .value_kind:     by_value
      - .offset:         8
        .size:           4
        .value_kind:     by_value
      - .actual_access:  read_only
        .address_space:  global
        .offset:         16
        .size:           8
        .value_kind:     global_buffer
      - .actual_access:  read_only
        .address_space:  global
        .offset:         24
        .size:           8
        .value_kind:     global_buffer
      - .offset:         32
        .size:           8
        .value_kind:     by_value
      - .actual_access:  read_only
        .address_space:  global
        .offset:         40
        .size:           8
        .value_kind:     global_buffer
      - .actual_access:  read_only
        .address_space:  global
        .offset:         48
        .size:           8
        .value_kind:     global_buffer
      - .actual_access:  read_only
        .address_space:  global
        .offset:         56
        .size:           8
        .value_kind:     global_buffer
      - .actual_access:  read_only
        .address_space:  global
        .offset:         64
        .size:           8
        .value_kind:     global_buffer
      - .actual_access:  read_only
        .address_space:  global
        .offset:         72
        .size:           8
        .value_kind:     global_buffer
      - .actual_access:  read_only
        .address_space:  global
        .offset:         80
        .size:           8
        .value_kind:     global_buffer
      - .offset:         88
        .size:           8
        .value_kind:     by_value
      - .actual_access:  read_only
        .address_space:  global
        .offset:         96
        .size:           8
        .value_kind:     global_buffer
      - .actual_access:  read_only
        .address_space:  global
        .offset:         104
        .size:           8
        .value_kind:     global_buffer
      - .actual_access:  read_only
        .address_space:  global
        .offset:         112
        .size:           8
        .value_kind:     global_buffer
      - .actual_access:  read_only
        .address_space:  global
        .offset:         120
        .size:           8
        .value_kind:     global_buffer
      - .actual_access:  write_only
        .address_space:  global
        .offset:         128
        .size:           8
        .value_kind:     global_buffer
      - .actual_access:  write_only
        .address_space:  global
        .offset:         136
        .size:           8
        .value_kind:     global_buffer
      - .address_space:  global
        .offset:         144
        .size:           8
        .value_kind:     global_buffer
      - .offset:         152
        .size:           4
        .value_kind:     by_value
      - .offset:         156
        .size:           4
        .value_kind:     by_value
      - .offset:         160
        .size:           4
        .value_kind:     by_value
      - .offset:         164
        .size:           4
        .value_kind:     by_value
      - .offset:         168
        .size:           1
        .value_kind:     by_value
      - .offset:         169
        .size:           1
        .value_kind:     by_value
      - .offset:         170
        .size:           1
        .value_kind:     by_value
    .group_segment_fixed_size: 16392
    .kernarg_segment_align: 8
    .kernarg_segment_size: 172
    .language:       OpenCL C
    .language_version:
      - 2
      - 0
    .max_flat_workgroup_size: 256
    .name:           _ZN9rocsparseL31bsrgemm_block_per_row_multipassILj256ELj8ELj16ElidEEv20rocsparse_direction_T3_S2_PKS2_S4_NS_24const_host_device_scalarIT4_EEPKT2_S4_PKS6_SA_S4_SC_S7_SA_S4_SC_SA_PS2_PS6_PS8_21rocsparse_index_base_SG_SG_SG_bbb
    .private_segment_fixed_size: 0
    .sgpr_count:     77
    .sgpr_spill_count: 0
    .symbol:         _ZN9rocsparseL31bsrgemm_block_per_row_multipassILj256ELj8ELj16ElidEEv20rocsparse_direction_T3_S2_PKS2_S4_NS_24const_host_device_scalarIT4_EEPKT2_S4_PKS6_SA_S4_SC_S7_SA_S4_SC_SA_PS2_PS6_PS8_21rocsparse_index_base_SG_SG_SG_bbb.kd
    .uniform_work_group_size: 1
    .uses_dynamic_stack: false
    .vgpr_count:     58
    .vgpr_spill_count: 0
    .wavefront_size: 64
  - .agpr_count:     0
    .args:
      - .offset:         0
        .size:           4
        .value_kind:     by_value
      - .offset:         4
        .size:           4
        .value_kind:     by_value
      - .offset:         8
        .size:           4
        .value_kind:     by_value
      - .actual_access:  read_only
        .address_space:  global
        .offset:         16
        .size:           8
        .value_kind:     global_buffer
      - .actual_access:  read_only
        .address_space:  global
        .offset:         24
        .size:           8
        .value_kind:     global_buffer
      - .offset:         32
        .size:           8
        .value_kind:     by_value
      - .actual_access:  read_only
        .address_space:  global
        .offset:         40
        .size:           8
        .value_kind:     global_buffer
      - .actual_access:  read_only
        .address_space:  global
        .offset:         48
        .size:           8
        .value_kind:     global_buffer
      - .actual_access:  read_only
        .address_space:  global
        .offset:         56
        .size:           8
        .value_kind:     global_buffer
      - .actual_access:  read_only
        .address_space:  global
        .offset:         64
        .size:           8
        .value_kind:     global_buffer
      - .actual_access:  read_only
        .address_space:  global
        .offset:         72
        .size:           8
        .value_kind:     global_buffer
      - .actual_access:  read_only
        .address_space:  global
        .offset:         80
        .size:           8
        .value_kind:     global_buffer
      - .offset:         88
        .size:           8
        .value_kind:     by_value
      - .actual_access:  read_only
        .address_space:  global
        .offset:         96
        .size:           8
        .value_kind:     global_buffer
      - .actual_access:  read_only
        .address_space:  global
        .offset:         104
        .size:           8
        .value_kind:     global_buffer
      - .actual_access:  read_only
        .address_space:  global
        .offset:         112
        .size:           8
        .value_kind:     global_buffer
      - .actual_access:  read_only
        .address_space:  global
        .offset:         120
        .size:           8
        .value_kind:     global_buffer
      - .actual_access:  write_only
        .address_space:  global
        .offset:         128
        .size:           8
        .value_kind:     global_buffer
      - .actual_access:  write_only
        .address_space:  global
        .offset:         136
        .size:           8
        .value_kind:     global_buffer
      - .address_space:  global
        .offset:         144
        .size:           8
        .value_kind:     global_buffer
      - .offset:         152
        .size:           4
        .value_kind:     by_value
      - .offset:         156
        .size:           4
        .value_kind:     by_value
      - .offset:         160
        .size:           4
        .value_kind:     by_value
      - .offset:         164
        .size:           4
        .value_kind:     by_value
      - .offset:         168
        .size:           1
        .value_kind:     by_value
      - .offset:         169
        .size:           1
        .value_kind:     by_value
      - .offset:         170
        .size:           1
        .value_kind:     by_value
    .group_segment_fixed_size: 16392
    .kernarg_segment_align: 8
    .kernarg_segment_size: 172
    .language:       OpenCL C
    .language_version:
      - 2
      - 0
    .max_flat_workgroup_size: 256
    .name:           _ZN9rocsparseL31bsrgemm_block_per_row_multipassILj256ELj2ELj32ElidEEv20rocsparse_direction_T3_S2_PKS2_S4_NS_24const_host_device_scalarIT4_EEPKT2_S4_PKS6_SA_S4_SC_S7_SA_S4_SC_SA_PS2_PS6_PS8_21rocsparse_index_base_SG_SG_SG_bbb
    .private_segment_fixed_size: 0
    .sgpr_count:     93
    .sgpr_spill_count: 0
    .symbol:         _ZN9rocsparseL31bsrgemm_block_per_row_multipassILj256ELj2ELj32ElidEEv20rocsparse_direction_T3_S2_PKS2_S4_NS_24const_host_device_scalarIT4_EEPKT2_S4_PKS6_SA_S4_SC_S7_SA_S4_SC_SA_PS2_PS6_PS8_21rocsparse_index_base_SG_SG_SG_bbb.kd
    .uniform_work_group_size: 1
    .uses_dynamic_stack: false
    .vgpr_count:     94
    .vgpr_spill_count: 0
    .wavefront_size: 64
  - .agpr_count:     0
    .args:
      - .offset:         0
        .size:           4
        .value_kind:     by_value
      - .actual_access:  read_only
        .address_space:  global
        .offset:         8
        .size:           8
        .value_kind:     global_buffer
      - .actual_access:  write_only
        .address_space:  global
        .offset:         16
        .size:           8
        .value_kind:     global_buffer
      - .actual_access:  write_only
        .address_space:  global
        .offset:         24
        .size:           8
        .value_kind:     global_buffer
      - .offset:         32
        .size:           4
        .value_kind:     hidden_block_count_x
      - .offset:         36
        .size:           4
        .value_kind:     hidden_block_count_y
      - .offset:         40
        .size:           4
        .value_kind:     hidden_block_count_z
      - .offset:         44
        .size:           2
        .value_kind:     hidden_group_size_x
      - .offset:         46
        .size:           2
        .value_kind:     hidden_group_size_y
      - .offset:         48
        .size:           2
        .value_kind:     hidden_group_size_z
      - .offset:         50
        .size:           2
        .value_kind:     hidden_remainder_x
      - .offset:         52
        .size:           2
        .value_kind:     hidden_remainder_y
      - .offset:         54
        .size:           2
        .value_kind:     hidden_remainder_z
      - .offset:         72
        .size:           8
        .value_kind:     hidden_global_offset_x
      - .offset:         80
        .size:           8
        .value_kind:     hidden_global_offset_y
      - .offset:         88
        .size:           8
        .value_kind:     hidden_global_offset_z
      - .offset:         96
        .size:           2
        .value_kind:     hidden_grid_dims
    .group_segment_fixed_size: 8192
    .kernarg_segment_align: 8
    .kernarg_segment_size: 288
    .language:       OpenCL C
    .language_version:
      - 2
      - 0
    .max_flat_workgroup_size: 256
    .name:           _ZN9rocsparseL26bsrgemm_group_reduce_part2ILj256ELj8ELj2E21rocsparse_complex_numIfEliEEvT4_PKT3_PS3_Pi
    .private_segment_fixed_size: 0
    .sgpr_count:     38
    .sgpr_spill_count: 0
    .symbol:         _ZN9rocsparseL26bsrgemm_group_reduce_part2ILj256ELj8ELj2E21rocsparse_complex_numIfEliEEvT4_PKT3_PS3_Pi.kd
    .uniform_work_group_size: 1
    .uses_dynamic_stack: false
    .vgpr_count:     20
    .vgpr_spill_count: 0
    .wavefront_size: 64
  - .agpr_count:     0
    .args:
      - .offset:         0
        .size:           4
        .value_kind:     by_value
      - .actual_access:  read_only
        .address_space:  global
        .offset:         8
        .size:           8
        .value_kind:     global_buffer
      - .actual_access:  write_only
        .address_space:  global
        .offset:         16
        .size:           8
        .value_kind:     global_buffer
      - .actual_access:  write_only
        .address_space:  global
        .offset:         24
        .size:           8
        .value_kind:     global_buffer
      - .offset:         32
        .size:           4
        .value_kind:     hidden_block_count_x
      - .offset:         36
        .size:           4
        .value_kind:     hidden_block_count_y
      - .offset:         40
        .size:           4
        .value_kind:     hidden_block_count_z
      - .offset:         44
        .size:           2
        .value_kind:     hidden_group_size_x
      - .offset:         46
        .size:           2
        .value_kind:     hidden_group_size_y
      - .offset:         48
        .size:           2
        .value_kind:     hidden_group_size_z
      - .offset:         50
        .size:           2
        .value_kind:     hidden_remainder_x
      - .offset:         52
        .size:           2
        .value_kind:     hidden_remainder_y
      - .offset:         54
        .size:           2
        .value_kind:     hidden_remainder_z
      - .offset:         72
        .size:           8
        .value_kind:     hidden_global_offset_x
      - .offset:         80
        .size:           8
        .value_kind:     hidden_global_offset_y
      - .offset:         88
        .size:           8
        .value_kind:     hidden_global_offset_z
      - .offset:         96
        .size:           2
        .value_kind:     hidden_grid_dims
    .group_segment_fixed_size: 8192
    .kernarg_segment_align: 8
    .kernarg_segment_size: 288
    .language:       OpenCL C
    .language_version:
      - 2
      - 0
    .max_flat_workgroup_size: 256
    .name:           _ZN9rocsparseL26bsrgemm_group_reduce_part2ILj256ELj8ELj8E21rocsparse_complex_numIfEliEEvT4_PKT3_PS3_Pi
    .private_segment_fixed_size: 0
    .sgpr_count:     38
    .sgpr_spill_count: 0
    .symbol:         _ZN9rocsparseL26bsrgemm_group_reduce_part2ILj256ELj8ELj8E21rocsparse_complex_numIfEliEEvT4_PKT3_PS3_Pi.kd
    .uniform_work_group_size: 1
    .uses_dynamic_stack: false
    .vgpr_count:     20
    .vgpr_spill_count: 0
    .wavefront_size: 64
  - .agpr_count:     0
    .args:
      - .offset:         0
        .size:           4
        .value_kind:     by_value
      - .offset:         4
        .size:           4
        .value_kind:     by_value
      - .offset:         8
        .size:           4
        .value_kind:     by_value
      - .actual_access:  read_only
        .address_space:  global
        .offset:         16
        .size:           8
        .value_kind:     global_buffer
      - .actual_access:  read_only
        .address_space:  global
        .offset:         24
        .size:           8
        .value_kind:     global_buffer
      - .offset:         32
        .size:           8
        .value_kind:     by_value
      - .actual_access:  read_only
        .address_space:  global
        .offset:         40
        .size:           8
        .value_kind:     global_buffer
      - .actual_access:  read_only
        .address_space:  global
        .offset:         48
        .size:           8
        .value_kind:     global_buffer
      - .actual_access:  read_only
        .address_space:  global
        .offset:         56
        .size:           8
        .value_kind:     global_buffer
      - .actual_access:  read_only
        .address_space:  global
        .offset:         64
        .size:           8
        .value_kind:     global_buffer
      - .actual_access:  read_only
        .address_space:  global
        .offset:         72
        .size:           8
        .value_kind:     global_buffer
      - .actual_access:  read_only
        .address_space:  global
        .offset:         80
        .size:           8
        .value_kind:     global_buffer
      - .offset:         88
        .size:           8
        .value_kind:     by_value
      - .actual_access:  read_only
        .address_space:  global
        .offset:         96
        .size:           8
        .value_kind:     global_buffer
      - .actual_access:  read_only
        .address_space:  global
        .offset:         104
        .size:           8
        .value_kind:     global_buffer
      - .actual_access:  read_only
        .address_space:  global
        .offset:         112
        .size:           8
        .value_kind:     global_buffer
      - .actual_access:  read_only
        .address_space:  global
        .offset:         120
        .size:           8
        .value_kind:     global_buffer
      - .actual_access:  write_only
        .address_space:  global
        .offset:         128
        .size:           8
        .value_kind:     global_buffer
      - .actual_access:  write_only
        .address_space:  global
        .offset:         136
        .size:           8
        .value_kind:     global_buffer
      - .offset:         144
        .size:           4
        .value_kind:     by_value
      - .offset:         148
        .size:           4
        .value_kind:     by_value
      - .offset:         152
        .size:           4
        .value_kind:     by_value
      - .offset:         156
        .size:           4
        .value_kind:     by_value
      - .offset:         160
        .size:           1
        .value_kind:     by_value
      - .offset:         161
        .size:           1
        .value_kind:     by_value
      - .offset:         162
        .size:           1
        .value_kind:     by_value
    .group_segment_fixed_size: 4608
    .kernarg_segment_align: 8
    .kernarg_segment_size: 164
    .language:       OpenCL C
    .language_version:
      - 2
      - 0
    .max_flat_workgroup_size: 256
    .name:           _ZN9rocsparseL27bsrgemm_fill_wf_per_row_2x2ILj256ELj16ELj8ELj137Eli21rocsparse_complex_numIfEEEv20rocsparse_direction_T4_S4_PKS4_S6_NS_24const_host_device_scalarIT5_EEPKT3_S6_PKS8_SC_S6_SE_S9_SC_S6_SE_SC_PS4_PS8_21rocsparse_index_base_SH_SH_SH_bbb
    .private_segment_fixed_size: 0
    .sgpr_count:     65
    .sgpr_spill_count: 0
    .symbol:         _ZN9rocsparseL27bsrgemm_fill_wf_per_row_2x2ILj256ELj16ELj8ELj137Eli21rocsparse_complex_numIfEEEv20rocsparse_direction_T4_S4_PKS4_S6_NS_24const_host_device_scalarIT5_EEPKT3_S6_PKS8_SC_S6_SE_S9_SC_S6_SE_SC_PS4_PS8_21rocsparse_index_base_SH_SH_SH_bbb.kd
    .uniform_work_group_size: 1
    .uses_dynamic_stack: false
    .vgpr_count:     41
    .vgpr_spill_count: 0
    .wavefront_size: 64
  - .agpr_count:     0
    .args:
      - .offset:         0
        .size:           4
        .value_kind:     by_value
      - .offset:         4
        .size:           4
        .value_kind:     by_value
      - .offset:         8
        .size:           4
        .value_kind:     by_value
      - .actual_access:  read_only
        .address_space:  global
        .offset:         16
        .size:           8
        .value_kind:     global_buffer
      - .actual_access:  read_only
        .address_space:  global
        .offset:         24
        .size:           8
        .value_kind:     global_buffer
      - .offset:         32
        .size:           8
        .value_kind:     by_value
      - .actual_access:  read_only
        .address_space:  global
        .offset:         40
        .size:           8
        .value_kind:     global_buffer
      - .actual_access:  read_only
        .address_space:  global
        .offset:         48
        .size:           8
        .value_kind:     global_buffer
      - .actual_access:  read_only
        .address_space:  global
        .offset:         56
        .size:           8
        .value_kind:     global_buffer
      - .actual_access:  read_only
        .address_space:  global
        .offset:         64
        .size:           8
        .value_kind:     global_buffer
      - .actual_access:  read_only
        .address_space:  global
        .offset:         72
        .size:           8
        .value_kind:     global_buffer
      - .actual_access:  read_only
        .address_space:  global
        .offset:         80
        .size:           8
        .value_kind:     global_buffer
      - .offset:         88
        .size:           8
        .value_kind:     by_value
      - .actual_access:  read_only
        .address_space:  global
        .offset:         96
        .size:           8
        .value_kind:     global_buffer
      - .actual_access:  read_only
        .address_space:  global
        .offset:         104
        .size:           8
        .value_kind:     global_buffer
      - .actual_access:  read_only
        .address_space:  global
        .offset:         112
        .size:           8
        .value_kind:     global_buffer
      - .actual_access:  read_only
        .address_space:  global
        .offset:         120
        .size:           8
        .value_kind:     global_buffer
      - .actual_access:  write_only
        .address_space:  global
        .offset:         128
        .size:           8
        .value_kind:     global_buffer
      - .actual_access:  write_only
        .address_space:  global
        .offset:         136
        .size:           8
        .value_kind:     global_buffer
      - .offset:         144
        .size:           4
        .value_kind:     by_value
      - .offset:         148
        .size:           4
        .value_kind:     by_value
      - .offset:         152
        .size:           4
        .value_kind:     by_value
      - .offset:         156
        .size:           4
        .value_kind:     by_value
      - .offset:         160
        .size:           1
        .value_kind:     by_value
      - .offset:         161
        .size:           1
        .value_kind:     by_value
      - .offset:         162
        .size:           1
        .value_kind:     by_value
    .group_segment_fixed_size: 9216
    .kernarg_segment_align: 8
    .kernarg_segment_size: 164
    .language:       OpenCL C
    .language_version:
      - 2
      - 0
    .max_flat_workgroup_size: 256
    .name:           _ZN9rocsparseL27bsrgemm_fill_wf_per_row_2x2ILj256ELj16ELj16ELj137Eli21rocsparse_complex_numIfEEEv20rocsparse_direction_T4_S4_PKS4_S6_NS_24const_host_device_scalarIT5_EEPKT3_S6_PKS8_SC_S6_SE_S9_SC_S6_SE_SC_PS4_PS8_21rocsparse_index_base_SH_SH_SH_bbb
    .private_segment_fixed_size: 0
    .sgpr_count:     63
    .sgpr_spill_count: 0
    .symbol:         _ZN9rocsparseL27bsrgemm_fill_wf_per_row_2x2ILj256ELj16ELj16ELj137Eli21rocsparse_complex_numIfEEEv20rocsparse_direction_T4_S4_PKS4_S6_NS_24const_host_device_scalarIT5_EEPKT3_S6_PKS8_SC_S6_SE_S9_SC_S6_SE_SC_PS4_PS8_21rocsparse_index_base_SH_SH_SH_bbb.kd
    .uniform_work_group_size: 1
    .uses_dynamic_stack: false
    .vgpr_count:     42
    .vgpr_spill_count: 0
    .wavefront_size: 64
  - .agpr_count:     0
    .args:
      - .offset:         0
        .size:           4
        .value_kind:     by_value
      - .offset:         4
        .size:           4
        .value_kind:     by_value
      - .offset:         8
        .size:           4
        .value_kind:     by_value
      - .actual_access:  read_only
        .address_space:  global
        .offset:         16
        .size:           8
        .value_kind:     global_buffer
      - .actual_access:  read_only
        .address_space:  global
        .offset:         24
        .size:           8
        .value_kind:     global_buffer
      - .offset:         32
        .size:           8
        .value_kind:     by_value
      - .actual_access:  read_only
        .address_space:  global
        .offset:         40
        .size:           8
        .value_kind:     global_buffer
      - .actual_access:  read_only
        .address_space:  global
        .offset:         48
        .size:           8
        .value_kind:     global_buffer
      - .actual_access:  read_only
        .address_space:  global
        .offset:         56
        .size:           8
        .value_kind:     global_buffer
      - .actual_access:  read_only
        .address_space:  global
        .offset:         64
        .size:           8
        .value_kind:     global_buffer
      - .actual_access:  read_only
        .address_space:  global
        .offset:         72
        .size:           8
        .value_kind:     global_buffer
      - .actual_access:  read_only
        .address_space:  global
        .offset:         80
        .size:           8
        .value_kind:     global_buffer
      - .offset:         88
        .size:           8
        .value_kind:     by_value
      - .actual_access:  read_only
        .address_space:  global
        .offset:         96
        .size:           8
        .value_kind:     global_buffer
      - .actual_access:  read_only
        .address_space:  global
        .offset:         104
        .size:           8
        .value_kind:     global_buffer
      - .actual_access:  read_only
        .address_space:  global
        .offset:         112
        .size:           8
        .value_kind:     global_buffer
      - .actual_access:  read_only
        .address_space:  global
        .offset:         120
        .size:           8
        .value_kind:     global_buffer
      - .actual_access:  write_only
        .address_space:  global
        .offset:         128
        .size:           8
        .value_kind:     global_buffer
      - .actual_access:  write_only
        .address_space:  global
        .offset:         136
        .size:           8
        .value_kind:     global_buffer
      - .offset:         144
        .size:           4
        .value_kind:     by_value
      - .offset:         148
        .size:           4
        .value_kind:     by_value
      - .offset:         152
        .size:           4
        .value_kind:     by_value
      - .offset:         156
        .size:           4
        .value_kind:     by_value
      - .offset:         160
        .size:           1
        .value_kind:     by_value
      - .offset:         161
        .size:           1
        .value_kind:     by_value
      - .offset:         162
        .size:           1
        .value_kind:     by_value
    .group_segment_fixed_size: 18432
    .kernarg_segment_align: 8
    .kernarg_segment_size: 164
    .language:       OpenCL C
    .language_version:
      - 2
      - 0
    .max_flat_workgroup_size: 256
    .name:           _ZN9rocsparseL27bsrgemm_fill_wf_per_row_2x2ILj256ELj16ELj32ELj137Eli21rocsparse_complex_numIfEEEv20rocsparse_direction_T4_S4_PKS4_S6_NS_24const_host_device_scalarIT5_EEPKT3_S6_PKS8_SC_S6_SE_S9_SC_S6_SE_SC_PS4_PS8_21rocsparse_index_base_SH_SH_SH_bbb
    .private_segment_fixed_size: 0
    .sgpr_count:     63
    .sgpr_spill_count: 0
    .symbol:         _ZN9rocsparseL27bsrgemm_fill_wf_per_row_2x2ILj256ELj16ELj32ELj137Eli21rocsparse_complex_numIfEEEv20rocsparse_direction_T4_S4_PKS4_S6_NS_24const_host_device_scalarIT5_EEPKT3_S6_PKS8_SC_S6_SE_S9_SC_S6_SE_SC_PS4_PS8_21rocsparse_index_base_SH_SH_SH_bbb.kd
    .uniform_work_group_size: 1
    .uses_dynamic_stack: false
    .vgpr_count:     43
    .vgpr_spill_count: 0
    .wavefront_size: 64
  - .agpr_count:     0
    .args:
      - .offset:         0
        .size:           4
        .value_kind:     by_value
      - .offset:         4
        .size:           4
        .value_kind:     by_value
      - .offset:         8
        .size:           4
        .value_kind:     by_value
      - .actual_access:  read_only
        .address_space:  global
        .offset:         16
        .size:           8
        .value_kind:     global_buffer
      - .actual_access:  read_only
        .address_space:  global
        .offset:         24
        .size:           8
        .value_kind:     global_buffer
      - .offset:         32
        .size:           8
        .value_kind:     by_value
      - .actual_access:  read_only
        .address_space:  global
        .offset:         40
        .size:           8
        .value_kind:     global_buffer
      - .actual_access:  read_only
        .address_space:  global
        .offset:         48
        .size:           8
        .value_kind:     global_buffer
      - .actual_access:  read_only
        .address_space:  global
        .offset:         56
        .size:           8
        .value_kind:     global_buffer
      - .actual_access:  read_only
        .address_space:  global
        .offset:         64
        .size:           8
        .value_kind:     global_buffer
      - .actual_access:  read_only
        .address_space:  global
        .offset:         72
        .size:           8
        .value_kind:     global_buffer
      - .actual_access:  read_only
        .address_space:  global
        .offset:         80
        .size:           8
        .value_kind:     global_buffer
      - .offset:         88
        .size:           8
        .value_kind:     by_value
      - .actual_access:  read_only
        .address_space:  global
        .offset:         96
        .size:           8
        .value_kind:     global_buffer
      - .actual_access:  read_only
        .address_space:  global
        .offset:         104
        .size:           8
        .value_kind:     global_buffer
      - .actual_access:  read_only
        .address_space:  global
        .offset:         112
        .size:           8
        .value_kind:     global_buffer
      - .actual_access:  read_only
        .address_space:  global
        .offset:         120
        .size:           8
        .value_kind:     global_buffer
      - .actual_access:  write_only
        .address_space:  global
        .offset:         128
        .size:           8
        .value_kind:     global_buffer
      - .actual_access:  write_only
        .address_space:  global
        .offset:         136
        .size:           8
        .value_kind:     global_buffer
      - .offset:         144
        .size:           4
        .value_kind:     by_value
      - .offset:         148
        .size:           4
        .value_kind:     by_value
      - .offset:         152
        .size:           4
        .value_kind:     by_value
      - .offset:         156
        .size:           4
        .value_kind:     by_value
      - .offset:         160
        .size:           1
        .value_kind:     by_value
      - .offset:         161
        .size:           1
        .value_kind:     by_value
      - .offset:         162
        .size:           1
        .value_kind:     by_value
    .group_segment_fixed_size: 0
    .kernarg_segment_align: 8
    .kernarg_segment_size: 164
    .language:       OpenCL C
    .language_version:
      - 2
      - 0
    .max_flat_workgroup_size: 256
    .name:           _ZN9rocsparseL30bsrgemm_fill_block_per_row_2x2ILj256ELj16ELj64ELj137Eli21rocsparse_complex_numIfEEEv20rocsparse_direction_T4_S4_PKS4_S6_NS_24const_host_device_scalarIT5_EEPKT3_S6_PKS8_SC_S6_SE_S9_SC_S6_SE_SC_PS4_PS8_21rocsparse_index_base_SH_SH_SH_bbb
    .private_segment_fixed_size: 0
    .sgpr_count:     68
    .sgpr_spill_count: 0
    .symbol:         _ZN9rocsparseL30bsrgemm_fill_block_per_row_2x2ILj256ELj16ELj64ELj137Eli21rocsparse_complex_numIfEEEv20rocsparse_direction_T4_S4_PKS4_S6_NS_24const_host_device_scalarIT5_EEPKT3_S6_PKS8_SC_S6_SE_S9_SC_S6_SE_SC_PS4_PS8_21rocsparse_index_base_SH_SH_SH_bbb.kd
    .uniform_work_group_size: 1
    .uses_dynamic_stack: false
    .vgpr_count:     38
    .vgpr_spill_count: 0
    .wavefront_size: 64
  - .agpr_count:     0
    .args:
      - .offset:         0
        .size:           4
        .value_kind:     by_value
      - .offset:         4
        .size:           4
        .value_kind:     by_value
      - .offset:         8
        .size:           4
        .value_kind:     by_value
      - .actual_access:  read_only
        .address_space:  global
        .offset:         16
        .size:           8
        .value_kind:     global_buffer
      - .actual_access:  read_only
        .address_space:  global
        .offset:         24
        .size:           8
        .value_kind:     global_buffer
      - .offset:         32
        .size:           8
        .value_kind:     by_value
      - .actual_access:  read_only
        .address_space:  global
        .offset:         40
        .size:           8
        .value_kind:     global_buffer
      - .actual_access:  read_only
        .address_space:  global
        .offset:         48
        .size:           8
        .value_kind:     global_buffer
      - .actual_access:  read_only
        .address_space:  global
        .offset:         56
        .size:           8
        .value_kind:     global_buffer
      - .actual_access:  read_only
        .address_space:  global
        .offset:         64
        .size:           8
        .value_kind:     global_buffer
      - .actual_access:  read_only
        .address_space:  global
        .offset:         72
        .size:           8
        .value_kind:     global_buffer
      - .actual_access:  read_only
        .address_space:  global
        .offset:         80
        .size:           8
        .value_kind:     global_buffer
      - .offset:         88
        .size:           8
        .value_kind:     by_value
      - .actual_access:  read_only
        .address_space:  global
        .offset:         96
        .size:           8
        .value_kind:     global_buffer
      - .actual_access:  read_only
        .address_space:  global
        .offset:         104
        .size:           8
        .value_kind:     global_buffer
      - .actual_access:  read_only
        .address_space:  global
        .offset:         112
        .size:           8
        .value_kind:     global_buffer
      - .actual_access:  read_only
        .address_space:  global
        .offset:         120
        .size:           8
        .value_kind:     global_buffer
      - .actual_access:  write_only
        .address_space:  global
        .offset:         128
        .size:           8
        .value_kind:     global_buffer
      - .actual_access:  write_only
        .address_space:  global
        .offset:         136
        .size:           8
        .value_kind:     global_buffer
      - .offset:         144
        .size:           4
        .value_kind:     by_value
      - .offset:         148
        .size:           4
        .value_kind:     by_value
      - .offset:         152
        .size:           4
        .value_kind:     by_value
      - .offset:         156
        .size:           4
        .value_kind:     by_value
      - .offset:         160
        .size:           1
        .value_kind:     by_value
      - .offset:         161
        .size:           1
        .value_kind:     by_value
      - .offset:         162
        .size:           1
        .value_kind:     by_value
    .group_segment_fixed_size: 0
    .kernarg_segment_align: 8
    .kernarg_segment_size: 164
    .language:       OpenCL C
    .language_version:
      - 2
      - 0
    .max_flat_workgroup_size: 256
    .name:           _ZN9rocsparseL30bsrgemm_fill_block_per_row_2x2ILj256ELj16ELj128ELj137Eli21rocsparse_complex_numIfEEEv20rocsparse_direction_T4_S4_PKS4_S6_NS_24const_host_device_scalarIT5_EEPKT3_S6_PKS8_SC_S6_SE_S9_SC_S6_SE_SC_PS4_PS8_21rocsparse_index_base_SH_SH_SH_bbb
    .private_segment_fixed_size: 0
    .sgpr_count:     68
    .sgpr_spill_count: 0
    .symbol:         _ZN9rocsparseL30bsrgemm_fill_block_per_row_2x2ILj256ELj16ELj128ELj137Eli21rocsparse_complex_numIfEEEv20rocsparse_direction_T4_S4_PKS4_S6_NS_24const_host_device_scalarIT5_EEPKT3_S6_PKS8_SC_S6_SE_S9_SC_S6_SE_SC_PS4_PS8_21rocsparse_index_base_SH_SH_SH_bbb.kd
    .uniform_work_group_size: 1
    .uses_dynamic_stack: false
    .vgpr_count:     38
    .vgpr_spill_count: 0
    .wavefront_size: 64
  - .agpr_count:     0
    .args:
      - .offset:         0
        .size:           4
        .value_kind:     by_value
      - .offset:         4
        .size:           4
        .value_kind:     by_value
      - .offset:         8
        .size:           4
        .value_kind:     by_value
      - .actual_access:  read_only
        .address_space:  global
        .offset:         16
        .size:           8
        .value_kind:     global_buffer
      - .actual_access:  read_only
        .address_space:  global
        .offset:         24
        .size:           8
        .value_kind:     global_buffer
      - .offset:         32
        .size:           8
        .value_kind:     by_value
      - .actual_access:  read_only
        .address_space:  global
        .offset:         40
        .size:           8
        .value_kind:     global_buffer
      - .actual_access:  read_only
        .address_space:  global
        .offset:         48
        .size:           8
        .value_kind:     global_buffer
      - .actual_access:  read_only
        .address_space:  global
        .offset:         56
        .size:           8
        .value_kind:     global_buffer
      - .actual_access:  read_only
        .address_space:  global
        .offset:         64
        .size:           8
        .value_kind:     global_buffer
      - .actual_access:  read_only
        .address_space:  global
        .offset:         72
        .size:           8
        .value_kind:     global_buffer
      - .actual_access:  read_only
        .address_space:  global
        .offset:         80
        .size:           8
        .value_kind:     global_buffer
      - .offset:         88
        .size:           8
        .value_kind:     by_value
      - .actual_access:  read_only
        .address_space:  global
        .offset:         96
        .size:           8
        .value_kind:     global_buffer
      - .actual_access:  read_only
        .address_space:  global
        .offset:         104
        .size:           8
        .value_kind:     global_buffer
      - .actual_access:  read_only
        .address_space:  global
        .offset:         112
        .size:           8
        .value_kind:     global_buffer
      - .actual_access:  read_only
        .address_space:  global
        .offset:         120
        .size:           8
        .value_kind:     global_buffer
      - .actual_access:  write_only
        .address_space:  global
        .offset:         128
        .size:           8
        .value_kind:     global_buffer
      - .actual_access:  write_only
        .address_space:  global
        .offset:         136
        .size:           8
        .value_kind:     global_buffer
      - .offset:         144
        .size:           4
        .value_kind:     by_value
      - .offset:         148
        .size:           4
        .value_kind:     by_value
      - .offset:         152
        .size:           4
        .value_kind:     by_value
      - .offset:         156
        .size:           4
        .value_kind:     by_value
      - .offset:         160
        .size:           1
        .value_kind:     by_value
      - .offset:         161
        .size:           1
        .value_kind:     by_value
      - .offset:         162
        .size:           1
        .value_kind:     by_value
    .group_segment_fixed_size: 0
    .kernarg_segment_align: 8
    .kernarg_segment_size: 164
    .language:       OpenCL C
    .language_version:
      - 2
      - 0
    .max_flat_workgroup_size: 256
    .name:           _ZN9rocsparseL30bsrgemm_fill_block_per_row_2x2ILj256ELj16ELj256ELj137Eli21rocsparse_complex_numIfEEEv20rocsparse_direction_T4_S4_PKS4_S6_NS_24const_host_device_scalarIT5_EEPKT3_S6_PKS8_SC_S6_SE_S9_SC_S6_SE_SC_PS4_PS8_21rocsparse_index_base_SH_SH_SH_bbb
    .private_segment_fixed_size: 0
    .sgpr_count:     68
    .sgpr_spill_count: 0
    .symbol:         _ZN9rocsparseL30bsrgemm_fill_block_per_row_2x2ILj256ELj16ELj256ELj137Eli21rocsparse_complex_numIfEEEv20rocsparse_direction_T4_S4_PKS4_S6_NS_24const_host_device_scalarIT5_EEPKT3_S6_PKS8_SC_S6_SE_S9_SC_S6_SE_SC_PS4_PS8_21rocsparse_index_base_SH_SH_SH_bbb.kd
    .uniform_work_group_size: 1
    .uses_dynamic_stack: false
    .vgpr_count:     38
    .vgpr_spill_count: 0
    .wavefront_size: 64
  - .agpr_count:     0
    .args:
      - .offset:         0
        .size:           4
        .value_kind:     by_value
      - .offset:         4
        .size:           4
        .value_kind:     by_value
      - .offset:         8
        .size:           4
        .value_kind:     by_value
      - .actual_access:  read_only
        .address_space:  global
        .offset:         16
        .size:           8
        .value_kind:     global_buffer
      - .actual_access:  read_only
        .address_space:  global
        .offset:         24
        .size:           8
        .value_kind:     global_buffer
      - .offset:         32
        .size:           8
        .value_kind:     by_value
      - .actual_access:  read_only
        .address_space:  global
        .offset:         40
        .size:           8
        .value_kind:     global_buffer
      - .actual_access:  read_only
        .address_space:  global
        .offset:         48
        .size:           8
        .value_kind:     global_buffer
      - .actual_access:  read_only
        .address_space:  global
        .offset:         56
        .size:           8
        .value_kind:     global_buffer
      - .actual_access:  read_only
        .address_space:  global
        .offset:         64
        .size:           8
        .value_kind:     global_buffer
      - .actual_access:  read_only
        .address_space:  global
        .offset:         72
        .size:           8
        .value_kind:     global_buffer
      - .actual_access:  read_only
        .address_space:  global
        .offset:         80
        .size:           8
        .value_kind:     global_buffer
      - .offset:         88
        .size:           8
        .value_kind:     by_value
      - .actual_access:  read_only
        .address_space:  global
        .offset:         96
        .size:           8
        .value_kind:     global_buffer
      - .actual_access:  read_only
        .address_space:  global
        .offset:         104
        .size:           8
        .value_kind:     global_buffer
      - .actual_access:  read_only
        .address_space:  global
        .offset:         112
        .size:           8
        .value_kind:     global_buffer
      - .actual_access:  read_only
        .address_space:  global
        .offset:         120
        .size:           8
        .value_kind:     global_buffer
      - .actual_access:  write_only
        .address_space:  global
        .offset:         128
        .size:           8
        .value_kind:     global_buffer
      - .actual_access:  write_only
        .address_space:  global
        .offset:         136
        .size:           8
        .value_kind:     global_buffer
      - .offset:         144
        .size:           4
        .value_kind:     by_value
      - .offset:         148
        .size:           4
        .value_kind:     by_value
      - .offset:         152
        .size:           4
        .value_kind:     by_value
      - .offset:         156
        .size:           4
        .value_kind:     by_value
      - .offset:         160
        .size:           1
        .value_kind:     by_value
      - .offset:         161
        .size:           1
        .value_kind:     by_value
      - .offset:         162
        .size:           1
        .value_kind:     by_value
    .group_segment_fixed_size: 0
    .kernarg_segment_align: 8
    .kernarg_segment_size: 164
    .language:       OpenCL C
    .language_version:
      - 2
      - 0
    .max_flat_workgroup_size: 256
    .name:           _ZN9rocsparseL30bsrgemm_fill_block_per_row_2x2ILj256ELj16ELj512ELj137Eli21rocsparse_complex_numIfEEEv20rocsparse_direction_T4_S4_PKS4_S6_NS_24const_host_device_scalarIT5_EEPKT3_S6_PKS8_SC_S6_SE_S9_SC_S6_SE_SC_PS4_PS8_21rocsparse_index_base_SH_SH_SH_bbb
    .private_segment_fixed_size: 0
    .sgpr_count:     68
    .sgpr_spill_count: 0
    .symbol:         _ZN9rocsparseL30bsrgemm_fill_block_per_row_2x2ILj256ELj16ELj512ELj137Eli21rocsparse_complex_numIfEEEv20rocsparse_direction_T4_S4_PKS4_S6_NS_24const_host_device_scalarIT5_EEPKT3_S6_PKS8_SC_S6_SE_S9_SC_S6_SE_SC_PS4_PS8_21rocsparse_index_base_SH_SH_SH_bbb.kd
    .uniform_work_group_size: 1
    .uses_dynamic_stack: false
    .vgpr_count:     36
    .vgpr_spill_count: 0
    .wavefront_size: 64
  - .agpr_count:     0
    .args:
      - .offset:         0
        .size:           4
        .value_kind:     by_value
      - .offset:         4
        .size:           4
        .value_kind:     by_value
      - .offset:         8
        .size:           4
        .value_kind:     by_value
      - .actual_access:  read_only
        .address_space:  global
        .offset:         16
        .size:           8
        .value_kind:     global_buffer
      - .actual_access:  read_only
        .address_space:  global
        .offset:         24
        .size:           8
        .value_kind:     global_buffer
      - .offset:         32
        .size:           8
        .value_kind:     by_value
      - .actual_access:  read_only
        .address_space:  global
        .offset:         40
        .size:           8
        .value_kind:     global_buffer
      - .actual_access:  read_only
        .address_space:  global
        .offset:         48
        .size:           8
        .value_kind:     global_buffer
      - .actual_access:  read_only
        .address_space:  global
        .offset:         56
        .size:           8
        .value_kind:     global_buffer
      - .actual_access:  read_only
        .address_space:  global
        .offset:         64
        .size:           8
        .value_kind:     global_buffer
      - .actual_access:  read_only
        .address_space:  global
        .offset:         72
        .size:           8
        .value_kind:     global_buffer
      - .actual_access:  read_only
        .address_space:  global
        .offset:         80
        .size:           8
        .value_kind:     global_buffer
      - .offset:         88
        .size:           8
        .value_kind:     by_value
      - .actual_access:  read_only
        .address_space:  global
        .offset:         96
        .size:           8
        .value_kind:     global_buffer
      - .actual_access:  read_only
        .address_space:  global
        .offset:         104
        .size:           8
        .value_kind:     global_buffer
      - .actual_access:  read_only
        .address_space:  global
        .offset:         112
        .size:           8
        .value_kind:     global_buffer
      - .actual_access:  read_only
        .address_space:  global
        .offset:         120
        .size:           8
        .value_kind:     global_buffer
      - .actual_access:  write_only
        .address_space:  global
        .offset:         128
        .size:           8
        .value_kind:     global_buffer
      - .actual_access:  write_only
        .address_space:  global
        .offset:         136
        .size:           8
        .value_kind:     global_buffer
      - .address_space:  global
        .offset:         144
        .size:           8
        .value_kind:     global_buffer
      - .offset:         152
        .size:           4
        .value_kind:     by_value
      - .offset:         156
        .size:           4
        .value_kind:     by_value
      - .offset:         160
        .size:           4
        .value_kind:     by_value
      - .offset:         164
        .size:           4
        .value_kind:     by_value
      - .offset:         168
        .size:           1
        .value_kind:     by_value
      - .offset:         169
        .size:           1
        .value_kind:     by_value
      - .offset:         170
        .size:           1
        .value_kind:     by_value
    .group_segment_fixed_size: 11268
    .kernarg_segment_align: 8
    .kernarg_segment_size: 172
    .language:       OpenCL C
    .language_version:
      - 2
      - 0
    .max_flat_workgroup_size: 256
    .name:           _ZN9rocsparseL38bsrgemm_block_per_row_atomic_multipassILj256ELj256ELj2Eli21rocsparse_complex_numIfEEEv20rocsparse_direction_T3_S4_PKS4_S6_NS_24const_host_device_scalarIT4_EEPKT2_S6_PKS8_SC_S6_SE_S9_SC_S6_SE_SC_PS4_PS8_PSA_21rocsparse_index_base_SI_SI_SI_bbb
    .private_segment_fixed_size: 0
    .sgpr_count:     100
    .sgpr_spill_count: 15
    .symbol:         _ZN9rocsparseL38bsrgemm_block_per_row_atomic_multipassILj256ELj256ELj2Eli21rocsparse_complex_numIfEEEv20rocsparse_direction_T3_S4_PKS4_S6_NS_24const_host_device_scalarIT4_EEPKT2_S6_PKS8_SC_S6_SE_S9_SC_S6_SE_SC_PS4_PS8_PSA_21rocsparse_index_base_SI_SI_SI_bbb.kd
    .uniform_work_group_size: 1
    .uses_dynamic_stack: false
    .vgpr_count:     64
    .vgpr_spill_count: 0
    .wavefront_size: 64
  - .agpr_count:     0
    .args:
      - .offset:         0
        .size:           4
        .value_kind:     by_value
      - .offset:         4
        .size:           4
        .value_kind:     by_value
      - .offset:         8
        .size:           4
        .value_kind:     by_value
      - .offset:         12
        .size:           4
        .value_kind:     by_value
      - .actual_access:  read_only
        .address_space:  global
        .offset:         16
        .size:           8
        .value_kind:     global_buffer
      - .actual_access:  read_only
        .address_space:  global
        .offset:         24
        .size:           8
        .value_kind:     global_buffer
      - .offset:         32
        .size:           8
        .value_kind:     by_value
      - .actual_access:  read_only
        .address_space:  global
        .offset:         40
        .size:           8
        .value_kind:     global_buffer
      - .actual_access:  read_only
        .address_space:  global
        .offset:         48
        .size:           8
        .value_kind:     global_buffer
      - .actual_access:  read_only
        .address_space:  global
        .offset:         56
        .size:           8
        .value_kind:     global_buffer
      - .actual_access:  read_only
        .address_space:  global
        .offset:         64
        .size:           8
        .value_kind:     global_buffer
      - .actual_access:  read_only
        .address_space:  global
        .offset:         72
        .size:           8
        .value_kind:     global_buffer
      - .actual_access:  read_only
        .address_space:  global
        .offset:         80
        .size:           8
        .value_kind:     global_buffer
      - .offset:         88
        .size:           8
        .value_kind:     by_value
      - .actual_access:  read_only
        .address_space:  global
        .offset:         96
        .size:           8
        .value_kind:     global_buffer
      - .actual_access:  read_only
        .address_space:  global
        .offset:         104
        .size:           8
        .value_kind:     global_buffer
      - .actual_access:  read_only
        .address_space:  global
        .offset:         112
        .size:           8
        .value_kind:     global_buffer
      - .actual_access:  read_only
        .address_space:  global
        .offset:         120
        .size:           8
        .value_kind:     global_buffer
      - .actual_access:  write_only
        .address_space:  global
        .offset:         128
        .size:           8
        .value_kind:     global_buffer
      - .actual_access:  write_only
        .address_space:  global
        .offset:         136
        .size:           8
        .value_kind:     global_buffer
      - .offset:         144
        .size:           4
        .value_kind:     by_value
      - .offset:         148
        .size:           4
        .value_kind:     by_value
      - .offset:         152
        .size:           4
        .value_kind:     by_value
      - .offset:         156
        .size:           4
        .value_kind:     by_value
      - .offset:         160
        .size:           1
        .value_kind:     by_value
      - .offset:         161
        .size:           1
        .value_kind:     by_value
      - .offset:         162
        .size:           1
        .value_kind:     by_value
    .group_segment_fixed_size: 4224
    .kernarg_segment_align: 8
    .kernarg_segment_size: 164
    .language:       OpenCL C
    .language_version:
      - 2
      - 0
    .max_flat_workgroup_size: 256
    .name:           _ZN9rocsparseL23bsrgemm_fill_wf_per_rowILj256ELj64ELj8ELj137ELj4Eli21rocsparse_complex_numIfEEEv20rocsparse_direction_T5_S4_S4_PKS4_S6_NS_24const_host_device_scalarIT6_EEPKT4_S6_PKS8_SC_S6_SE_S9_SC_S6_SE_SC_PS4_PS8_21rocsparse_index_base_SH_SH_SH_bbb
    .private_segment_fixed_size: 0
    .sgpr_count:     74
    .sgpr_spill_count: 0
    .symbol:         _ZN9rocsparseL23bsrgemm_fill_wf_per_rowILj256ELj64ELj8ELj137ELj4Eli21rocsparse_complex_numIfEEEv20rocsparse_direction_T5_S4_S4_PKS4_S6_NS_24const_host_device_scalarIT6_EEPKT4_S6_PKS8_SC_S6_SE_S9_SC_S6_SE_SC_PS4_PS8_21rocsparse_index_base_SH_SH_SH_bbb.kd
    .uniform_work_group_size: 1
    .uses_dynamic_stack: false
    .vgpr_count:     44
    .vgpr_spill_count: 0
    .wavefront_size: 64
  - .agpr_count:     0
    .args:
      - .offset:         0
        .size:           4
        .value_kind:     by_value
      - .offset:         4
        .size:           4
        .value_kind:     by_value
      - .offset:         8
        .size:           4
        .value_kind:     by_value
      - .offset:         12
        .size:           4
        .value_kind:     by_value
      - .actual_access:  read_only
        .address_space:  global
        .offset:         16
        .size:           8
        .value_kind:     global_buffer
      - .actual_access:  read_only
        .address_space:  global
        .offset:         24
        .size:           8
        .value_kind:     global_buffer
      - .offset:         32
        .size:           8
        .value_kind:     by_value
      - .actual_access:  read_only
        .address_space:  global
        .offset:         40
        .size:           8
        .value_kind:     global_buffer
      - .actual_access:  read_only
        .address_space:  global
        .offset:         48
        .size:           8
        .value_kind:     global_buffer
      - .actual_access:  read_only
        .address_space:  global
        .offset:         56
        .size:           8
        .value_kind:     global_buffer
      - .actual_access:  read_only
        .address_space:  global
        .offset:         64
        .size:           8
        .value_kind:     global_buffer
      - .actual_access:  read_only
        .address_space:  global
        .offset:         72
        .size:           8
        .value_kind:     global_buffer
      - .actual_access:  read_only
        .address_space:  global
        .offset:         80
        .size:           8
        .value_kind:     global_buffer
      - .offset:         88
        .size:           8
        .value_kind:     by_value
      - .actual_access:  read_only
        .address_space:  global
        .offset:         96
        .size:           8
        .value_kind:     global_buffer
      - .actual_access:  read_only
        .address_space:  global
        .offset:         104
        .size:           8
        .value_kind:     global_buffer
      - .actual_access:  read_only
        .address_space:  global
        .offset:         112
        .size:           8
        .value_kind:     global_buffer
      - .actual_access:  read_only
        .address_space:  global
        .offset:         120
        .size:           8
        .value_kind:     global_buffer
      - .actual_access:  write_only
        .address_space:  global
        .offset:         128
        .size:           8
        .value_kind:     global_buffer
      - .actual_access:  write_only
        .address_space:  global
        .offset:         136
        .size:           8
        .value_kind:     global_buffer
      - .offset:         144
        .size:           4
        .value_kind:     by_value
      - .offset:         148
        .size:           4
        .value_kind:     by_value
      - .offset:         152
        .size:           4
        .value_kind:     by_value
      - .offset:         156
        .size:           4
        .value_kind:     by_value
      - .offset:         160
        .size:           1
        .value_kind:     by_value
      - .offset:         161
        .size:           1
        .value_kind:     by_value
      - .offset:         162
        .size:           1
        .value_kind:     by_value
    .group_segment_fixed_size: 8448
    .kernarg_segment_align: 8
    .kernarg_segment_size: 164
    .language:       OpenCL C
    .language_version:
      - 2
      - 0
    .max_flat_workgroup_size: 256
    .name:           _ZN9rocsparseL23bsrgemm_fill_wf_per_rowILj256ELj64ELj16ELj137ELj4Eli21rocsparse_complex_numIfEEEv20rocsparse_direction_T5_S4_S4_PKS4_S6_NS_24const_host_device_scalarIT6_EEPKT4_S6_PKS8_SC_S6_SE_S9_SC_S6_SE_SC_PS4_PS8_21rocsparse_index_base_SH_SH_SH_bbb
    .private_segment_fixed_size: 0
    .sgpr_count:     74
    .sgpr_spill_count: 0
    .symbol:         _ZN9rocsparseL23bsrgemm_fill_wf_per_rowILj256ELj64ELj16ELj137ELj4Eli21rocsparse_complex_numIfEEEv20rocsparse_direction_T5_S4_S4_PKS4_S6_NS_24const_host_device_scalarIT6_EEPKT4_S6_PKS8_SC_S6_SE_S9_SC_S6_SE_SC_PS4_PS8_21rocsparse_index_base_SH_SH_SH_bbb.kd
    .uniform_work_group_size: 1
    .uses_dynamic_stack: false
    .vgpr_count:     44
    .vgpr_spill_count: 0
    .wavefront_size: 64
  - .agpr_count:     0
    .args:
      - .offset:         0
        .size:           4
        .value_kind:     by_value
      - .offset:         4
        .size:           4
        .value_kind:     by_value
      - .offset:         8
        .size:           4
        .value_kind:     by_value
      - .actual_access:  read_only
        .address_space:  global
        .offset:         16
        .size:           8
        .value_kind:     global_buffer
      - .actual_access:  read_only
        .address_space:  global
        .offset:         24
        .size:           8
        .value_kind:     global_buffer
      - .offset:         32
        .size:           8
        .value_kind:     by_value
      - .actual_access:  read_only
        .address_space:  global
        .offset:         40
        .size:           8
        .value_kind:     global_buffer
      - .actual_access:  read_only
        .address_space:  global
        .offset:         48
        .size:           8
        .value_kind:     global_buffer
      - .actual_access:  read_only
        .address_space:  global
        .offset:         56
        .size:           8
        .value_kind:     global_buffer
      - .actual_access:  read_only
        .address_space:  global
        .offset:         64
        .size:           8
        .value_kind:     global_buffer
      - .actual_access:  read_only
        .address_space:  global
        .offset:         72
        .size:           8
        .value_kind:     global_buffer
      - .actual_access:  read_only
        .address_space:  global
        .offset:         80
        .size:           8
        .value_kind:     global_buffer
      - .offset:         88
        .size:           8
        .value_kind:     by_value
      - .actual_access:  read_only
        .address_space:  global
        .offset:         96
        .size:           8
        .value_kind:     global_buffer
      - .actual_access:  read_only
        .address_space:  global
        .offset:         104
        .size:           8
        .value_kind:     global_buffer
      - .actual_access:  read_only
        .address_space:  global
        .offset:         112
        .size:           8
        .value_kind:     global_buffer
      - .actual_access:  read_only
        .address_space:  global
        .offset:         120
        .size:           8
        .value_kind:     global_buffer
      - .actual_access:  write_only
        .address_space:  global
        .offset:         128
        .size:           8
        .value_kind:     global_buffer
      - .actual_access:  write_only
        .address_space:  global
        .offset:         136
        .size:           8
        .value_kind:     global_buffer
      - .address_space:  global
        .offset:         144
        .size:           8
        .value_kind:     global_buffer
      - .offset:         152
        .size:           4
        .value_kind:     by_value
      - .offset:         156
        .size:           4
        .value_kind:     by_value
      - .offset:         160
        .size:           4
        .value_kind:     by_value
      - .offset:         164
        .size:           4
        .value_kind:     by_value
      - .offset:         168
        .size:           1
        .value_kind:     by_value
      - .offset:         169
        .size:           1
        .value_kind:     by_value
      - .offset:         170
        .size:           1
        .value_kind:     by_value
    .group_segment_fixed_size: 6276
    .kernarg_segment_align: 8
    .kernarg_segment_size: 172
    .language:       OpenCL C
    .language_version:
      - 2
      - 0
    .max_flat_workgroup_size: 256
    .name:           _ZN9rocsparseL38bsrgemm_block_per_row_atomic_multipassILj256ELj32ELj4Eli21rocsparse_complex_numIfEEEv20rocsparse_direction_T3_S4_PKS4_S6_NS_24const_host_device_scalarIT4_EEPKT2_S6_PKS8_SC_S6_SE_S9_SC_S6_SE_SC_PS4_PS8_PSA_21rocsparse_index_base_SI_SI_SI_bbb
    .private_segment_fixed_size: 0
    .sgpr_count:     100
    .sgpr_spill_count: 8
    .symbol:         _ZN9rocsparseL38bsrgemm_block_per_row_atomic_multipassILj256ELj32ELj4Eli21rocsparse_complex_numIfEEEv20rocsparse_direction_T3_S4_PKS4_S6_NS_24const_host_device_scalarIT4_EEPKT2_S6_PKS8_SC_S6_SE_S9_SC_S6_SE_SC_PS4_PS8_PSA_21rocsparse_index_base_SI_SI_SI_bbb.kd
    .uniform_work_group_size: 1
    .uses_dynamic_stack: false
    .vgpr_count:     60
    .vgpr_spill_count: 0
    .wavefront_size: 64
  - .agpr_count:     0
    .args:
      - .offset:         0
        .size:           4
        .value_kind:     by_value
      - .offset:         4
        .size:           4
        .value_kind:     by_value
      - .offset:         8
        .size:           4
        .value_kind:     by_value
      - .actual_access:  read_only
        .address_space:  global
        .offset:         16
        .size:           8
        .value_kind:     global_buffer
      - .actual_access:  read_only
        .address_space:  global
        .offset:         24
        .size:           8
        .value_kind:     global_buffer
      - .offset:         32
        .size:           8
        .value_kind:     by_value
      - .actual_access:  read_only
        .address_space:  global
        .offset:         40
        .size:           8
        .value_kind:     global_buffer
      - .actual_access:  read_only
        .address_space:  global
        .offset:         48
        .size:           8
        .value_kind:     global_buffer
      - .actual_access:  read_only
        .address_space:  global
        .offset:         56
        .size:           8
        .value_kind:     global_buffer
      - .actual_access:  read_only
        .address_space:  global
        .offset:         64
        .size:           8
        .value_kind:     global_buffer
      - .actual_access:  read_only
        .address_space:  global
        .offset:         72
        .size:           8
        .value_kind:     global_buffer
      - .actual_access:  read_only
        .address_space:  global
        .offset:         80
        .size:           8
        .value_kind:     global_buffer
      - .offset:         88
        .size:           8
        .value_kind:     by_value
      - .actual_access:  read_only
        .address_space:  global
        .offset:         96
        .size:           8
        .value_kind:     global_buffer
      - .actual_access:  read_only
        .address_space:  global
        .offset:         104
        .size:           8
        .value_kind:     global_buffer
      - .actual_access:  read_only
        .address_space:  global
        .offset:         112
        .size:           8
        .value_kind:     global_buffer
      - .actual_access:  read_only
        .address_space:  global
        .offset:         120
        .size:           8
        .value_kind:     global_buffer
      - .actual_access:  write_only
        .address_space:  global
        .offset:         128
        .size:           8
        .value_kind:     global_buffer
      - .actual_access:  write_only
        .address_space:  global
        .offset:         136
        .size:           8
        .value_kind:     global_buffer
      - .address_space:  global
        .offset:         144
        .size:           8
        .value_kind:     global_buffer
      - .offset:         152
        .size:           4
        .value_kind:     by_value
      - .offset:         156
        .size:           4
        .value_kind:     by_value
      - .offset:         160
        .size:           4
        .value_kind:     by_value
      - .offset:         164
        .size:           4
        .value_kind:     by_value
      - .offset:         168
        .size:           1
        .value_kind:     by_value
      - .offset:         169
        .size:           1
        .value_kind:     by_value
      - .offset:         170
        .size:           1
        .value_kind:     by_value
    .group_segment_fixed_size: 10500
    .kernarg_segment_align: 8
    .kernarg_segment_size: 172
    .language:       OpenCL C
    .language_version:
      - 2
      - 0
    .max_flat_workgroup_size: 256
    .name:           _ZN9rocsparseL38bsrgemm_block_per_row_atomic_multipassILj256ELj64ELj4Eli21rocsparse_complex_numIfEEEv20rocsparse_direction_T3_S4_PKS4_S6_NS_24const_host_device_scalarIT4_EEPKT2_S6_PKS8_SC_S6_SE_S9_SC_S6_SE_SC_PS4_PS8_PSA_21rocsparse_index_base_SI_SI_SI_bbb
    .private_segment_fixed_size: 0
    .sgpr_count:     100
    .sgpr_spill_count: 8
    .symbol:         _ZN9rocsparseL38bsrgemm_block_per_row_atomic_multipassILj256ELj64ELj4Eli21rocsparse_complex_numIfEEEv20rocsparse_direction_T3_S4_PKS4_S6_NS_24const_host_device_scalarIT4_EEPKT2_S6_PKS8_SC_S6_SE_S9_SC_S6_SE_SC_PS4_PS8_PSA_21rocsparse_index_base_SI_SI_SI_bbb.kd
    .uniform_work_group_size: 1
    .uses_dynamic_stack: false
    .vgpr_count:     62
    .vgpr_spill_count: 0
    .wavefront_size: 64
  - .agpr_count:     0
    .args:
      - .offset:         0
        .size:           4
        .value_kind:     by_value
      - .offset:         4
        .size:           4
        .value_kind:     by_value
      - .offset:         8
        .size:           4
        .value_kind:     by_value
      - .actual_access:  read_only
        .address_space:  global
        .offset:         16
        .size:           8
        .value_kind:     global_buffer
      - .actual_access:  read_only
        .address_space:  global
        .offset:         24
        .size:           8
        .value_kind:     global_buffer
      - .offset:         32
        .size:           8
        .value_kind:     by_value
      - .actual_access:  read_only
        .address_space:  global
        .offset:         40
        .size:           8
        .value_kind:     global_buffer
      - .actual_access:  read_only
        .address_space:  global
        .offset:         48
        .size:           8
        .value_kind:     global_buffer
      - .actual_access:  read_only
        .address_space:  global
        .offset:         56
        .size:           8
        .value_kind:     global_buffer
      - .actual_access:  read_only
        .address_space:  global
        .offset:         64
        .size:           8
        .value_kind:     global_buffer
      - .actual_access:  read_only
        .address_space:  global
        .offset:         72
        .size:           8
        .value_kind:     global_buffer
      - .actual_access:  read_only
        .address_space:  global
        .offset:         80
        .size:           8
        .value_kind:     global_buffer
      - .offset:         88
        .size:           8
        .value_kind:     by_value
      - .actual_access:  read_only
        .address_space:  global
        .offset:         96
        .size:           8
        .value_kind:     global_buffer
      - .actual_access:  read_only
        .address_space:  global
        .offset:         104
        .size:           8
        .value_kind:     global_buffer
      - .actual_access:  read_only
        .address_space:  global
        .offset:         112
        .size:           8
        .value_kind:     global_buffer
      - .actual_access:  read_only
        .address_space:  global
        .offset:         120
        .size:           8
        .value_kind:     global_buffer
      - .actual_access:  write_only
        .address_space:  global
        .offset:         128
        .size:           8
        .value_kind:     global_buffer
      - .actual_access:  write_only
        .address_space:  global
        .offset:         136
        .size:           8
        .value_kind:     global_buffer
      - .address_space:  global
        .offset:         144
        .size:           8
        .value_kind:     global_buffer
      - .offset:         152
        .size:           4
        .value_kind:     by_value
      - .offset:         156
        .size:           4
        .value_kind:     by_value
      - .offset:         160
        .size:           4
        .value_kind:     by_value
      - .offset:         164
        .size:           4
        .value_kind:     by_value
      - .offset:         168
        .size:           1
        .value_kind:     by_value
      - .offset:         169
        .size:           1
        .value_kind:     by_value
      - .offset:         170
        .size:           1
        .value_kind:     by_value
    .group_segment_fixed_size: 18948
    .kernarg_segment_align: 8
    .kernarg_segment_size: 172
    .language:       OpenCL C
    .language_version:
      - 2
      - 0
    .max_flat_workgroup_size: 256
    .name:           _ZN9rocsparseL38bsrgemm_block_per_row_atomic_multipassILj256ELj128ELj4Eli21rocsparse_complex_numIfEEEv20rocsparse_direction_T3_S4_PKS4_S6_NS_24const_host_device_scalarIT4_EEPKT2_S6_PKS8_SC_S6_SE_S9_SC_S6_SE_SC_PS4_PS8_PSA_21rocsparse_index_base_SI_SI_SI_bbb
    .private_segment_fixed_size: 0
    .sgpr_count:     99
    .sgpr_spill_count: 13
    .symbol:         _ZN9rocsparseL38bsrgemm_block_per_row_atomic_multipassILj256ELj128ELj4Eli21rocsparse_complex_numIfEEEv20rocsparse_direction_T3_S4_PKS4_S6_NS_24const_host_device_scalarIT4_EEPKT2_S6_PKS8_SC_S6_SE_S9_SC_S6_SE_SC_PS4_PS8_PSA_21rocsparse_index_base_SI_SI_SI_bbb.kd
    .uniform_work_group_size: 1
    .uses_dynamic_stack: false
    .vgpr_count:     64
    .vgpr_spill_count: 0
    .wavefront_size: 64
  - .agpr_count:     0
    .args:
      - .offset:         0
        .size:           4
        .value_kind:     by_value
      - .offset:         4
        .size:           4
        .value_kind:     by_value
      - .offset:         8
        .size:           4
        .value_kind:     by_value
      - .offset:         12
        .size:           4
        .value_kind:     by_value
      - .actual_access:  read_only
        .address_space:  global
        .offset:         16
        .size:           8
        .value_kind:     global_buffer
      - .actual_access:  read_only
        .address_space:  global
        .offset:         24
        .size:           8
        .value_kind:     global_buffer
      - .offset:         32
        .size:           8
        .value_kind:     by_value
      - .actual_access:  read_only
        .address_space:  global
        .offset:         40
        .size:           8
        .value_kind:     global_buffer
      - .actual_access:  read_only
        .address_space:  global
        .offset:         48
        .size:           8
        .value_kind:     global_buffer
      - .actual_access:  read_only
        .address_space:  global
        .offset:         56
        .size:           8
        .value_kind:     global_buffer
      - .actual_access:  read_only
        .address_space:  global
        .offset:         64
        .size:           8
        .value_kind:     global_buffer
      - .actual_access:  read_only
        .address_space:  global
        .offset:         72
        .size:           8
        .value_kind:     global_buffer
      - .actual_access:  read_only
        .address_space:  global
        .offset:         80
        .size:           8
        .value_kind:     global_buffer
      - .offset:         88
        .size:           8
        .value_kind:     by_value
      - .actual_access:  read_only
        .address_space:  global
        .offset:         96
        .size:           8
        .value_kind:     global_buffer
      - .actual_access:  read_only
        .address_space:  global
        .offset:         104
        .size:           8
        .value_kind:     global_buffer
      - .actual_access:  read_only
        .address_space:  global
        .offset:         112
        .size:           8
        .value_kind:     global_buffer
      - .actual_access:  read_only
        .address_space:  global
        .offset:         120
        .size:           8
        .value_kind:     global_buffer
      - .actual_access:  write_only
        .address_space:  global
        .offset:         128
        .size:           8
        .value_kind:     global_buffer
      - .actual_access:  write_only
        .address_space:  global
        .offset:         136
        .size:           8
        .value_kind:     global_buffer
      - .offset:         144
        .size:           4
        .value_kind:     by_value
      - .offset:         148
        .size:           4
        .value_kind:     by_value
      - .offset:         152
        .size:           4
        .value_kind:     by_value
      - .offset:         156
        .size:           4
        .value_kind:     by_value
      - .offset:         160
        .size:           1
        .value_kind:     by_value
      - .offset:         161
        .size:           1
        .value_kind:     by_value
      - .offset:         162
        .size:           1
        .value_kind:     by_value
    .group_segment_fixed_size: 16512
    .kernarg_segment_align: 8
    .kernarg_segment_size: 164
    .language:       OpenCL C
    .language_version:
      - 2
      - 0
    .max_flat_workgroup_size: 256
    .name:           _ZN9rocsparseL23bsrgemm_fill_wf_per_rowILj256ELj64ELj8ELj137ELj8Eli21rocsparse_complex_numIfEEEv20rocsparse_direction_T5_S4_S4_PKS4_S6_NS_24const_host_device_scalarIT6_EEPKT4_S6_PKS8_SC_S6_SE_S9_SC_S6_SE_SC_PS4_PS8_21rocsparse_index_base_SH_SH_SH_bbb
    .private_segment_fixed_size: 0
    .sgpr_count:     72
    .sgpr_spill_count: 0
    .symbol:         _ZN9rocsparseL23bsrgemm_fill_wf_per_rowILj256ELj64ELj8ELj137ELj8Eli21rocsparse_complex_numIfEEEv20rocsparse_direction_T5_S4_S4_PKS4_S6_NS_24const_host_device_scalarIT6_EEPKT4_S6_PKS8_SC_S6_SE_S9_SC_S6_SE_SC_PS4_PS8_21rocsparse_index_base_SH_SH_SH_bbb.kd
    .uniform_work_group_size: 1
    .uses_dynamic_stack: false
    .vgpr_count:     44
    .vgpr_spill_count: 0
    .wavefront_size: 64
  - .agpr_count:     0
    .args:
      - .offset:         0
        .size:           4
        .value_kind:     by_value
      - .offset:         4
        .size:           4
        .value_kind:     by_value
      - .offset:         8
        .size:           4
        .value_kind:     by_value
      - .actual_access:  read_only
        .address_space:  global
        .offset:         16
        .size:           8
        .value_kind:     global_buffer
      - .actual_access:  read_only
        .address_space:  global
        .offset:         24
        .size:           8
        .value_kind:     global_buffer
      - .offset:         32
        .size:           8
        .value_kind:     by_value
      - .actual_access:  read_only
        .address_space:  global
        .offset:         40
        .size:           8
        .value_kind:     global_buffer
      - .actual_access:  read_only
        .address_space:  global
        .offset:         48
        .size:           8
        .value_kind:     global_buffer
      - .actual_access:  read_only
        .address_space:  global
        .offset:         56
        .size:           8
        .value_kind:     global_buffer
      - .actual_access:  read_only
        .address_space:  global
        .offset:         64
        .size:           8
        .value_kind:     global_buffer
      - .actual_access:  read_only
        .address_space:  global
        .offset:         72
        .size:           8
        .value_kind:     global_buffer
      - .actual_access:  read_only
        .address_space:  global
        .offset:         80
        .size:           8
        .value_kind:     global_buffer
      - .offset:         88
        .size:           8
        .value_kind:     by_value
      - .actual_access:  read_only
        .address_space:  global
        .offset:         96
        .size:           8
        .value_kind:     global_buffer
      - .actual_access:  read_only
        .address_space:  global
        .offset:         104
        .size:           8
        .value_kind:     global_buffer
      - .actual_access:  read_only
        .address_space:  global
        .offset:         112
        .size:           8
        .value_kind:     global_buffer
      - .actual_access:  read_only
        .address_space:  global
        .offset:         120
        .size:           8
        .value_kind:     global_buffer
      - .actual_access:  write_only
        .address_space:  global
        .offset:         128
        .size:           8
        .value_kind:     global_buffer
      - .actual_access:  write_only
        .address_space:  global
        .offset:         136
        .size:           8
        .value_kind:     global_buffer
      - .address_space:  global
        .offset:         144
        .size:           8
        .value_kind:     global_buffer
      - .offset:         152
        .size:           4
        .value_kind:     by_value
      - .offset:         156
        .size:           4
        .value_kind:     by_value
      - .offset:         160
        .size:           4
        .value_kind:     by_value
      - .offset:         164
        .size:           4
        .value_kind:     by_value
      - .offset:         168
        .size:           1
        .value_kind:     by_value
      - .offset:         169
        .size:           1
        .value_kind:     by_value
      - .offset:         170
        .size:           1
        .value_kind:     by_value
    .group_segment_fixed_size: 10308
    .kernarg_segment_align: 8
    .kernarg_segment_size: 172
    .language:       OpenCL C
    .language_version:
      - 2
      - 0
    .max_flat_workgroup_size: 256
    .name:           _ZN9rocsparseL38bsrgemm_block_per_row_atomic_multipassILj256ELj16ELj8Eli21rocsparse_complex_numIfEEEv20rocsparse_direction_T3_S4_PKS4_S6_NS_24const_host_device_scalarIT4_EEPKT2_S6_PKS8_SC_S6_SE_S9_SC_S6_SE_SC_PS4_PS8_PSA_21rocsparse_index_base_SI_SI_SI_bbb
    .private_segment_fixed_size: 0
    .sgpr_count:     97
    .sgpr_spill_count: 0
    .symbol:         _ZN9rocsparseL38bsrgemm_block_per_row_atomic_multipassILj256ELj16ELj8Eli21rocsparse_complex_numIfEEEv20rocsparse_direction_T3_S4_PKS4_S6_NS_24const_host_device_scalarIT4_EEPKT2_S6_PKS8_SC_S6_SE_S9_SC_S6_SE_SC_PS4_PS8_PSA_21rocsparse_index_base_SI_SI_SI_bbb.kd
    .uniform_work_group_size: 1
    .uses_dynamic_stack: false
    .vgpr_count:     59
    .vgpr_spill_count: 0
    .wavefront_size: 64
  - .agpr_count:     0
    .args:
      - .offset:         0
        .size:           4
        .value_kind:     by_value
      - .offset:         4
        .size:           4
        .value_kind:     by_value
      - .offset:         8
        .size:           4
        .value_kind:     by_value
      - .actual_access:  read_only
        .address_space:  global
        .offset:         16
        .size:           8
        .value_kind:     global_buffer
      - .actual_access:  read_only
        .address_space:  global
        .offset:         24
        .size:           8
        .value_kind:     global_buffer
      - .offset:         32
        .size:           8
        .value_kind:     by_value
      - .actual_access:  read_only
        .address_space:  global
        .offset:         40
        .size:           8
        .value_kind:     global_buffer
      - .actual_access:  read_only
        .address_space:  global
        .offset:         48
        .size:           8
        .value_kind:     global_buffer
      - .actual_access:  read_only
        .address_space:  global
        .offset:         56
        .size:           8
        .value_kind:     global_buffer
      - .actual_access:  read_only
        .address_space:  global
        .offset:         64
        .size:           8
        .value_kind:     global_buffer
      - .actual_access:  read_only
        .address_space:  global
        .offset:         72
        .size:           8
        .value_kind:     global_buffer
      - .actual_access:  read_only
        .address_space:  global
        .offset:         80
        .size:           8
        .value_kind:     global_buffer
      - .offset:         88
        .size:           8
        .value_kind:     by_value
      - .actual_access:  read_only
        .address_space:  global
        .offset:         96
        .size:           8
        .value_kind:     global_buffer
      - .actual_access:  read_only
        .address_space:  global
        .offset:         104
        .size:           8
        .value_kind:     global_buffer
      - .actual_access:  read_only
        .address_space:  global
        .offset:         112
        .size:           8
        .value_kind:     global_buffer
      - .actual_access:  read_only
        .address_space:  global
        .offset:         120
        .size:           8
        .value_kind:     global_buffer
      - .actual_access:  write_only
        .address_space:  global
        .offset:         128
        .size:           8
        .value_kind:     global_buffer
      - .actual_access:  write_only
        .address_space:  global
        .offset:         136
        .size:           8
        .value_kind:     global_buffer
      - .address_space:  global
        .offset:         144
        .size:           8
        .value_kind:     global_buffer
      - .offset:         152
        .size:           4
        .value_kind:     by_value
      - .offset:         156
        .size:           4
        .value_kind:     by_value
      - .offset:         160
        .size:           4
        .value_kind:     by_value
      - .offset:         164
        .size:           4
        .value_kind:     by_value
      - .offset:         168
        .size:           1
        .value_kind:     by_value
      - .offset:         169
        .size:           1
        .value_kind:     by_value
      - .offset:         170
        .size:           1
        .value_kind:     by_value
    .group_segment_fixed_size: 18564
    .kernarg_segment_align: 8
    .kernarg_segment_size: 172
    .language:       OpenCL C
    .language_version:
      - 2
      - 0
    .max_flat_workgroup_size: 256
    .name:           _ZN9rocsparseL38bsrgemm_block_per_row_atomic_multipassILj256ELj32ELj8Eli21rocsparse_complex_numIfEEEv20rocsparse_direction_T3_S4_PKS4_S6_NS_24const_host_device_scalarIT4_EEPKT2_S6_PKS8_SC_S6_SE_S9_SC_S6_SE_SC_PS4_PS8_PSA_21rocsparse_index_base_SI_SI_SI_bbb
    .private_segment_fixed_size: 0
    .sgpr_count:     100
    .sgpr_spill_count: 10
    .symbol:         _ZN9rocsparseL38bsrgemm_block_per_row_atomic_multipassILj256ELj32ELj8Eli21rocsparse_complex_numIfEEEv20rocsparse_direction_T3_S4_PKS4_S6_NS_24const_host_device_scalarIT4_EEPKT2_S6_PKS8_SC_S6_SE_S9_SC_S6_SE_SC_PS4_PS8_PSA_21rocsparse_index_base_SI_SI_SI_bbb.kd
    .uniform_work_group_size: 1
    .uses_dynamic_stack: false
    .vgpr_count:     62
    .vgpr_spill_count: 0
    .wavefront_size: 64
  - .agpr_count:     0
    .args:
      - .offset:         0
        .size:           4
        .value_kind:     by_value
      - .offset:         4
        .size:           4
        .value_kind:     by_value
      - .offset:         8
        .size:           4
        .value_kind:     by_value
      - .actual_access:  read_only
        .address_space:  global
        .offset:         16
        .size:           8
        .value_kind:     global_buffer
      - .actual_access:  read_only
        .address_space:  global
        .offset:         24
        .size:           8
        .value_kind:     global_buffer
      - .offset:         32
        .size:           8
        .value_kind:     by_value
      - .actual_access:  read_only
        .address_space:  global
        .offset:         40
        .size:           8
        .value_kind:     global_buffer
      - .actual_access:  read_only
        .address_space:  global
        .offset:         48
        .size:           8
        .value_kind:     global_buffer
      - .actual_access:  read_only
        .address_space:  global
        .offset:         56
        .size:           8
        .value_kind:     global_buffer
      - .actual_access:  read_only
        .address_space:  global
        .offset:         64
        .size:           8
        .value_kind:     global_buffer
      - .actual_access:  read_only
        .address_space:  global
        .offset:         72
        .size:           8
        .value_kind:     global_buffer
      - .actual_access:  read_only
        .address_space:  global
        .offset:         80
        .size:           8
        .value_kind:     global_buffer
      - .offset:         88
        .size:           8
        .value_kind:     by_value
      - .actual_access:  read_only
        .address_space:  global
        .offset:         96
        .size:           8
        .value_kind:     global_buffer
      - .actual_access:  read_only
        .address_space:  global
        .offset:         104
        .size:           8
        .value_kind:     global_buffer
      - .actual_access:  read_only
        .address_space:  global
        .offset:         112
        .size:           8
        .value_kind:     global_buffer
      - .actual_access:  read_only
        .address_space:  global
        .offset:         120
        .size:           8
        .value_kind:     global_buffer
      - .actual_access:  write_only
        .address_space:  global
        .offset:         128
        .size:           8
        .value_kind:     global_buffer
      - .actual_access:  write_only
        .address_space:  global
        .offset:         136
        .size:           8
        .value_kind:     global_buffer
      - .address_space:  global
        .offset:         144
        .size:           8
        .value_kind:     global_buffer
      - .offset:         152
        .size:           4
        .value_kind:     by_value
      - .offset:         156
        .size:           4
        .value_kind:     by_value
      - .offset:         160
        .size:           4
        .value_kind:     by_value
      - .offset:         164
        .size:           4
        .value_kind:     by_value
      - .offset:         168
        .size:           1
        .value_kind:     by_value
      - .offset:         169
        .size:           1
        .value_kind:     by_value
      - .offset:         170
        .size:           1
        .value_kind:     by_value
    .group_segment_fixed_size: 16392
    .kernarg_segment_align: 8
    .kernarg_segment_size: 172
    .language:       OpenCL C
    .language_version:
      - 2
      - 0
    .max_flat_workgroup_size: 256
    .name:           _ZN9rocsparseL31bsrgemm_block_per_row_multipassILj256ELj8ELj16Eli21rocsparse_complex_numIfEEEv20rocsparse_direction_T3_S4_PKS4_S6_NS_24const_host_device_scalarIT4_EEPKT2_S6_PKS8_SC_S6_SE_S9_SC_S6_SE_SC_PS4_PS8_PSA_21rocsparse_index_base_SI_SI_SI_bbb
    .private_segment_fixed_size: 0
    .sgpr_count:     85
    .sgpr_spill_count: 0
    .symbol:         _ZN9rocsparseL31bsrgemm_block_per_row_multipassILj256ELj8ELj16Eli21rocsparse_complex_numIfEEEv20rocsparse_direction_T3_S4_PKS4_S6_NS_24const_host_device_scalarIT4_EEPKT2_S6_PKS8_SC_S6_SE_S9_SC_S6_SE_SC_PS4_PS8_PSA_21rocsparse_index_base_SI_SI_SI_bbb.kd
    .uniform_work_group_size: 1
    .uses_dynamic_stack: false
    .vgpr_count:     54
    .vgpr_spill_count: 0
    .wavefront_size: 64
  - .agpr_count:     0
    .args:
      - .offset:         0
        .size:           4
        .value_kind:     by_value
      - .offset:         4
        .size:           4
        .value_kind:     by_value
      - .offset:         8
        .size:           4
        .value_kind:     by_value
      - .actual_access:  read_only
        .address_space:  global
        .offset:         16
        .size:           8
        .value_kind:     global_buffer
      - .actual_access:  read_only
        .address_space:  global
        .offset:         24
        .size:           8
        .value_kind:     global_buffer
      - .offset:         32
        .size:           8
        .value_kind:     by_value
      - .actual_access:  read_only
        .address_space:  global
        .offset:         40
        .size:           8
        .value_kind:     global_buffer
      - .actual_access:  read_only
        .address_space:  global
        .offset:         48
        .size:           8
        .value_kind:     global_buffer
      - .actual_access:  read_only
        .address_space:  global
        .offset:         56
        .size:           8
        .value_kind:     global_buffer
      - .actual_access:  read_only
        .address_space:  global
        .offset:         64
        .size:           8
        .value_kind:     global_buffer
      - .actual_access:  read_only
        .address_space:  global
        .offset:         72
        .size:           8
        .value_kind:     global_buffer
      - .actual_access:  read_only
        .address_space:  global
        .offset:         80
        .size:           8
        .value_kind:     global_buffer
      - .offset:         88
        .size:           8
        .value_kind:     by_value
      - .actual_access:  read_only
        .address_space:  global
        .offset:         96
        .size:           8
        .value_kind:     global_buffer
      - .actual_access:  read_only
        .address_space:  global
        .offset:         104
        .size:           8
        .value_kind:     global_buffer
      - .actual_access:  read_only
        .address_space:  global
        .offset:         112
        .size:           8
        .value_kind:     global_buffer
      - .actual_access:  read_only
        .address_space:  global
        .offset:         120
        .size:           8
        .value_kind:     global_buffer
      - .actual_access:  write_only
        .address_space:  global
        .offset:         128
        .size:           8
        .value_kind:     global_buffer
      - .actual_access:  write_only
        .address_space:  global
        .offset:         136
        .size:           8
        .value_kind:     global_buffer
      - .address_space:  global
        .offset:         144
        .size:           8
        .value_kind:     global_buffer
      - .offset:         152
        .size:           4
        .value_kind:     by_value
      - .offset:         156
        .size:           4
        .value_kind:     by_value
      - .offset:         160
        .size:           4
        .value_kind:     by_value
      - .offset:         164
        .size:           4
        .value_kind:     by_value
      - .offset:         168
        .size:           1
        .value_kind:     by_value
      - .offset:         169
        .size:           1
        .value_kind:     by_value
      - .offset:         170
        .size:           1
        .value_kind:     by_value
    .group_segment_fixed_size: 16388
    .kernarg_segment_align: 8
    .kernarg_segment_size: 172
    .language:       OpenCL C
    .language_version:
      - 2
      - 0
    .max_flat_workgroup_size: 256
    .name:           _ZN9rocsparseL31bsrgemm_block_per_row_multipassILj256ELj2ELj32Eli21rocsparse_complex_numIfEEEv20rocsparse_direction_T3_S4_PKS4_S6_NS_24const_host_device_scalarIT4_EEPKT2_S6_PKS8_SC_S6_SE_S9_SC_S6_SE_SC_PS4_PS8_PSA_21rocsparse_index_base_SI_SI_SI_bbb
    .private_segment_fixed_size: 0
    .sgpr_count:     100
    .sgpr_spill_count: 2
    .symbol:         _ZN9rocsparseL31bsrgemm_block_per_row_multipassILj256ELj2ELj32Eli21rocsparse_complex_numIfEEEv20rocsparse_direction_T3_S4_PKS4_S6_NS_24const_host_device_scalarIT4_EEPKT2_S6_PKS8_SC_S6_SE_S9_SC_S6_SE_SC_PS4_PS8_PSA_21rocsparse_index_base_SI_SI_SI_bbb.kd
    .uniform_work_group_size: 1
    .uses_dynamic_stack: false
    .vgpr_count:     90
    .vgpr_spill_count: 0
    .wavefront_size: 64
  - .agpr_count:     0
    .args:
      - .offset:         0
        .size:           4
        .value_kind:     by_value
      - .actual_access:  read_only
        .address_space:  global
        .offset:         8
        .size:           8
        .value_kind:     global_buffer
      - .actual_access:  write_only
        .address_space:  global
        .offset:         16
        .size:           8
        .value_kind:     global_buffer
      - .actual_access:  write_only
        .address_space:  global
        .offset:         24
        .size:           8
        .value_kind:     global_buffer
      - .offset:         32
        .size:           4
        .value_kind:     hidden_block_count_x
      - .offset:         36
        .size:           4
        .value_kind:     hidden_block_count_y
      - .offset:         40
        .size:           4
        .value_kind:     hidden_block_count_z
      - .offset:         44
        .size:           2
        .value_kind:     hidden_group_size_x
      - .offset:         46
        .size:           2
        .value_kind:     hidden_group_size_y
      - .offset:         48
        .size:           2
        .value_kind:     hidden_group_size_z
      - .offset:         50
        .size:           2
        .value_kind:     hidden_remainder_x
      - .offset:         52
        .size:           2
        .value_kind:     hidden_remainder_y
      - .offset:         54
        .size:           2
        .value_kind:     hidden_remainder_z
      - .offset:         72
        .size:           8
        .value_kind:     hidden_global_offset_x
      - .offset:         80
        .size:           8
        .value_kind:     hidden_global_offset_y
      - .offset:         88
        .size:           8
        .value_kind:     hidden_global_offset_z
      - .offset:         96
        .size:           2
        .value_kind:     hidden_grid_dims
    .group_segment_fixed_size: 8192
    .kernarg_segment_align: 8
    .kernarg_segment_size: 288
    .language:       OpenCL C
    .language_version:
      - 2
      - 0
    .max_flat_workgroup_size: 256
    .name:           _ZN9rocsparseL26bsrgemm_group_reduce_part2ILj256ELj8ELj2E21rocsparse_complex_numIdEliEEvT4_PKT3_PS3_Pi
    .private_segment_fixed_size: 0
    .sgpr_count:     33
    .sgpr_spill_count: 0
    .symbol:         _ZN9rocsparseL26bsrgemm_group_reduce_part2ILj256ELj8ELj2E21rocsparse_complex_numIdEliEEvT4_PKT3_PS3_Pi.kd
    .uniform_work_group_size: 1
    .uses_dynamic_stack: false
    .vgpr_count:     18
    .vgpr_spill_count: 0
    .wavefront_size: 64
  - .agpr_count:     0
    .args:
      - .offset:         0
        .size:           4
        .value_kind:     by_value
      - .actual_access:  read_only
        .address_space:  global
        .offset:         8
        .size:           8
        .value_kind:     global_buffer
      - .actual_access:  write_only
        .address_space:  global
        .offset:         16
        .size:           8
        .value_kind:     global_buffer
      - .actual_access:  write_only
        .address_space:  global
        .offset:         24
        .size:           8
        .value_kind:     global_buffer
      - .offset:         32
        .size:           4
        .value_kind:     hidden_block_count_x
      - .offset:         36
        .size:           4
        .value_kind:     hidden_block_count_y
      - .offset:         40
        .size:           4
        .value_kind:     hidden_block_count_z
      - .offset:         44
        .size:           2
        .value_kind:     hidden_group_size_x
      - .offset:         46
        .size:           2
        .value_kind:     hidden_group_size_y
      - .offset:         48
        .size:           2
        .value_kind:     hidden_group_size_z
      - .offset:         50
        .size:           2
        .value_kind:     hidden_remainder_x
      - .offset:         52
        .size:           2
        .value_kind:     hidden_remainder_y
      - .offset:         54
        .size:           2
        .value_kind:     hidden_remainder_z
      - .offset:         72
        .size:           8
        .value_kind:     hidden_global_offset_x
      - .offset:         80
        .size:           8
        .value_kind:     hidden_global_offset_y
      - .offset:         88
        .size:           8
        .value_kind:     hidden_global_offset_z
      - .offset:         96
        .size:           2
        .value_kind:     hidden_grid_dims
    .group_segment_fixed_size: 8192
    .kernarg_segment_align: 8
    .kernarg_segment_size: 288
    .language:       OpenCL C
    .language_version:
      - 2
      - 0
    .max_flat_workgroup_size: 256
    .name:           _ZN9rocsparseL26bsrgemm_group_reduce_part2ILj256ELj8ELj8E21rocsparse_complex_numIdEliEEvT4_PKT3_PS3_Pi
    .private_segment_fixed_size: 0
    .sgpr_count:     38
    .sgpr_spill_count: 0
    .symbol:         _ZN9rocsparseL26bsrgemm_group_reduce_part2ILj256ELj8ELj8E21rocsparse_complex_numIdEliEEvT4_PKT3_PS3_Pi.kd
    .uniform_work_group_size: 1
    .uses_dynamic_stack: false
    .vgpr_count:     20
    .vgpr_spill_count: 0
    .wavefront_size: 64
  - .agpr_count:     0
    .args:
      - .offset:         0
        .size:           4
        .value_kind:     by_value
      - .offset:         4
        .size:           4
        .value_kind:     by_value
      - .offset:         8
        .size:           4
        .value_kind:     by_value
      - .actual_access:  read_only
        .address_space:  global
        .offset:         16
        .size:           8
        .value_kind:     global_buffer
      - .actual_access:  read_only
        .address_space:  global
        .offset:         24
        .size:           8
        .value_kind:     global_buffer
      - .offset:         32
        .size:           16
        .value_kind:     by_value
      - .actual_access:  read_only
        .address_space:  global
        .offset:         48
        .size:           8
        .value_kind:     global_buffer
      - .actual_access:  read_only
        .address_space:  global
        .offset:         56
        .size:           8
        .value_kind:     global_buffer
      - .actual_access:  read_only
        .address_space:  global
        .offset:         64
        .size:           8
        .value_kind:     global_buffer
      - .actual_access:  read_only
        .address_space:  global
        .offset:         72
        .size:           8
        .value_kind:     global_buffer
      - .actual_access:  read_only
        .address_space:  global
        .offset:         80
        .size:           8
        .value_kind:     global_buffer
      - .actual_access:  read_only
        .address_space:  global
        .offset:         88
        .size:           8
        .value_kind:     global_buffer
      - .offset:         96
        .size:           16
        .value_kind:     by_value
      - .actual_access:  read_only
        .address_space:  global
        .offset:         112
        .size:           8
        .value_kind:     global_buffer
      - .actual_access:  read_only
        .address_space:  global
        .offset:         120
        .size:           8
        .value_kind:     global_buffer
      - .actual_access:  read_only
        .address_space:  global
        .offset:         128
        .size:           8
        .value_kind:     global_buffer
      - .actual_access:  read_only
        .address_space:  global
        .offset:         136
        .size:           8
        .value_kind:     global_buffer
      - .actual_access:  write_only
        .address_space:  global
        .offset:         144
        .size:           8
        .value_kind:     global_buffer
      - .actual_access:  write_only
        .address_space:  global
        .offset:         152
        .size:           8
        .value_kind:     global_buffer
      - .offset:         160
        .size:           4
        .value_kind:     by_value
      - .offset:         164
        .size:           4
        .value_kind:     by_value
      - .offset:         168
        .size:           4
        .value_kind:     by_value
      - .offset:         172
        .size:           4
        .value_kind:     by_value
      - .offset:         176
        .size:           1
        .value_kind:     by_value
      - .offset:         177
        .size:           1
        .value_kind:     by_value
      - .offset:         178
        .size:           1
        .value_kind:     by_value
    .group_segment_fixed_size: 8704
    .kernarg_segment_align: 8
    .kernarg_segment_size: 180
    .language:       OpenCL C
    .language_version:
      - 2
      - 0
    .max_flat_workgroup_size: 256
    .name:           _ZN9rocsparseL27bsrgemm_fill_wf_per_row_2x2ILj256ELj16ELj8ELj137Eli21rocsparse_complex_numIdEEEv20rocsparse_direction_T4_S4_PKS4_S6_NS_24const_host_device_scalarIT5_EEPKT3_S6_PKS8_SC_S6_SE_S9_SC_S6_SE_SC_PS4_PS8_21rocsparse_index_base_SH_SH_SH_bbb
    .private_segment_fixed_size: 24
    .sgpr_count:     67
    .sgpr_spill_count: 0
    .symbol:         _ZN9rocsparseL27bsrgemm_fill_wf_per_row_2x2ILj256ELj16ELj8ELj137Eli21rocsparse_complex_numIdEEEv20rocsparse_direction_T4_S4_PKS4_S6_NS_24const_host_device_scalarIT5_EEPKT3_S6_PKS8_SC_S6_SE_S9_SC_S6_SE_SC_PS4_PS8_21rocsparse_index_base_SH_SH_SH_bbb.kd
    .uniform_work_group_size: 1
    .uses_dynamic_stack: false
    .vgpr_count:     67
    .vgpr_spill_count: 0
    .wavefront_size: 64
  - .agpr_count:     0
    .args:
      - .offset:         0
        .size:           4
        .value_kind:     by_value
      - .offset:         4
        .size:           4
        .value_kind:     by_value
      - .offset:         8
        .size:           4
        .value_kind:     by_value
      - .actual_access:  read_only
        .address_space:  global
        .offset:         16
        .size:           8
        .value_kind:     global_buffer
      - .actual_access:  read_only
        .address_space:  global
        .offset:         24
        .size:           8
        .value_kind:     global_buffer
      - .offset:         32
        .size:           16
        .value_kind:     by_value
      - .actual_access:  read_only
        .address_space:  global
        .offset:         48
        .size:           8
        .value_kind:     global_buffer
      - .actual_access:  read_only
        .address_space:  global
        .offset:         56
        .size:           8
        .value_kind:     global_buffer
      - .actual_access:  read_only
        .address_space:  global
        .offset:         64
        .size:           8
        .value_kind:     global_buffer
      - .actual_access:  read_only
        .address_space:  global
        .offset:         72
        .size:           8
        .value_kind:     global_buffer
      - .actual_access:  read_only
        .address_space:  global
        .offset:         80
        .size:           8
        .value_kind:     global_buffer
      - .actual_access:  read_only
        .address_space:  global
        .offset:         88
        .size:           8
        .value_kind:     global_buffer
      - .offset:         96
        .size:           16
        .value_kind:     by_value
      - .actual_access:  read_only
        .address_space:  global
        .offset:         112
        .size:           8
        .value_kind:     global_buffer
      - .actual_access:  read_only
        .address_space:  global
        .offset:         120
        .size:           8
        .value_kind:     global_buffer
      - .actual_access:  read_only
        .address_space:  global
        .offset:         128
        .size:           8
        .value_kind:     global_buffer
      - .actual_access:  read_only
        .address_space:  global
        .offset:         136
        .size:           8
        .value_kind:     global_buffer
      - .actual_access:  write_only
        .address_space:  global
        .offset:         144
        .size:           8
        .value_kind:     global_buffer
      - .actual_access:  write_only
        .address_space:  global
        .offset:         152
        .size:           8
        .value_kind:     global_buffer
      - .offset:         160
        .size:           4
        .value_kind:     by_value
      - .offset:         164
        .size:           4
        .value_kind:     by_value
      - .offset:         168
        .size:           4
        .value_kind:     by_value
      - .offset:         172
        .size:           4
        .value_kind:     by_value
      - .offset:         176
        .size:           1
        .value_kind:     by_value
      - .offset:         177
        .size:           1
        .value_kind:     by_value
      - .offset:         178
        .size:           1
        .value_kind:     by_value
    .group_segment_fixed_size: 21504
    .kernarg_segment_align: 8
    .kernarg_segment_size: 180
    .language:       OpenCL C
    .language_version:
      - 2
      - 0
    .max_flat_workgroup_size: 256
    .name:           _ZN9rocsparseL27bsrgemm_fill_wf_per_row_2x2ILj256ELj16ELj16ELj137Eli21rocsparse_complex_numIdEEEv20rocsparse_direction_T4_S4_PKS4_S6_NS_24const_host_device_scalarIT5_EEPKT3_S6_PKS8_SC_S6_SE_S9_SC_S6_SE_SC_PS4_PS8_21rocsparse_index_base_SH_SH_SH_bbb
    .private_segment_fixed_size: 0
    .sgpr_count:     60
    .sgpr_spill_count: 0
    .symbol:         _ZN9rocsparseL27bsrgemm_fill_wf_per_row_2x2ILj256ELj16ELj16ELj137Eli21rocsparse_complex_numIdEEEv20rocsparse_direction_T4_S4_PKS4_S6_NS_24const_host_device_scalarIT5_EEPKT3_S6_PKS8_SC_S6_SE_S9_SC_S6_SE_SC_PS4_PS8_21rocsparse_index_base_SH_SH_SH_bbb.kd
    .uniform_work_group_size: 1
    .uses_dynamic_stack: false
    .vgpr_count:     68
    .vgpr_spill_count: 0
    .wavefront_size: 64
  - .agpr_count:     0
    .args:
      - .offset:         0
        .size:           4
        .value_kind:     by_value
      - .offset:         4
        .size:           4
        .value_kind:     by_value
      - .offset:         8
        .size:           4
        .value_kind:     by_value
      - .actual_access:  read_only
        .address_space:  global
        .offset:         16
        .size:           8
        .value_kind:     global_buffer
      - .actual_access:  read_only
        .address_space:  global
        .offset:         24
        .size:           8
        .value_kind:     global_buffer
      - .offset:         32
        .size:           16
        .value_kind:     by_value
      - .actual_access:  read_only
        .address_space:  global
        .offset:         48
        .size:           8
        .value_kind:     global_buffer
      - .actual_access:  read_only
        .address_space:  global
        .offset:         56
        .size:           8
        .value_kind:     global_buffer
      - .actual_access:  read_only
        .address_space:  global
        .offset:         64
        .size:           8
        .value_kind:     global_buffer
      - .actual_access:  read_only
        .address_space:  global
        .offset:         72
        .size:           8
        .value_kind:     global_buffer
      - .actual_access:  read_only
        .address_space:  global
        .offset:         80
        .size:           8
        .value_kind:     global_buffer
      - .actual_access:  read_only
        .address_space:  global
        .offset:         88
        .size:           8
        .value_kind:     global_buffer
      - .offset:         96
        .size:           16
        .value_kind:     by_value
      - .actual_access:  read_only
        .address_space:  global
        .offset:         112
        .size:           8
        .value_kind:     global_buffer
      - .actual_access:  read_only
        .address_space:  global
        .offset:         120
        .size:           8
        .value_kind:     global_buffer
      - .actual_access:  read_only
        .address_space:  global
        .offset:         128
        .size:           8
        .value_kind:     global_buffer
      - .actual_access:  read_only
        .address_space:  global
        .offset:         136
        .size:           8
        .value_kind:     global_buffer
      - .actual_access:  write_only
        .address_space:  global
        .offset:         144
        .size:           8
        .value_kind:     global_buffer
      - .actual_access:  write_only
        .address_space:  global
        .offset:         152
        .size:           8
        .value_kind:     global_buffer
      - .offset:         160
        .size:           4
        .value_kind:     by_value
      - .offset:         164
        .size:           4
        .value_kind:     by_value
      - .offset:         168
        .size:           4
        .value_kind:     by_value
      - .offset:         172
        .size:           4
        .value_kind:     by_value
      - .offset:         176
        .size:           1
        .value_kind:     by_value
      - .offset:         177
        .size:           1
        .value_kind:     by_value
      - .offset:         178
        .size:           1
        .value_kind:     by_value
    .group_segment_fixed_size: 38912
    .kernarg_segment_align: 8
    .kernarg_segment_size: 180
    .language:       OpenCL C
    .language_version:
      - 2
      - 0
    .max_flat_workgroup_size: 256
    .name:           _ZN9rocsparseL27bsrgemm_fill_wf_per_row_2x2ILj256ELj16ELj32ELj137Eli21rocsparse_complex_numIdEEEv20rocsparse_direction_T4_S4_PKS4_S6_NS_24const_host_device_scalarIT5_EEPKT3_S6_PKS8_SC_S6_SE_S9_SC_S6_SE_SC_PS4_PS8_21rocsparse_index_base_SH_SH_SH_bbb
    .private_segment_fixed_size: 0
    .sgpr_count:     60
    .sgpr_spill_count: 0
    .symbol:         _ZN9rocsparseL27bsrgemm_fill_wf_per_row_2x2ILj256ELj16ELj32ELj137Eli21rocsparse_complex_numIdEEEv20rocsparse_direction_T4_S4_PKS4_S6_NS_24const_host_device_scalarIT5_EEPKT3_S6_PKS8_SC_S6_SE_S9_SC_S6_SE_SC_PS4_PS8_21rocsparse_index_base_SH_SH_SH_bbb.kd
    .uniform_work_group_size: 1
    .uses_dynamic_stack: false
    .vgpr_count:     69
    .vgpr_spill_count: 0
    .wavefront_size: 64
  - .agpr_count:     0
    .args:
      - .offset:         0
        .size:           4
        .value_kind:     by_value
      - .offset:         4
        .size:           4
        .value_kind:     by_value
      - .offset:         8
        .size:           4
        .value_kind:     by_value
      - .actual_access:  read_only
        .address_space:  global
        .offset:         16
        .size:           8
        .value_kind:     global_buffer
      - .actual_access:  read_only
        .address_space:  global
        .offset:         24
        .size:           8
        .value_kind:     global_buffer
      - .offset:         32
        .size:           16
        .value_kind:     by_value
      - .actual_access:  read_only
        .address_space:  global
        .offset:         48
        .size:           8
        .value_kind:     global_buffer
      - .actual_access:  read_only
        .address_space:  global
        .offset:         56
        .size:           8
        .value_kind:     global_buffer
      - .actual_access:  read_only
        .address_space:  global
        .offset:         64
        .size:           8
        .value_kind:     global_buffer
      - .actual_access:  read_only
        .address_space:  global
        .offset:         72
        .size:           8
        .value_kind:     global_buffer
      - .actual_access:  read_only
        .address_space:  global
        .offset:         80
        .size:           8
        .value_kind:     global_buffer
      - .actual_access:  read_only
        .address_space:  global
        .offset:         88
        .size:           8
        .value_kind:     global_buffer
      - .offset:         96
        .size:           16
        .value_kind:     by_value
      - .actual_access:  read_only
        .address_space:  global
        .offset:         112
        .size:           8
        .value_kind:     global_buffer
      - .actual_access:  read_only
        .address_space:  global
        .offset:         120
        .size:           8
        .value_kind:     global_buffer
      - .actual_access:  read_only
        .address_space:  global
        .offset:         128
        .size:           8
        .value_kind:     global_buffer
      - .actual_access:  read_only
        .address_space:  global
        .offset:         136
        .size:           8
        .value_kind:     global_buffer
      - .actual_access:  write_only
        .address_space:  global
        .offset:         144
        .size:           8
        .value_kind:     global_buffer
      - .actual_access:  write_only
        .address_space:  global
        .offset:         152
        .size:           8
        .value_kind:     global_buffer
      - .offset:         160
        .size:           4
        .value_kind:     by_value
      - .offset:         164
        .size:           4
        .value_kind:     by_value
      - .offset:         168
        .size:           4
        .value_kind:     by_value
      - .offset:         172
        .size:           4
        .value_kind:     by_value
      - .offset:         176
        .size:           1
        .value_kind:     by_value
      - .offset:         177
        .size:           1
        .value_kind:     by_value
      - .offset:         178
        .size:           1
        .value_kind:     by_value
    .group_segment_fixed_size: 0
    .kernarg_segment_align: 8
    .kernarg_segment_size: 180
    .language:       OpenCL C
    .language_version:
      - 2
      - 0
    .max_flat_workgroup_size: 256
    .name:           _ZN9rocsparseL30bsrgemm_fill_block_per_row_2x2ILj256ELj16ELj64ELj137Eli21rocsparse_complex_numIdEEEv20rocsparse_direction_T4_S4_PKS4_S6_NS_24const_host_device_scalarIT5_EEPKT3_S6_PKS8_SC_S6_SE_S9_SC_S6_SE_SC_PS4_PS8_21rocsparse_index_base_SH_SH_SH_bbb
    .private_segment_fixed_size: 24
    .sgpr_count:     60
    .sgpr_spill_count: 0
    .symbol:         _ZN9rocsparseL30bsrgemm_fill_block_per_row_2x2ILj256ELj16ELj64ELj137Eli21rocsparse_complex_numIdEEEv20rocsparse_direction_T4_S4_PKS4_S6_NS_24const_host_device_scalarIT5_EEPKT3_S6_PKS8_SC_S6_SE_S9_SC_S6_SE_SC_PS4_PS8_21rocsparse_index_base_SH_SH_SH_bbb.kd
    .uniform_work_group_size: 1
    .uses_dynamic_stack: false
    .vgpr_count:     64
    .vgpr_spill_count: 0
    .wavefront_size: 64
  - .agpr_count:     0
    .args:
      - .offset:         0
        .size:           4
        .value_kind:     by_value
      - .offset:         4
        .size:           4
        .value_kind:     by_value
      - .offset:         8
        .size:           4
        .value_kind:     by_value
      - .actual_access:  read_only
        .address_space:  global
        .offset:         16
        .size:           8
        .value_kind:     global_buffer
      - .actual_access:  read_only
        .address_space:  global
        .offset:         24
        .size:           8
        .value_kind:     global_buffer
      - .offset:         32
        .size:           16
        .value_kind:     by_value
      - .actual_access:  read_only
        .address_space:  global
        .offset:         48
        .size:           8
        .value_kind:     global_buffer
      - .actual_access:  read_only
        .address_space:  global
        .offset:         56
        .size:           8
        .value_kind:     global_buffer
      - .actual_access:  read_only
        .address_space:  global
        .offset:         64
        .size:           8
        .value_kind:     global_buffer
      - .actual_access:  read_only
        .address_space:  global
        .offset:         72
        .size:           8
        .value_kind:     global_buffer
      - .actual_access:  read_only
        .address_space:  global
        .offset:         80
        .size:           8
        .value_kind:     global_buffer
      - .actual_access:  read_only
        .address_space:  global
        .offset:         88
        .size:           8
        .value_kind:     global_buffer
      - .offset:         96
        .size:           16
        .value_kind:     by_value
      - .actual_access:  read_only
        .address_space:  global
        .offset:         112
        .size:           8
        .value_kind:     global_buffer
      - .actual_access:  read_only
        .address_space:  global
        .offset:         120
        .size:           8
        .value_kind:     global_buffer
      - .actual_access:  read_only
        .address_space:  global
        .offset:         128
        .size:           8
        .value_kind:     global_buffer
      - .actual_access:  read_only
        .address_space:  global
        .offset:         136
        .size:           8
        .value_kind:     global_buffer
      - .actual_access:  write_only
        .address_space:  global
        .offset:         144
        .size:           8
        .value_kind:     global_buffer
      - .actual_access:  write_only
        .address_space:  global
        .offset:         152
        .size:           8
        .value_kind:     global_buffer
      - .offset:         160
        .size:           4
        .value_kind:     by_value
      - .offset:         164
        .size:           4
        .value_kind:     by_value
      - .offset:         168
        .size:           4
        .value_kind:     by_value
      - .offset:         172
        .size:           4
        .value_kind:     by_value
      - .offset:         176
        .size:           1
        .value_kind:     by_value
      - .offset:         177
        .size:           1
        .value_kind:     by_value
      - .offset:         178
        .size:           1
        .value_kind:     by_value
    .group_segment_fixed_size: 0
    .kernarg_segment_align: 8
    .kernarg_segment_size: 180
    .language:       OpenCL C
    .language_version:
      - 2
      - 0
    .max_flat_workgroup_size: 256
    .name:           _ZN9rocsparseL30bsrgemm_fill_block_per_row_2x2ILj256ELj16ELj128ELj137Eli21rocsparse_complex_numIdEEEv20rocsparse_direction_T4_S4_PKS4_S6_NS_24const_host_device_scalarIT5_EEPKT3_S6_PKS8_SC_S6_SE_S9_SC_S6_SE_SC_PS4_PS8_21rocsparse_index_base_SH_SH_SH_bbb
    .private_segment_fixed_size: 24
    .sgpr_count:     70
    .sgpr_spill_count: 0
    .symbol:         _ZN9rocsparseL30bsrgemm_fill_block_per_row_2x2ILj256ELj16ELj128ELj137Eli21rocsparse_complex_numIdEEEv20rocsparse_direction_T4_S4_PKS4_S6_NS_24const_host_device_scalarIT5_EEPKT3_S6_PKS8_SC_S6_SE_S9_SC_S6_SE_SC_PS4_PS8_21rocsparse_index_base_SH_SH_SH_bbb.kd
    .uniform_work_group_size: 1
    .uses_dynamic_stack: false
    .vgpr_count:     64
    .vgpr_spill_count: 0
    .wavefront_size: 64
  - .agpr_count:     0
    .args:
      - .offset:         0
        .size:           4
        .value_kind:     by_value
      - .offset:         4
        .size:           4
        .value_kind:     by_value
      - .offset:         8
        .size:           4
        .value_kind:     by_value
      - .actual_access:  read_only
        .address_space:  global
        .offset:         16
        .size:           8
        .value_kind:     global_buffer
      - .actual_access:  read_only
        .address_space:  global
        .offset:         24
        .size:           8
        .value_kind:     global_buffer
      - .offset:         32
        .size:           16
        .value_kind:     by_value
      - .actual_access:  read_only
        .address_space:  global
        .offset:         48
        .size:           8
        .value_kind:     global_buffer
      - .actual_access:  read_only
        .address_space:  global
        .offset:         56
        .size:           8
        .value_kind:     global_buffer
      - .actual_access:  read_only
        .address_space:  global
        .offset:         64
        .size:           8
        .value_kind:     global_buffer
      - .actual_access:  read_only
        .address_space:  global
        .offset:         72
        .size:           8
        .value_kind:     global_buffer
      - .actual_access:  read_only
        .address_space:  global
        .offset:         80
        .size:           8
        .value_kind:     global_buffer
      - .actual_access:  read_only
        .address_space:  global
        .offset:         88
        .size:           8
        .value_kind:     global_buffer
      - .offset:         96
        .size:           16
        .value_kind:     by_value
      - .actual_access:  read_only
        .address_space:  global
        .offset:         112
        .size:           8
        .value_kind:     global_buffer
      - .actual_access:  read_only
        .address_space:  global
        .offset:         120
        .size:           8
        .value_kind:     global_buffer
      - .actual_access:  read_only
        .address_space:  global
        .offset:         128
        .size:           8
        .value_kind:     global_buffer
      - .actual_access:  read_only
        .address_space:  global
        .offset:         136
        .size:           8
        .value_kind:     global_buffer
      - .actual_access:  write_only
        .address_space:  global
        .offset:         144
        .size:           8
        .value_kind:     global_buffer
      - .actual_access:  write_only
        .address_space:  global
        .offset:         152
        .size:           8
        .value_kind:     global_buffer
      - .offset:         160
        .size:           4
        .value_kind:     by_value
      - .offset:         164
        .size:           4
        .value_kind:     by_value
      - .offset:         168
        .size:           4
        .value_kind:     by_value
      - .offset:         172
        .size:           4
        .value_kind:     by_value
      - .offset:         176
        .size:           1
        .value_kind:     by_value
      - .offset:         177
        .size:           1
        .value_kind:     by_value
      - .offset:         178
        .size:           1
        .value_kind:     by_value
    .group_segment_fixed_size: 0
    .kernarg_segment_align: 8
    .kernarg_segment_size: 180
    .language:       OpenCL C
    .language_version:
      - 2
      - 0
    .max_flat_workgroup_size: 256
    .name:           _ZN9rocsparseL30bsrgemm_fill_block_per_row_2x2ILj256ELj16ELj256ELj137Eli21rocsparse_complex_numIdEEEv20rocsparse_direction_T4_S4_PKS4_S6_NS_24const_host_device_scalarIT5_EEPKT3_S6_PKS8_SC_S6_SE_S9_SC_S6_SE_SC_PS4_PS8_21rocsparse_index_base_SH_SH_SH_bbb
    .private_segment_fixed_size: 24
    .sgpr_count:     70
    .sgpr_spill_count: 0
    .symbol:         _ZN9rocsparseL30bsrgemm_fill_block_per_row_2x2ILj256ELj16ELj256ELj137Eli21rocsparse_complex_numIdEEEv20rocsparse_direction_T4_S4_PKS4_S6_NS_24const_host_device_scalarIT5_EEPKT3_S6_PKS8_SC_S6_SE_S9_SC_S6_SE_SC_PS4_PS8_21rocsparse_index_base_SH_SH_SH_bbb.kd
    .uniform_work_group_size: 1
    .uses_dynamic_stack: false
    .vgpr_count:     64
    .vgpr_spill_count: 0
    .wavefront_size: 64
  - .agpr_count:     0
    .args:
      - .offset:         0
        .size:           4
        .value_kind:     by_value
      - .offset:         4
        .size:           4
        .value_kind:     by_value
      - .offset:         8
        .size:           4
        .value_kind:     by_value
      - .actual_access:  read_only
        .address_space:  global
        .offset:         16
        .size:           8
        .value_kind:     global_buffer
      - .actual_access:  read_only
        .address_space:  global
        .offset:         24
        .size:           8
        .value_kind:     global_buffer
      - .offset:         32
        .size:           16
        .value_kind:     by_value
      - .actual_access:  read_only
        .address_space:  global
        .offset:         48
        .size:           8
        .value_kind:     global_buffer
      - .actual_access:  read_only
        .address_space:  global
        .offset:         56
        .size:           8
        .value_kind:     global_buffer
      - .actual_access:  read_only
        .address_space:  global
        .offset:         64
        .size:           8
        .value_kind:     global_buffer
      - .actual_access:  read_only
        .address_space:  global
        .offset:         72
        .size:           8
        .value_kind:     global_buffer
      - .actual_access:  read_only
        .address_space:  global
        .offset:         80
        .size:           8
        .value_kind:     global_buffer
      - .actual_access:  read_only
        .address_space:  global
        .offset:         88
        .size:           8
        .value_kind:     global_buffer
      - .offset:         96
        .size:           16
        .value_kind:     by_value
      - .actual_access:  read_only
        .address_space:  global
        .offset:         112
        .size:           8
        .value_kind:     global_buffer
      - .actual_access:  read_only
        .address_space:  global
        .offset:         120
        .size:           8
        .value_kind:     global_buffer
      - .actual_access:  read_only
        .address_space:  global
        .offset:         128
        .size:           8
        .value_kind:     global_buffer
      - .actual_access:  read_only
        .address_space:  global
        .offset:         136
        .size:           8
        .value_kind:     global_buffer
      - .actual_access:  write_only
        .address_space:  global
        .offset:         144
        .size:           8
        .value_kind:     global_buffer
      - .actual_access:  write_only
        .address_space:  global
        .offset:         152
        .size:           8
        .value_kind:     global_buffer
      - .address_space:  global
        .offset:         160
        .size:           8
        .value_kind:     global_buffer
      - .offset:         168
        .size:           4
        .value_kind:     by_value
      - .offset:         172
        .size:           4
        .value_kind:     by_value
      - .offset:         176
        .size:           4
        .value_kind:     by_value
      - .offset:         180
        .size:           4
        .value_kind:     by_value
      - .offset:         184
        .size:           1
        .value_kind:     by_value
      - .offset:         185
        .size:           1
        .value_kind:     by_value
      - .offset:         186
        .size:           1
        .value_kind:     by_value
    .group_segment_fixed_size: 21512
    .kernarg_segment_align: 8
    .kernarg_segment_size: 188
    .language:       OpenCL C
    .language_version:
      - 2
      - 0
    .max_flat_workgroup_size: 256
    .name:           _ZN9rocsparseL38bsrgemm_block_per_row_atomic_multipassILj256ELj256ELj2Eli21rocsparse_complex_numIdEEEv20rocsparse_direction_T3_S4_PKS4_S6_NS_24const_host_device_scalarIT4_EEPKT2_S6_PKS8_SC_S6_SE_S9_SC_S6_SE_SC_PS4_PS8_PSA_21rocsparse_index_base_SI_SI_SI_bbb
    .private_segment_fixed_size: 24
    .sgpr_count:     106
    .sgpr_spill_count: 8
    .symbol:         _ZN9rocsparseL38bsrgemm_block_per_row_atomic_multipassILj256ELj256ELj2Eli21rocsparse_complex_numIdEEEv20rocsparse_direction_T3_S4_PKS4_S6_NS_24const_host_device_scalarIT4_EEPKT2_S6_PKS8_SC_S6_SE_S9_SC_S6_SE_SC_PS4_PS8_PSA_21rocsparse_index_base_SI_SI_SI_bbb.kd
    .uniform_work_group_size: 1
    .uses_dynamic_stack: false
    .vgpr_count:     81
    .vgpr_spill_count: 0
    .wavefront_size: 64
  - .agpr_count:     0
    .args:
      - .offset:         0
        .size:           4
        .value_kind:     by_value
      - .offset:         4
        .size:           4
        .value_kind:     by_value
      - .offset:         8
        .size:           4
        .value_kind:     by_value
      - .offset:         12
        .size:           4
        .value_kind:     by_value
      - .actual_access:  read_only
        .address_space:  global
        .offset:         16
        .size:           8
        .value_kind:     global_buffer
      - .actual_access:  read_only
        .address_space:  global
        .offset:         24
        .size:           8
        .value_kind:     global_buffer
      - .offset:         32
        .size:           16
        .value_kind:     by_value
      - .actual_access:  read_only
        .address_space:  global
        .offset:         48
        .size:           8
        .value_kind:     global_buffer
      - .actual_access:  read_only
        .address_space:  global
        .offset:         56
        .size:           8
        .value_kind:     global_buffer
      - .actual_access:  read_only
        .address_space:  global
        .offset:         64
        .size:           8
        .value_kind:     global_buffer
      - .actual_access:  read_only
        .address_space:  global
        .offset:         72
        .size:           8
        .value_kind:     global_buffer
      - .actual_access:  read_only
        .address_space:  global
        .offset:         80
        .size:           8
        .value_kind:     global_buffer
      - .actual_access:  read_only
        .address_space:  global
        .offset:         88
        .size:           8
        .value_kind:     global_buffer
      - .offset:         96
        .size:           16
        .value_kind:     by_value
      - .actual_access:  read_only
        .address_space:  global
        .offset:         112
        .size:           8
        .value_kind:     global_buffer
      - .actual_access:  read_only
        .address_space:  global
        .offset:         120
        .size:           8
        .value_kind:     global_buffer
      - .actual_access:  read_only
        .address_space:  global
        .offset:         128
        .size:           8
        .value_kind:     global_buffer
      - .actual_access:  read_only
        .address_space:  global
        .offset:         136
        .size:           8
        .value_kind:     global_buffer
      - .actual_access:  write_only
        .address_space:  global
        .offset:         144
        .size:           8
        .value_kind:     global_buffer
      - .actual_access:  write_only
        .address_space:  global
        .offset:         152
        .size:           8
        .value_kind:     global_buffer
      - .offset:         160
        .size:           4
        .value_kind:     by_value
      - .offset:         164
        .size:           4
        .value_kind:     by_value
      - .offset:         168
        .size:           4
        .value_kind:     by_value
      - .offset:         172
        .size:           4
        .value_kind:     by_value
      - .offset:         176
        .size:           1
        .value_kind:     by_value
      - .offset:         177
        .size:           1
        .value_kind:     by_value
      - .offset:         178
        .size:           1
        .value_kind:     by_value
    .group_segment_fixed_size: 8320
    .kernarg_segment_align: 8
    .kernarg_segment_size: 180
    .language:       OpenCL C
    .language_version:
      - 2
      - 0
    .max_flat_workgroup_size: 256
    .name:           _ZN9rocsparseL23bsrgemm_fill_wf_per_rowILj256ELj64ELj8ELj137ELj4Eli21rocsparse_complex_numIdEEEv20rocsparse_direction_T5_S4_S4_PKS4_S6_NS_24const_host_device_scalarIT6_EEPKT4_S6_PKS8_SC_S6_SE_S9_SC_S6_SE_SC_PS4_PS8_21rocsparse_index_base_SH_SH_SH_bbb
    .private_segment_fixed_size: 24
    .sgpr_count:     76
    .sgpr_spill_count: 0
    .symbol:         _ZN9rocsparseL23bsrgemm_fill_wf_per_rowILj256ELj64ELj8ELj137ELj4Eli21rocsparse_complex_numIdEEEv20rocsparse_direction_T5_S4_S4_PKS4_S6_NS_24const_host_device_scalarIT6_EEPKT4_S6_PKS8_SC_S6_SE_S9_SC_S6_SE_SC_PS4_PS8_21rocsparse_index_base_SH_SH_SH_bbb.kd
    .uniform_work_group_size: 1
    .uses_dynamic_stack: false
    .vgpr_count:     58
    .vgpr_spill_count: 0
    .wavefront_size: 64
  - .agpr_count:     0
    .args:
      - .offset:         0
        .size:           4
        .value_kind:     by_value
      - .offset:         4
        .size:           4
        .value_kind:     by_value
      - .offset:         8
        .size:           4
        .value_kind:     by_value
      - .offset:         12
        .size:           4
        .value_kind:     by_value
      - .actual_access:  read_only
        .address_space:  global
        .offset:         16
        .size:           8
        .value_kind:     global_buffer
      - .actual_access:  read_only
        .address_space:  global
        .offset:         24
        .size:           8
        .value_kind:     global_buffer
      - .offset:         32
        .size:           16
        .value_kind:     by_value
      - .actual_access:  read_only
        .address_space:  global
        .offset:         48
        .size:           8
        .value_kind:     global_buffer
      - .actual_access:  read_only
        .address_space:  global
        .offset:         56
        .size:           8
        .value_kind:     global_buffer
      - .actual_access:  read_only
        .address_space:  global
        .offset:         64
        .size:           8
        .value_kind:     global_buffer
      - .actual_access:  read_only
        .address_space:  global
        .offset:         72
        .size:           8
        .value_kind:     global_buffer
      - .actual_access:  read_only
        .address_space:  global
        .offset:         80
        .size:           8
        .value_kind:     global_buffer
      - .actual_access:  read_only
        .address_space:  global
        .offset:         88
        .size:           8
        .value_kind:     global_buffer
      - .offset:         96
        .size:           16
        .value_kind:     by_value
      - .actual_access:  read_only
        .address_space:  global
        .offset:         112
        .size:           8
        .value_kind:     global_buffer
      - .actual_access:  read_only
        .address_space:  global
        .offset:         120
        .size:           8
        .value_kind:     global_buffer
      - .actual_access:  read_only
        .address_space:  global
        .offset:         128
        .size:           8
        .value_kind:     global_buffer
      - .actual_access:  read_only
        .address_space:  global
        .offset:         136
        .size:           8
        .value_kind:     global_buffer
      - .actual_access:  write_only
        .address_space:  global
        .offset:         144
        .size:           8
        .value_kind:     global_buffer
      - .actual_access:  write_only
        .address_space:  global
        .offset:         152
        .size:           8
        .value_kind:     global_buffer
      - .offset:         160
        .size:           4
        .value_kind:     by_value
      - .offset:         164
        .size:           4
        .value_kind:     by_value
      - .offset:         168
        .size:           4
        .value_kind:     by_value
      - .offset:         172
        .size:           4
        .value_kind:     by_value
      - .offset:         176
        .size:           1
        .value_kind:     by_value
      - .offset:         177
        .size:           1
        .value_kind:     by_value
      - .offset:         178
        .size:           1
        .value_kind:     by_value
    .group_segment_fixed_size: 20736
    .kernarg_segment_align: 8
    .kernarg_segment_size: 180
    .language:       OpenCL C
    .language_version:
      - 2
      - 0
    .max_flat_workgroup_size: 256
    .name:           _ZN9rocsparseL23bsrgemm_fill_wf_per_rowILj256ELj64ELj16ELj137ELj4Eli21rocsparse_complex_numIdEEEv20rocsparse_direction_T5_S4_S4_PKS4_S6_NS_24const_host_device_scalarIT6_EEPKT4_S6_PKS8_SC_S6_SE_S9_SC_S6_SE_SC_PS4_PS8_21rocsparse_index_base_SH_SH_SH_bbb
    .private_segment_fixed_size: 0
    .sgpr_count:     70
    .sgpr_spill_count: 0
    .symbol:         _ZN9rocsparseL23bsrgemm_fill_wf_per_rowILj256ELj64ELj16ELj137ELj4Eli21rocsparse_complex_numIdEEEv20rocsparse_direction_T5_S4_S4_PKS4_S6_NS_24const_host_device_scalarIT6_EEPKT4_S6_PKS8_SC_S6_SE_S9_SC_S6_SE_SC_PS4_PS8_21rocsparse_index_base_SH_SH_SH_bbb.kd
    .uniform_work_group_size: 1
    .uses_dynamic_stack: false
    .vgpr_count:     58
    .vgpr_spill_count: 0
    .wavefront_size: 64
  - .agpr_count:     0
    .args:
      - .offset:         0
        .size:           4
        .value_kind:     by_value
      - .offset:         4
        .size:           4
        .value_kind:     by_value
      - .offset:         8
        .size:           4
        .value_kind:     by_value
      - .actual_access:  read_only
        .address_space:  global
        .offset:         16
        .size:           8
        .value_kind:     global_buffer
      - .actual_access:  read_only
        .address_space:  global
        .offset:         24
        .size:           8
        .value_kind:     global_buffer
      - .offset:         32
        .size:           16
        .value_kind:     by_value
      - .actual_access:  read_only
        .address_space:  global
        .offset:         48
        .size:           8
        .value_kind:     global_buffer
      - .actual_access:  read_only
        .address_space:  global
        .offset:         56
        .size:           8
        .value_kind:     global_buffer
      - .actual_access:  read_only
        .address_space:  global
        .offset:         64
        .size:           8
        .value_kind:     global_buffer
      - .actual_access:  read_only
        .address_space:  global
        .offset:         72
        .size:           8
        .value_kind:     global_buffer
      - .actual_access:  read_only
        .address_space:  global
        .offset:         80
        .size:           8
        .value_kind:     global_buffer
      - .actual_access:  read_only
        .address_space:  global
        .offset:         88
        .size:           8
        .value_kind:     global_buffer
      - .offset:         96
        .size:           16
        .value_kind:     by_value
      - .actual_access:  read_only
        .address_space:  global
        .offset:         112
        .size:           8
        .value_kind:     global_buffer
      - .actual_access:  read_only
        .address_space:  global
        .offset:         120
        .size:           8
        .value_kind:     global_buffer
      - .actual_access:  read_only
        .address_space:  global
        .offset:         128
        .size:           8
        .value_kind:     global_buffer
      - .actual_access:  read_only
        .address_space:  global
        .offset:         136
        .size:           8
        .value_kind:     global_buffer
      - .actual_access:  write_only
        .address_space:  global
        .offset:         144
        .size:           8
        .value_kind:     global_buffer
      - .actual_access:  write_only
        .address_space:  global
        .offset:         152
        .size:           8
        .value_kind:     global_buffer
      - .address_space:  global
        .offset:         160
        .size:           8
        .value_kind:     global_buffer
      - .offset:         168
        .size:           4
        .value_kind:     by_value
      - .offset:         172
        .size:           4
        .value_kind:     by_value
      - .offset:         176
        .size:           4
        .value_kind:     by_value
      - .offset:         180
        .size:           4
        .value_kind:     by_value
      - .offset:         184
        .size:           1
        .value_kind:     by_value
      - .offset:         185
        .size:           1
        .value_kind:     by_value
      - .offset:         186
        .size:           1
        .value_kind:     by_value
    .group_segment_fixed_size: 12424
    .kernarg_segment_align: 8
    .kernarg_segment_size: 188
    .language:       OpenCL C
    .language_version:
      - 2
      - 0
    .max_flat_workgroup_size: 256
    .name:           _ZN9rocsparseL38bsrgemm_block_per_row_atomic_multipassILj256ELj32ELj4Eli21rocsparse_complex_numIdEEEv20rocsparse_direction_T3_S4_PKS4_S6_NS_24const_host_device_scalarIT4_EEPKT2_S6_PKS8_SC_S6_SE_S9_SC_S6_SE_SC_PS4_PS8_PSA_21rocsparse_index_base_SI_SI_SI_bbb
    .private_segment_fixed_size: 24
    .sgpr_count:     103
    .sgpr_spill_count: 0
    .symbol:         _ZN9rocsparseL38bsrgemm_block_per_row_atomic_multipassILj256ELj32ELj4Eli21rocsparse_complex_numIdEEEv20rocsparse_direction_T3_S4_PKS4_S6_NS_24const_host_device_scalarIT4_EEPKT2_S6_PKS8_SC_S6_SE_S9_SC_S6_SE_SC_PS4_PS8_PSA_21rocsparse_index_base_SI_SI_SI_bbb.kd
    .uniform_work_group_size: 1
    .uses_dynamic_stack: false
    .vgpr_count:     73
    .vgpr_spill_count: 0
    .wavefront_size: 64
  - .agpr_count:     0
    .args:
      - .offset:         0
        .size:           4
        .value_kind:     by_value
      - .offset:         4
        .size:           4
        .value_kind:     by_value
      - .offset:         8
        .size:           4
        .value_kind:     by_value
      - .actual_access:  read_only
        .address_space:  global
        .offset:         16
        .size:           8
        .value_kind:     global_buffer
      - .actual_access:  read_only
        .address_space:  global
        .offset:         24
        .size:           8
        .value_kind:     global_buffer
      - .offset:         32
        .size:           16
        .value_kind:     by_value
      - .actual_access:  read_only
        .address_space:  global
        .offset:         48
        .size:           8
        .value_kind:     global_buffer
      - .actual_access:  read_only
        .address_space:  global
        .offset:         56
        .size:           8
        .value_kind:     global_buffer
      - .actual_access:  read_only
        .address_space:  global
        .offset:         64
        .size:           8
        .value_kind:     global_buffer
      - .actual_access:  read_only
        .address_space:  global
        .offset:         72
        .size:           8
        .value_kind:     global_buffer
      - .actual_access:  read_only
        .address_space:  global
        .offset:         80
        .size:           8
        .value_kind:     global_buffer
      - .actual_access:  read_only
        .address_space:  global
        .offset:         88
        .size:           8
        .value_kind:     global_buffer
      - .offset:         96
        .size:           16
        .value_kind:     by_value
      - .actual_access:  read_only
        .address_space:  global
        .offset:         112
        .size:           8
        .value_kind:     global_buffer
      - .actual_access:  read_only
        .address_space:  global
        .offset:         120
        .size:           8
        .value_kind:     global_buffer
      - .actual_access:  read_only
        .address_space:  global
        .offset:         128
        .size:           8
        .value_kind:     global_buffer
      - .actual_access:  read_only
        .address_space:  global
        .offset:         136
        .size:           8
        .value_kind:     global_buffer
      - .actual_access:  write_only
        .address_space:  global
        .offset:         144
        .size:           8
        .value_kind:     global_buffer
      - .actual_access:  write_only
        .address_space:  global
        .offset:         152
        .size:           8
        .value_kind:     global_buffer
      - .address_space:  global
        .offset:         160
        .size:           8
        .value_kind:     global_buffer
      - .offset:         168
        .size:           4
        .value_kind:     by_value
      - .offset:         172
        .size:           4
        .value_kind:     by_value
      - .offset:         176
        .size:           4
        .value_kind:     by_value
      - .offset:         180
        .size:           4
        .value_kind:     by_value
      - .offset:         184
        .size:           1
        .value_kind:     by_value
      - .offset:         185
        .size:           1
        .value_kind:     by_value
      - .offset:         186
        .size:           1
        .value_kind:     by_value
    .group_segment_fixed_size: 20744
    .kernarg_segment_align: 8
    .kernarg_segment_size: 188
    .language:       OpenCL C
    .language_version:
      - 2
      - 0
    .max_flat_workgroup_size: 256
    .name:           _ZN9rocsparseL38bsrgemm_block_per_row_atomic_multipassILj256ELj64ELj4Eli21rocsparse_complex_numIdEEEv20rocsparse_direction_T3_S4_PKS4_S6_NS_24const_host_device_scalarIT4_EEPKT2_S6_PKS8_SC_S6_SE_S9_SC_S6_SE_SC_PS4_PS8_PSA_21rocsparse_index_base_SI_SI_SI_bbb
    .private_segment_fixed_size: 24
    .sgpr_count:     102
    .sgpr_spill_count: 0
    .symbol:         _ZN9rocsparseL38bsrgemm_block_per_row_atomic_multipassILj256ELj64ELj4Eli21rocsparse_complex_numIdEEEv20rocsparse_direction_T3_S4_PKS4_S6_NS_24const_host_device_scalarIT4_EEPKT2_S6_PKS8_SC_S6_SE_S9_SC_S6_SE_SC_PS4_PS8_PSA_21rocsparse_index_base_SI_SI_SI_bbb.kd
    .uniform_work_group_size: 1
    .uses_dynamic_stack: false
    .vgpr_count:     78
    .vgpr_spill_count: 0
    .wavefront_size: 64
  - .agpr_count:     0
    .args:
      - .offset:         0
        .size:           4
        .value_kind:     by_value
      - .offset:         4
        .size:           4
        .value_kind:     by_value
      - .offset:         8
        .size:           4
        .value_kind:     by_value
      - .actual_access:  read_only
        .address_space:  global
        .offset:         16
        .size:           8
        .value_kind:     global_buffer
      - .actual_access:  read_only
        .address_space:  global
        .offset:         24
        .size:           8
        .value_kind:     global_buffer
      - .offset:         32
        .size:           16
        .value_kind:     by_value
      - .actual_access:  read_only
        .address_space:  global
        .offset:         48
        .size:           8
        .value_kind:     global_buffer
      - .actual_access:  read_only
        .address_space:  global
        .offset:         56
        .size:           8
        .value_kind:     global_buffer
      - .actual_access:  read_only
        .address_space:  global
        .offset:         64
        .size:           8
        .value_kind:     global_buffer
      - .actual_access:  read_only
        .address_space:  global
        .offset:         72
        .size:           8
        .value_kind:     global_buffer
      - .actual_access:  read_only
        .address_space:  global
        .offset:         80
        .size:           8
        .value_kind:     global_buffer
      - .actual_access:  read_only
        .address_space:  global
        .offset:         88
        .size:           8
        .value_kind:     global_buffer
      - .offset:         96
        .size:           16
        .value_kind:     by_value
      - .actual_access:  read_only
        .address_space:  global
        .offset:         112
        .size:           8
        .value_kind:     global_buffer
      - .actual_access:  read_only
        .address_space:  global
        .offset:         120
        .size:           8
        .value_kind:     global_buffer
      - .actual_access:  read_only
        .address_space:  global
        .offset:         128
        .size:           8
        .value_kind:     global_buffer
      - .actual_access:  read_only
        .address_space:  global
        .offset:         136
        .size:           8
        .value_kind:     global_buffer
      - .actual_access:  write_only
        .address_space:  global
        .offset:         144
        .size:           8
        .value_kind:     global_buffer
      - .actual_access:  write_only
        .address_space:  global
        .offset:         152
        .size:           8
        .value_kind:     global_buffer
      - .address_space:  global
        .offset:         160
        .size:           8
        .value_kind:     global_buffer
      - .offset:         168
        .size:           4
        .value_kind:     by_value
      - .offset:         172
        .size:           4
        .value_kind:     by_value
      - .offset:         176
        .size:           4
        .value_kind:     by_value
      - .offset:         180
        .size:           4
        .value_kind:     by_value
      - .offset:         184
        .size:           1
        .value_kind:     by_value
      - .offset:         185
        .size:           1
        .value_kind:     by_value
      - .offset:         186
        .size:           1
        .value_kind:     by_value
    .group_segment_fixed_size: 41480
    .kernarg_segment_align: 8
    .kernarg_segment_size: 188
    .language:       OpenCL C
    .language_version:
      - 2
      - 0
    .max_flat_workgroup_size: 256
    .name:           _ZN9rocsparseL38bsrgemm_block_per_row_atomic_multipassILj256ELj128ELj4Eli21rocsparse_complex_numIdEEEv20rocsparse_direction_T3_S4_PKS4_S6_NS_24const_host_device_scalarIT4_EEPKT2_S6_PKS8_SC_S6_SE_S9_SC_S6_SE_SC_PS4_PS8_PSA_21rocsparse_index_base_SI_SI_SI_bbb
    .private_segment_fixed_size: 0
    .sgpr_count:     99
    .sgpr_spill_count: 0
    .symbol:         _ZN9rocsparseL38bsrgemm_block_per_row_atomic_multipassILj256ELj128ELj4Eli21rocsparse_complex_numIdEEEv20rocsparse_direction_T3_S4_PKS4_S6_NS_24const_host_device_scalarIT4_EEPKT2_S6_PKS8_SC_S6_SE_S9_SC_S6_SE_SC_PS4_PS8_PSA_21rocsparse_index_base_SI_SI_SI_bbb.kd
    .uniform_work_group_size: 1
    .uses_dynamic_stack: false
    .vgpr_count:     82
    .vgpr_spill_count: 0
    .wavefront_size: 64
  - .agpr_count:     0
    .args:
      - .offset:         0
        .size:           4
        .value_kind:     by_value
      - .offset:         4
        .size:           4
        .value_kind:     by_value
      - .offset:         8
        .size:           4
        .value_kind:     by_value
      - .offset:         12
        .size:           4
        .value_kind:     by_value
      - .actual_access:  read_only
        .address_space:  global
        .offset:         16
        .size:           8
        .value_kind:     global_buffer
      - .actual_access:  read_only
        .address_space:  global
        .offset:         24
        .size:           8
        .value_kind:     global_buffer
      - .offset:         32
        .size:           16
        .value_kind:     by_value
      - .actual_access:  read_only
        .address_space:  global
        .offset:         48
        .size:           8
        .value_kind:     global_buffer
      - .actual_access:  read_only
        .address_space:  global
        .offset:         56
        .size:           8
        .value_kind:     global_buffer
      - .actual_access:  read_only
        .address_space:  global
        .offset:         64
        .size:           8
        .value_kind:     global_buffer
      - .actual_access:  read_only
        .address_space:  global
        .offset:         72
        .size:           8
        .value_kind:     global_buffer
      - .actual_access:  read_only
        .address_space:  global
        .offset:         80
        .size:           8
        .value_kind:     global_buffer
      - .actual_access:  read_only
        .address_space:  global
        .offset:         88
        .size:           8
        .value_kind:     global_buffer
      - .offset:         96
        .size:           16
        .value_kind:     by_value
      - .actual_access:  read_only
        .address_space:  global
        .offset:         112
        .size:           8
        .value_kind:     global_buffer
      - .actual_access:  read_only
        .address_space:  global
        .offset:         120
        .size:           8
        .value_kind:     global_buffer
      - .actual_access:  read_only
        .address_space:  global
        .offset:         128
        .size:           8
        .value_kind:     global_buffer
      - .actual_access:  read_only
        .address_space:  global
        .offset:         136
        .size:           8
        .value_kind:     global_buffer
      - .actual_access:  write_only
        .address_space:  global
        .offset:         144
        .size:           8
        .value_kind:     global_buffer
      - .actual_access:  write_only
        .address_space:  global
        .offset:         152
        .size:           8
        .value_kind:     global_buffer
      - .offset:         160
        .size:           4
        .value_kind:     by_value
      - .offset:         164
        .size:           4
        .value_kind:     by_value
      - .offset:         168
        .size:           4
        .value_kind:     by_value
      - .offset:         172
        .size:           4
        .value_kind:     by_value
      - .offset:         176
        .size:           1
        .value_kind:     by_value
      - .offset:         177
        .size:           1
        .value_kind:     by_value
      - .offset:         178
        .size:           1
        .value_kind:     by_value
    .group_segment_fixed_size: 36992
    .kernarg_segment_align: 8
    .kernarg_segment_size: 180
    .language:       OpenCL C
    .language_version:
      - 2
      - 0
    .max_flat_workgroup_size: 256
    .name:           _ZN9rocsparseL23bsrgemm_fill_wf_per_rowILj256ELj64ELj8ELj137ELj8Eli21rocsparse_complex_numIdEEEv20rocsparse_direction_T5_S4_S4_PKS4_S6_NS_24const_host_device_scalarIT6_EEPKT4_S6_PKS8_SC_S6_SE_S9_SC_S6_SE_SC_PS4_PS8_21rocsparse_index_base_SH_SH_SH_bbb
    .private_segment_fixed_size: 0
    .sgpr_count:     68
    .sgpr_spill_count: 0
    .symbol:         _ZN9rocsparseL23bsrgemm_fill_wf_per_rowILj256ELj64ELj8ELj137ELj8Eli21rocsparse_complex_numIdEEEv20rocsparse_direction_T5_S4_S4_PKS4_S6_NS_24const_host_device_scalarIT6_EEPKT4_S6_PKS8_SC_S6_SE_S9_SC_S6_SE_SC_PS4_PS8_21rocsparse_index_base_SH_SH_SH_bbb.kd
    .uniform_work_group_size: 1
    .uses_dynamic_stack: false
    .vgpr_count:     60
    .vgpr_spill_count: 0
    .wavefront_size: 64
  - .agpr_count:     0
    .args:
      - .offset:         0
        .size:           4
        .value_kind:     by_value
      - .offset:         4
        .size:           4
        .value_kind:     by_value
      - .offset:         8
        .size:           4
        .value_kind:     by_value
      - .actual_access:  read_only
        .address_space:  global
        .offset:         16
        .size:           8
        .value_kind:     global_buffer
      - .actual_access:  read_only
        .address_space:  global
        .offset:         24
        .size:           8
        .value_kind:     global_buffer
      - .offset:         32
        .size:           16
        .value_kind:     by_value
      - .actual_access:  read_only
        .address_space:  global
        .offset:         48
        .size:           8
        .value_kind:     global_buffer
      - .actual_access:  read_only
        .address_space:  global
        .offset:         56
        .size:           8
        .value_kind:     global_buffer
      - .actual_access:  read_only
        .address_space:  global
        .offset:         64
        .size:           8
        .value_kind:     global_buffer
      - .actual_access:  read_only
        .address_space:  global
        .offset:         72
        .size:           8
        .value_kind:     global_buffer
      - .actual_access:  read_only
        .address_space:  global
        .offset:         80
        .size:           8
        .value_kind:     global_buffer
      - .actual_access:  read_only
        .address_space:  global
        .offset:         88
        .size:           8
        .value_kind:     global_buffer
      - .offset:         96
        .size:           16
        .value_kind:     by_value
      - .actual_access:  read_only
        .address_space:  global
        .offset:         112
        .size:           8
        .value_kind:     global_buffer
      - .actual_access:  read_only
        .address_space:  global
        .offset:         120
        .size:           8
        .value_kind:     global_buffer
      - .actual_access:  read_only
        .address_space:  global
        .offset:         128
        .size:           8
        .value_kind:     global_buffer
      - .actual_access:  read_only
        .address_space:  global
        .offset:         136
        .size:           8
        .value_kind:     global_buffer
      - .actual_access:  write_only
        .address_space:  global
        .offset:         144
        .size:           8
        .value_kind:     global_buffer
      - .actual_access:  write_only
        .address_space:  global
        .offset:         152
        .size:           8
        .value_kind:     global_buffer
      - .address_space:  global
        .offset:         160
        .size:           8
        .value_kind:     global_buffer
      - .offset:         168
        .size:           4
        .value_kind:     by_value
      - .offset:         172
        .size:           4
        .value_kind:     by_value
      - .offset:         176
        .size:           4
        .value_kind:     by_value
      - .offset:         180
        .size:           4
        .value_kind:     by_value
      - .offset:         184
        .size:           1
        .value_kind:     by_value
      - .offset:         185
        .size:           1
        .value_kind:     by_value
      - .offset:         186
        .size:           1
        .value_kind:     by_value
    .group_segment_fixed_size: 20552
    .kernarg_segment_align: 8
    .kernarg_segment_size: 188
    .language:       OpenCL C
    .language_version:
      - 2
      - 0
    .max_flat_workgroup_size: 256
    .name:           _ZN9rocsparseL38bsrgemm_block_per_row_atomic_multipassILj256ELj16ELj8Eli21rocsparse_complex_numIdEEEv20rocsparse_direction_T3_S4_PKS4_S6_NS_24const_host_device_scalarIT4_EEPKT2_S6_PKS8_SC_S6_SE_S9_SC_S6_SE_SC_PS4_PS8_PSA_21rocsparse_index_base_SI_SI_SI_bbb
    .private_segment_fixed_size: 24
    .sgpr_count:     98
    .sgpr_spill_count: 0
    .symbol:         _ZN9rocsparseL38bsrgemm_block_per_row_atomic_multipassILj256ELj16ELj8Eli21rocsparse_complex_numIdEEEv20rocsparse_direction_T3_S4_PKS4_S6_NS_24const_host_device_scalarIT4_EEPKT2_S6_PKS8_SC_S6_SE_S9_SC_S6_SE_SC_PS4_PS8_PSA_21rocsparse_index_base_SI_SI_SI_bbb.kd
    .uniform_work_group_size: 1
    .uses_dynamic_stack: false
    .vgpr_count:     76
    .vgpr_spill_count: 0
    .wavefront_size: 64
  - .agpr_count:     0
    .args:
      - .offset:         0
        .size:           4
        .value_kind:     by_value
      - .offset:         4
        .size:           4
        .value_kind:     by_value
      - .offset:         8
        .size:           4
        .value_kind:     by_value
      - .actual_access:  read_only
        .address_space:  global
        .offset:         16
        .size:           8
        .value_kind:     global_buffer
      - .actual_access:  read_only
        .address_space:  global
        .offset:         24
        .size:           8
        .value_kind:     global_buffer
      - .offset:         32
        .size:           16
        .value_kind:     by_value
      - .actual_access:  read_only
        .address_space:  global
        .offset:         48
        .size:           8
        .value_kind:     global_buffer
      - .actual_access:  read_only
        .address_space:  global
        .offset:         56
        .size:           8
        .value_kind:     global_buffer
      - .actual_access:  read_only
        .address_space:  global
        .offset:         64
        .size:           8
        .value_kind:     global_buffer
      - .actual_access:  read_only
        .address_space:  global
        .offset:         72
        .size:           8
        .value_kind:     global_buffer
      - .actual_access:  read_only
        .address_space:  global
        .offset:         80
        .size:           8
        .value_kind:     global_buffer
      - .actual_access:  read_only
        .address_space:  global
        .offset:         88
        .size:           8
        .value_kind:     global_buffer
      - .offset:         96
        .size:           16
        .value_kind:     by_value
      - .actual_access:  read_only
        .address_space:  global
        .offset:         112
        .size:           8
        .value_kind:     global_buffer
      - .actual_access:  read_only
        .address_space:  global
        .offset:         120
        .size:           8
        .value_kind:     global_buffer
      - .actual_access:  read_only
        .address_space:  global
        .offset:         128
        .size:           8
        .value_kind:     global_buffer
      - .actual_access:  read_only
        .address_space:  global
        .offset:         136
        .size:           8
        .value_kind:     global_buffer
      - .actual_access:  write_only
        .address_space:  global
        .offset:         144
        .size:           8
        .value_kind:     global_buffer
      - .actual_access:  write_only
        .address_space:  global
        .offset:         152
        .size:           8
        .value_kind:     global_buffer
      - .address_space:  global
        .offset:         160
        .size:           8
        .value_kind:     global_buffer
      - .offset:         168
        .size:           4
        .value_kind:     by_value
      - .offset:         172
        .size:           4
        .value_kind:     by_value
      - .offset:         176
        .size:           4
        .value_kind:     by_value
      - .offset:         180
        .size:           4
        .value_kind:     by_value
      - .offset:         184
        .size:           1
        .value_kind:     by_value
      - .offset:         185
        .size:           1
        .value_kind:     by_value
      - .offset:         186
        .size:           1
        .value_kind:     by_value
    .group_segment_fixed_size: 41096
    .kernarg_segment_align: 8
    .kernarg_segment_size: 188
    .language:       OpenCL C
    .language_version:
      - 2
      - 0
    .max_flat_workgroup_size: 256
    .name:           _ZN9rocsparseL38bsrgemm_block_per_row_atomic_multipassILj256ELj32ELj8Eli21rocsparse_complex_numIdEEEv20rocsparse_direction_T3_S4_PKS4_S6_NS_24const_host_device_scalarIT4_EEPKT2_S6_PKS8_SC_S6_SE_S9_SC_S6_SE_SC_PS4_PS8_PSA_21rocsparse_index_base_SI_SI_SI_bbb
    .private_segment_fixed_size: 0
    .sgpr_count:     95
    .sgpr_spill_count: 0
    .symbol:         _ZN9rocsparseL38bsrgemm_block_per_row_atomic_multipassILj256ELj32ELj8Eli21rocsparse_complex_numIdEEEv20rocsparse_direction_T3_S4_PKS4_S6_NS_24const_host_device_scalarIT4_EEPKT2_S6_PKS8_SC_S6_SE_S9_SC_S6_SE_SC_PS4_PS8_PSA_21rocsparse_index_base_SI_SI_SI_bbb.kd
    .uniform_work_group_size: 1
    .uses_dynamic_stack: false
    .vgpr_count:     80
    .vgpr_spill_count: 0
    .wavefront_size: 64
  - .agpr_count:     0
    .args:
      - .offset:         0
        .size:           4
        .value_kind:     by_value
      - .offset:         4
        .size:           4
        .value_kind:     by_value
      - .offset:         8
        .size:           4
        .value_kind:     by_value
      - .actual_access:  read_only
        .address_space:  global
        .offset:         16
        .size:           8
        .value_kind:     global_buffer
      - .actual_access:  read_only
        .address_space:  global
        .offset:         24
        .size:           8
        .value_kind:     global_buffer
      - .offset:         32
        .size:           16
        .value_kind:     by_value
      - .actual_access:  read_only
        .address_space:  global
        .offset:         48
        .size:           8
        .value_kind:     global_buffer
      - .actual_access:  read_only
        .address_space:  global
        .offset:         56
        .size:           8
        .value_kind:     global_buffer
      - .actual_access:  read_only
        .address_space:  global
        .offset:         64
        .size:           8
        .value_kind:     global_buffer
      - .actual_access:  read_only
        .address_space:  global
        .offset:         72
        .size:           8
        .value_kind:     global_buffer
      - .actual_access:  read_only
        .address_space:  global
        .offset:         80
        .size:           8
        .value_kind:     global_buffer
      - .actual_access:  read_only
        .address_space:  global
        .offset:         88
        .size:           8
        .value_kind:     global_buffer
      - .offset:         96
        .size:           16
        .value_kind:     by_value
      - .actual_access:  read_only
        .address_space:  global
        .offset:         112
        .size:           8
        .value_kind:     global_buffer
      - .actual_access:  read_only
        .address_space:  global
        .offset:         120
        .size:           8
        .value_kind:     global_buffer
      - .actual_access:  read_only
        .address_space:  global
        .offset:         128
        .size:           8
        .value_kind:     global_buffer
      - .actual_access:  read_only
        .address_space:  global
        .offset:         136
        .size:           8
        .value_kind:     global_buffer
      - .actual_access:  write_only
        .address_space:  global
        .offset:         144
        .size:           8
        .value_kind:     global_buffer
      - .actual_access:  write_only
        .address_space:  global
        .offset:         152
        .size:           8
        .value_kind:     global_buffer
      - .address_space:  global
        .offset:         160
        .size:           8
        .value_kind:     global_buffer
      - .offset:         168
        .size:           4
        .value_kind:     by_value
      - .offset:         172
        .size:           4
        .value_kind:     by_value
      - .offset:         176
        .size:           4
        .value_kind:     by_value
      - .offset:         180
        .size:           4
        .value_kind:     by_value
      - .offset:         184
        .size:           1
        .value_kind:     by_value
      - .offset:         185
        .size:           1
        .value_kind:     by_value
      - .offset:         186
        .size:           1
        .value_kind:     by_value
    .group_segment_fixed_size: 36872
    .kernarg_segment_align: 8
    .kernarg_segment_size: 188
    .language:       OpenCL C
    .language_version:
      - 2
      - 0
    .max_flat_workgroup_size: 256
    .name:           _ZN9rocsparseL31bsrgemm_block_per_row_multipassILj256ELj8ELj16Eli21rocsparse_complex_numIdEEEv20rocsparse_direction_T3_S4_PKS4_S6_NS_24const_host_device_scalarIT4_EEPKT2_S6_PKS8_SC_S6_SE_S9_SC_S6_SE_SC_PS4_PS8_PSA_21rocsparse_index_base_SI_SI_SI_bbb
    .private_segment_fixed_size: 0
    .sgpr_count:     73
    .sgpr_spill_count: 0
    .symbol:         _ZN9rocsparseL31bsrgemm_block_per_row_multipassILj256ELj8ELj16Eli21rocsparse_complex_numIdEEEv20rocsparse_direction_T3_S4_PKS4_S6_NS_24const_host_device_scalarIT4_EEPKT2_S6_PKS8_SC_S6_SE_S9_SC_S6_SE_SC_PS4_PS8_PSA_21rocsparse_index_base_SI_SI_SI_bbb.kd
    .uniform_work_group_size: 1
    .uses_dynamic_stack: false
    .vgpr_count:     74
    .vgpr_spill_count: 0
    .wavefront_size: 64
  - .agpr_count:     0
    .args:
      - .offset:         0
        .size:           4
        .value_kind:     by_value
      - .offset:         4
        .size:           4
        .value_kind:     by_value
      - .offset:         8
        .size:           4
        .value_kind:     by_value
      - .actual_access:  read_only
        .address_space:  global
        .offset:         16
        .size:           8
        .value_kind:     global_buffer
      - .actual_access:  read_only
        .address_space:  global
        .offset:         24
        .size:           8
        .value_kind:     global_buffer
      - .offset:         32
        .size:           16
        .value_kind:     by_value
      - .actual_access:  read_only
        .address_space:  global
        .offset:         48
        .size:           8
        .value_kind:     global_buffer
      - .actual_access:  read_only
        .address_space:  global
        .offset:         56
        .size:           8
        .value_kind:     global_buffer
      - .actual_access:  read_only
        .address_space:  global
        .offset:         64
        .size:           8
        .value_kind:     global_buffer
      - .actual_access:  read_only
        .address_space:  global
        .offset:         72
        .size:           8
        .value_kind:     global_buffer
      - .actual_access:  read_only
        .address_space:  global
        .offset:         80
        .size:           8
        .value_kind:     global_buffer
      - .actual_access:  read_only
        .address_space:  global
        .offset:         88
        .size:           8
        .value_kind:     global_buffer
      - .offset:         96
        .size:           16
        .value_kind:     by_value
      - .actual_access:  read_only
        .address_space:  global
        .offset:         112
        .size:           8
        .value_kind:     global_buffer
      - .actual_access:  read_only
        .address_space:  global
        .offset:         120
        .size:           8
        .value_kind:     global_buffer
      - .actual_access:  read_only
        .address_space:  global
        .offset:         128
        .size:           8
        .value_kind:     global_buffer
      - .actual_access:  read_only
        .address_space:  global
        .offset:         136
        .size:           8
        .value_kind:     global_buffer
      - .actual_access:  write_only
        .address_space:  global
        .offset:         144
        .size:           8
        .value_kind:     global_buffer
      - .actual_access:  write_only
        .address_space:  global
        .offset:         152
        .size:           8
        .value_kind:     global_buffer
      - .address_space:  global
        .offset:         160
        .size:           8
        .value_kind:     global_buffer
      - .offset:         168
        .size:           4
        .value_kind:     by_value
      - .offset:         172
        .size:           4
        .value_kind:     by_value
      - .offset:         176
        .size:           4
        .value_kind:     by_value
      - .offset:         180
        .size:           4
        .value_kind:     by_value
      - .offset:         184
        .size:           1
        .value_kind:     by_value
      - .offset:         185
        .size:           1
        .value_kind:     by_value
      - .offset:         186
        .size:           1
        .value_kind:     by_value
    .group_segment_fixed_size: 36872
    .kernarg_segment_align: 8
    .kernarg_segment_size: 188
    .language:       OpenCL C
    .language_version:
      - 2
      - 0
    .max_flat_workgroup_size: 256
    .name:           _ZN9rocsparseL31bsrgemm_block_per_row_multipassILj256ELj2ELj32Eli21rocsparse_complex_numIdEEEv20rocsparse_direction_T3_S4_PKS4_S6_NS_24const_host_device_scalarIT4_EEPKT2_S6_PKS8_SC_S6_SE_S9_SC_S6_SE_SC_PS4_PS8_PSA_21rocsparse_index_base_SI_SI_SI_bbb
    .private_segment_fixed_size: 0
    .sgpr_count:     89
    .sgpr_spill_count: 0
    .symbol:         _ZN9rocsparseL31bsrgemm_block_per_row_multipassILj256ELj2ELj32Eli21rocsparse_complex_numIdEEEv20rocsparse_direction_T3_S4_PKS4_S6_NS_24const_host_device_scalarIT4_EEPKT2_S6_PKS8_SC_S6_SE_S9_SC_S6_SE_SC_PS4_PS8_PSA_21rocsparse_index_base_SI_SI_SI_bbb.kd
    .uniform_work_group_size: 1
    .uses_dynamic_stack: false
    .vgpr_count:     111
    .vgpr_spill_count: 0
    .wavefront_size: 64
amdhsa.target:   amdgcn-amd-amdhsa--gfx90a
amdhsa.version:
  - 1
  - 2
...

	.end_amdgpu_metadata
